;; amdgpu-corpus repo=ggml-org/llama.cpp kind=compiled arch=gfx1201 opt=O3
	.amdgcn_target "amdgcn-amd-amdhsa--gfx1201"
	.amdhsa_code_object_version 6
	.section	.text._ZL17mul_mat_vec_q_moeIL9ggml_type41ELi2EEvPKvS2_PKiPfj15HIP_vector_typeIjLj3EEjjjjjjjjj,"axG",@progbits,_ZL17mul_mat_vec_q_moeIL9ggml_type41ELi2EEvPKvS2_PKiPfj15HIP_vector_typeIjLj3EEjjjjjjjjj,comdat
	.globl	_ZL17mul_mat_vec_q_moeIL9ggml_type41ELi2EEvPKvS2_PKiPfj15HIP_vector_typeIjLj3EEjjjjjjjjj ; -- Begin function _ZL17mul_mat_vec_q_moeIL9ggml_type41ELi2EEvPKvS2_PKiPfj15HIP_vector_typeIjLj3EEjjjjjjjjj
	.p2align	8
	.type	_ZL17mul_mat_vec_q_moeIL9ggml_type41ELi2EEvPKvS2_PKiPfj15HIP_vector_typeIjLj3EEjjjjjjjjj,@function
_ZL17mul_mat_vec_q_moeIL9ggml_type41ELi2EEvPKvS2_PKiPfj15HIP_vector_typeIjLj3EEjjjjjjjjj: ; @_ZL17mul_mat_vec_q_moeIL9ggml_type41ELi2EEvPKvS2_PKiPfj15HIP_vector_typeIjLj3EEjjjjjjjjj
; %bb.0:
	s_load_b256 s[4:11], s[0:1], 0x30
	v_bfe_u32 v6, v0, 10, 10
	s_mov_b32 s2, exec_lo
	s_wait_kmcnt 0x0
	s_delay_alu instid0(VALU_DEP_1)
	v_cmpx_gt_u32_e64 s11, v6
	s_cbranch_execz .LBB0_7
; %bb.1:
	s_clause 0x2
	s_load_b32 s2, s[0:1], 0x20
	s_load_b32 s20, s[0:1], 0x50
	s_load_b256 s[12:19], s[0:1], 0x0
	v_bfe_u32 v8, v0, 2, 8
	v_dual_mov_b32 v0, 0 :: v_dual_and_b32 v7, 0x3ff, v0
	v_mov_b32_e32 v1, 0
	s_mov_b32 s11, exec_lo
	s_wait_kmcnt 0x0
	s_lshr_b32 s3, s2, 7
	s_lshl_b32 s2, ttmp9, 1
	v_cmpx_gt_u32_e64 s3, v8
	s_cbranch_execz .LBB0_5
; %bb.2:
	s_mov_b32 s22, ttmp7
	v_lshrrev_b32_e32 v4, 2, v7
	v_mad_co_u64_u32 v[0:1], null, s20, v6, s[22:23]
	v_mov_b32_e32 v1, 0
	s_load_b96 s[20:22], s[0:1], 0x24
	s_mov_b32 s1, 0
	s_delay_alu instid0(VALU_DEP_1) | instskip(NEXT) | instid1(VALU_DEP_1)
	v_lshlrev_b64_e32 v[2:3], 2, v[0:1]
	v_add_co_u32 v2, vcc_lo, s16, v2
	s_delay_alu instid0(VALU_DEP_1) | instskip(SKIP_4) | instid1(SALU_CYCLE_1)
	v_add_co_ci_u32_e64 v3, null, s17, v3, vcc_lo
	global_load_b32 v0, v[2:3], off
	v_mul_lo_u32 v2, s6, v6
	s_wait_kmcnt 0x0
	s_mul_hi_u32 s0, s20, ttmp7
	s_add_co_i32 s0, ttmp7, s0
	s_delay_alu instid0(SALU_CYCLE_1) | instskip(NEXT) | instid1(SALU_CYCLE_1)
	s_lshr_b32 s0, s0, s21
	s_mul_i32 s0, s0, s22
	s_delay_alu instid0(VALU_DEP_1) | instskip(SKIP_1) | instid1(SALU_CYCLE_1)
	v_mad_co_u64_u32 v[2:3], null, v2, 36, 0
	s_sub_co_i32 s0, ttmp7, s0
	s_mul_i32 s0, s0, s9
	v_mad_co_u64_u32 v[2:3], null, 0x90, v4, v[2:3]
	v_dual_mov_b32 v11, 0xff000000 :: v_dual_and_b32 v4, 3, v7
	s_delay_alu instid0(VALU_DEP_1) | instskip(NEXT) | instid1(VALU_DEP_3)
	v_lshlrev_b32_e32 v9, 2, v4
	v_mad_co_u64_u32 v[2:3], null, s0, 36, v[2:3]
	s_add_co_i32 s0, s2, 1
	v_mad_co_u64_u32 v[2:3], null, v4, 36, v[2:3]
	s_delay_alu instid0(VALU_DEP_1) | instskip(SKIP_1) | instid1(VALU_DEP_2)
	v_add_co_u32 v5, vcc_lo, s14, v2
	s_wait_alu 0xfffd
	v_add_co_ci_u32_e64 v10, null, s15, v3, vcc_lo
	s_wait_loadcnt 0x0
	v_mul_lo_u32 v0, v0, s8
	s_delay_alu instid0(VALU_DEP_1)
	v_mad_co_u64_u32 v[2:3], null, s2, s5, v[0:1]
	s_wait_alu 0xfffe
	v_mad_co_u64_u32 v[3:4], null, s5, s0, v[0:1]
	v_add_co_u32 v4, vcc_lo, v5, 32
	s_wait_alu 0xfffd
	v_add_co_ci_u32_e64 v5, null, 0, v10, vcc_lo
	v_mov_b32_e32 v10, 0xff0000
	v_mov_b32_e32 v0, v1
.LBB0_3:                                ; =>This Inner Loop Header: Depth=1
	v_add_nc_u32_e32 v12, v2, v8
	v_add_nc_u32_e32 v14, v3, v8
	s_delay_alu instid0(VALU_DEP_2) | instskip(NEXT) | instid1(VALU_DEP_2)
	v_mad_co_i64_i32 v[12:13], null, v12, 18, s[12:13]
	v_mad_co_i64_i32 v[14:15], null, v14, 18, s[12:13]
	s_delay_alu instid0(VALU_DEP_2) | instskip(SKIP_1) | instid1(VALU_DEP_3)
	v_add_co_u32 v16, vcc_lo, v12, v9
	s_wait_alu 0xfffd
	v_add_co_ci_u32_e64 v17, null, 0, v13, vcc_lo
	s_delay_alu instid0(VALU_DEP_3) | instskip(SKIP_1) | instid1(VALU_DEP_4)
	v_add_co_u32 v18, vcc_lo, v14, v9
	s_wait_alu 0xfffd
	v_add_co_ci_u32_e64 v19, null, 0, v15, vcc_lo
	s_clause 0x3
	global_load_u16 v20, v[12:13], off
	global_load_b32 v21, v[16:17], off offset:2
	global_load_u16 v22, v[14:15], off
	global_load_b32 v23, v[18:19], off offset:2
	s_clause 0x2
	global_load_b128 v[12:15], v[4:5], off offset:-32
	global_load_b128 v[16:19], v[4:5], off offset:-16
	global_load_b32 v24, v[4:5], off
	s_wait_loadcnt 0x5
	v_and_b32_e32 v25, 1, v21
	v_and_b32_e32 v26, 4, v21
	;; [unrolled: 1-line block ×5, first 2 shown]
	v_cmp_eq_u32_e32 vcc_lo, 0, v25
	s_wait_loadcnt 0x2
	v_cvt_f32_f16_e32 v12, v12
	v_and_b32_e32 v31, 0x80, v21
	v_and_b32_e32 v33, 0x100, v21
	v_and_b32_e32 v34, 0x400, v21
	s_wait_alu 0xfffd
	v_cndmask_b32_e64 v25, 1, 0xff, vcc_lo
	v_cmp_eq_u32_e32 vcc_lo, 0, v26
	v_and_b32_e32 v35, 0x800, v21
	v_and_b32_e32 v36, 0x1000, v21
	;; [unrolled: 1-line block ×4, first 2 shown]
	s_wait_alu 0xfffd
	v_cndmask_b32_e32 v26, 0x10000, v10, vcc_lo
	v_cmp_eq_u32_e32 vcc_lo, 0, v27
	v_and_b32_e32 v40, 0x10000, v21
	v_and_b32_e32 v41, 0x40000, v21
	v_ashrrev_i32_e32 v52, 28, v21
	v_and_b32_e32 v42, 0x80000, v21
	s_wait_alu 0xfffd
	v_cndmask_b32_e32 v27, 0x1000000, v11, vcc_lo
	v_cmp_eq_u32_e32 vcc_lo, 0, v29
	v_and_b32_e32 v44, 0x100000, v21
	v_and_b32_e32 v45, 0x400000, v21
	;; [unrolled: 1-line block ×4, first 2 shown]
	s_wait_alu 0xfffd
	v_cndmask_b32_e64 v29, 1, 0xff, vcc_lo
	v_cmp_eq_u32_e32 vcc_lo, 0, v30
	v_and_b32_e32 v49, 0x4000000, v21
	v_and_b32_e32 v50, 0x8000000, v21
	;; [unrolled: 1-line block ×3, first 2 shown]
	v_and_b32_e32 v54, 2.0, v21
	s_wait_alu 0xfffd
	v_cndmask_b32_e32 v30, 0x10000, v10, vcc_lo
	v_cmp_eq_u32_e32 vcc_lo, 0, v31
	v_and_b32_e32 v56, 4, v23
	v_and_b32_e32 v59, 16, v23
	v_and_b32_e32 v60, 64, v23
	v_and_b32_e32 v61, 0x80, v23
	s_wait_alu 0xfffd
	v_cndmask_b32_e32 v31, 0x1000000, v11, vcc_lo
	v_cmp_eq_u32_e32 vcc_lo, 0, v33
	v_and_b32_e32 v63, 0x100, v23
	v_and_b32_e32 v64, 0x400, v23
	;; [unrolled: 1-line block ×4, first 2 shown]
	s_wait_alu 0xfffd
	v_cndmask_b32_e64 v33, 1, 0xff, vcc_lo
	v_cmp_eq_u32_e32 vcc_lo, 0, v34
	v_and_b32_e32 v67, 0x4000, v23
	v_and_b32_e32 v68, 0x8000, v23
	;; [unrolled: 1-line block ×4, first 2 shown]
	s_wait_alu 0xfffd
	v_cndmask_b32_e32 v34, 0x10000, v10, vcc_lo
	v_cmp_eq_u32_e32 vcc_lo, 0, v35
	v_add_nc_u32_e32 v8, 8, v8
	v_and_b32_e32 v72, 0x80000, v23
	v_and_b32_e32 v74, 0x100000, v23
	v_and_b32_e32 v75, 0x400000, v23
	s_wait_alu 0xfffd
	v_cndmask_b32_e32 v35, 0x1000000, v11, vcc_lo
	v_cmp_eq_u32_e32 vcc_lo, 0, v36
	v_and_b32_e32 v76, 0x800000, v23
	v_lshrrev_b32_e32 v43, 8, v21
	v_and_b32_e32 v78, 0x1000000, v23
	v_and_b32_e32 v85, 8, v52
	s_wait_alu 0xfffd
	v_cndmask_b32_e64 v36, 1, 0xff, vcc_lo
	v_cmp_eq_u32_e32 vcc_lo, 0, v37
	v_lshrrev_b32_e32 v47, 12, v21
	v_lshlrev_b32_e32 v62, 4, v23
	v_and_b32_e32 v79, 0x4000000, v23
	v_lshrrev_b32_e32 v39, 4, v21
	s_wait_alu 0xfffd
	v_cndmask_b32_e32 v37, 0x10000, v10, vcc_lo
	v_cmp_eq_u32_e32 vcc_lo, 0, v38
	v_lshrrev_b32_e32 v51, 16, v21
	v_and_b32_e32 v80, 0x8000000, v23
	v_lshrrev_b32_e32 v69, 4, v23
	v_lshrrev_b32_e32 v73, 8, v23
	s_wait_alu 0xfffd
	v_cndmask_b32_e32 v38, 0x1000000, v11, vcc_lo
	v_cmp_eq_u32_e32 vcc_lo, 0, v40
	v_lshrrev_b32_e32 v77, 12, v23
	v_lshrrev_b32_e32 v81, 16, v23
	v_ashrrev_i32_e32 v82, 28, v23
	v_and_b32_e32 v83, 0x10000000, v23
	s_wait_alu 0xfffd
	v_cndmask_b32_e64 v40, 1, 0xff, vcc_lo
	v_cmp_eq_u32_e32 vcc_lo, 0, v41
	v_lshlrev_b32_e32 v28, 8, v21
	v_and_b32_e32 v84, 2.0, v23
	v_cmp_le_u32_e64 s0, s3, v8
	s_wait_alu 0xfffd
	v_cndmask_b32_e32 v41, 0x10000, v10, vcc_lo
	v_cmp_eq_u32_e32 vcc_lo, 0, v42
	v_and_or_b32 v25, 0x200, v28, v25
	s_or_b32 s1, s0, s1
	s_wait_alu 0xfffd
	v_cndmask_b32_e32 v42, 0x1000000, v11, vcc_lo
	v_cmp_eq_u32_e32 vcc_lo, 0, v44
	v_add_nc_u32_e32 v25, 0xff00, v25
	s_wait_alu 0xfffd
	v_cndmask_b32_e64 v44, 1, 0xff, vcc_lo
	v_cmp_eq_u32_e32 vcc_lo, 0, v45
	s_delay_alu instid0(VALU_DEP_3) | instskip(SKIP_3) | instid1(VALU_DEP_3)
	v_or3_b32 v25, v27, v26, v25
	s_wait_alu 0xfffd
	v_cndmask_b32_e32 v45, 0x10000, v10, vcc_lo
	v_cmp_eq_u32_e32 vcc_lo, 0, v46
	v_dot4_i32_iu8 v25, v25, v13, 0 neg_lo:[1,1,0]
	s_wait_alu 0xfffd
	v_cndmask_b32_e32 v46, 0x1000000, v11, vcc_lo
	v_cmp_eq_u32_e32 vcc_lo, 0, v48
	s_wait_alu 0xfffd
	v_cndmask_b32_e64 v48, 1, 0xff, vcc_lo
	v_cmp_eq_u32_e32 vcc_lo, 0, v49
	v_lshlrev_b32_e32 v32, 4, v21
	v_and_or_b32 v21, 0x200, v21, v33
	v_and_or_b32 v33, 0x200, v47, v44
	s_wait_alu 0xfffd
	v_cndmask_b32_e32 v49, 0x10000, v10, vcc_lo
	v_cmp_eq_u32_e32 vcc_lo, 0, v50
	v_and_or_b32 v28, 0x200, v32, v29
	v_and_or_b32 v32, 0x200, v43, v40
	;; [unrolled: 1-line block ×3, first 2 shown]
	v_add_nc_u32_e32 v21, 0xff00, v21
	s_wait_alu 0xfffd
	v_cndmask_b32_e32 v50, 0x1000000, v11, vcc_lo
	v_cmp_eq_u32_e32 vcc_lo, 0, v53
	v_add_nc_u32_e32 v28, 0xff00, v28
	v_and_or_b32 v36, 0x200, v51, v48
	v_add_nc_u32_e32 v29, 0xff00, v29
	v_or3_b32 v21, v35, v34, v21
	s_wait_alu 0xfffd
	v_cndmask_b32_e64 v53, 1, 0xff, vcc_lo
	v_cmp_eq_u32_e32 vcc_lo, 0, v54
	v_and_b32_e32 v55, 1, v23
	v_or3_b32 v27, v31, v30, v28
	v_add_nc_u32_e32 v32, 0xff00, v32
	v_add_nc_u32_e32 v33, 0xff00, v33
	s_wait_alu 0xfffd
	v_cndmask_b32_e32 v54, 0x10000, v10, vcc_lo
	v_cmp_eq_u32_e32 vcc_lo, 0, v55
	v_dot4_i32_iu8 v25, v27, v14, v25 neg_lo:[1,1,0]
	v_add_nc_u32_e32 v36, 0xff00, v36
	s_wait_alu 0xfffd
	v_cndmask_b32_e64 v55, 1, 0xff, vcc_lo
	v_cmp_eq_u32_e32 vcc_lo, 0, v56
	v_and_b32_e32 v57, 8, v23
	v_dot4_i32_iu8 v21, v21, v15, v25 neg_lo:[1,1,0]
	s_wait_alu 0xfffd
	v_cndmask_b32_e32 v56, 0x10000, v10, vcc_lo
	s_delay_alu instid0(VALU_DEP_3)
	v_cmp_eq_u32_e32 vcc_lo, 0, v57
	s_wait_alu 0xfffd
	v_cndmask_b32_e32 v57, 0x1000000, v11, vcc_lo
	v_cmp_eq_u32_e32 vcc_lo, 0, v59
	s_wait_alu 0xfffd
	v_cndmask_b32_e64 v59, 1, 0xff, vcc_lo
	v_cmp_eq_u32_e32 vcc_lo, 0, v60
	s_delay_alu instid0(VALU_DEP_2) | instskip(SKIP_3) | instid1(VALU_DEP_3)
	v_and_or_b32 v44, 0x200, v62, v59
	s_wait_alu 0xfffd
	v_cndmask_b32_e32 v60, 0x10000, v10, vcc_lo
	v_cmp_eq_u32_e32 vcc_lo, 0, v61
	v_add_nc_u32_e32 v44, 0xff00, v44
	s_wait_alu 0xfffd
	v_cndmask_b32_e32 v61, 0x1000000, v11, vcc_lo
	v_cmp_eq_u32_e32 vcc_lo, 0, v63
	s_delay_alu instid0(VALU_DEP_2)
	v_or3_b32 v28, v61, v60, v44
	s_wait_alu 0xfffd
	v_cndmask_b32_e64 v63, 1, 0xff, vcc_lo
	v_cmp_eq_u32_e32 vcc_lo, 0, v64
	s_wait_alu 0xfffd
	v_cndmask_b32_e32 v64, 0x10000, v10, vcc_lo
	v_cmp_eq_u32_e32 vcc_lo, 0, v65
	s_wait_alu 0xfffd
	v_dual_cndmask_b32 v65, 0x1000000, v11 :: v_dual_lshlrev_b32 v52, 8, v52
	v_cmp_eq_u32_e32 vcc_lo, 0, v66
	s_delay_alu instid0(VALU_DEP_2) | instskip(SKIP_3) | instid1(VALU_DEP_3)
	v_and_or_b32 v40, 0x200, v52, v53
	s_wait_alu 0xfffd
	v_cndmask_b32_e64 v66, 1, 0xff, vcc_lo
	v_cmp_eq_u32_e32 vcc_lo, 0, v67
	v_add_nc_u32_e32 v40, 0xff00, v40
	s_delay_alu instid0(VALU_DEP_3) | instskip(SKIP_3) | instid1(VALU_DEP_3)
	v_and_or_b32 v47, 0x200, v69, v66
	s_wait_alu 0xfffd
	v_cndmask_b32_e32 v67, 0x10000, v10, vcc_lo
	v_cmp_eq_u32_e32 vcc_lo, 0, v68
	v_add_nc_u32_e32 v47, 0xff00, v47
	s_wait_alu 0xfffd
	v_cndmask_b32_e32 v68, 0x1000000, v11, vcc_lo
	v_cmp_eq_u32_e32 vcc_lo, 0, v70
	s_wait_alu 0xfffd
	v_cndmask_b32_e64 v70, 1, 0xff, vcc_lo
	v_cmp_eq_u32_e32 vcc_lo, 0, v71
	s_delay_alu instid0(VALU_DEP_2) | instskip(SKIP_3) | instid1(VALU_DEP_3)
	v_and_or_b32 v48, 0x200, v73, v70
	s_wait_alu 0xfffd
	v_cndmask_b32_e32 v71, 0x10000, v10, vcc_lo
	v_cmp_eq_u32_e32 vcc_lo, 0, v72
	v_add_nc_u32_e32 v48, 0xff00, v48
	s_wait_alu 0xfffd
	v_cndmask_b32_e32 v72, 0x1000000, v11, vcc_lo
	v_cmp_eq_u32_e32 vcc_lo, 0, v74
	s_wait_alu 0xfffd
	v_cndmask_b32_e64 v74, 1, 0xff, vcc_lo
	v_cmp_eq_u32_e32 vcc_lo, 0, v75
	v_lshlrev_b32_e32 v58, 8, v23
	v_and_or_b32 v23, 0x200, v23, v63
	s_delay_alu instid0(VALU_DEP_4)
	v_and_or_b32 v51, 0x200, v77, v74
	s_wait_alu 0xfffd
	v_cndmask_b32_e32 v75, 0x10000, v10, vcc_lo
	v_cmp_eq_u32_e32 vcc_lo, 0, v76
	v_and_or_b32 v43, 0x200, v58, v55
	v_add_nc_u32_e32 v23, 0xff00, v23
	v_add_nc_u32_e32 v51, 0xff00, v51
	s_wait_alu 0xfffd
	v_cndmask_b32_e32 v76, 0x1000000, v11, vcc_lo
	v_cmp_eq_u32_e32 vcc_lo, 0, v78
	v_add_nc_u32_e32 v43, 0xff00, v43
	v_or3_b32 v23, v65, v64, v23
	s_wait_alu 0xfffd
	v_cndmask_b32_e64 v78, 1, 0xff, vcc_lo
	v_cmp_eq_u32_e32 vcc_lo, 0, v79
	v_or3_b32 v26, v57, v56, v43
	s_delay_alu instid0(VALU_DEP_3)
	v_and_or_b32 v52, 0x200, v81, v78
	s_wait_alu 0xfffd
	v_cndmask_b32_e32 v79, 0x10000, v10, vcc_lo
	v_cmp_eq_u32_e32 vcc_lo, 0, v80
	v_dot4_i32_iu8 v13, v26, v13, 0 neg_lo:[1,1,0]
	v_or3_b32 v26, v68, v67, v47
	v_add_nc_u32_e32 v52, 0xff00, v52
	s_wait_alu 0xfffd
	v_cndmask_b32_e32 v80, 0x1000000, v11, vcc_lo
	v_cmp_eq_u32_e32 vcc_lo, 0, v83
	v_dot4_i32_iu8 v13, v28, v14, v13 neg_lo:[1,1,0]
	v_or3_b32 v14, v38, v37, v29
	s_wait_alu 0xfffd
	v_cndmask_b32_e64 v83, 1, 0xff, vcc_lo
	v_cmp_eq_u32_e32 vcc_lo, 0, v84
	v_dot4_i32_iu8 v13, v23, v15, v13 neg_lo:[1,1,0]
	v_or3_b32 v15, v42, v41, v32
	v_or3_b32 v23, v72, v71, v48
	s_wait_loadcnt 0x1
	v_dot4_i32_iu8 v14, v14, v16, v21 neg_lo:[1,1,0]
	s_wait_alu 0xfffd
	v_cndmask_b32_e32 v84, 0x10000, v10, vcc_lo
	v_cmp_eq_u32_e32 vcc_lo, 0, v85
	v_and_b32_e32 v86, 8, v82
	v_dot4_i32_iu8 v13, v26, v16, v13 neg_lo:[1,1,0]
	v_or3_b32 v16, v46, v45, v33
	v_or3_b32 v21, v76, v75, v51
	s_wait_alu 0xfffd
	v_cndmask_b32_e32 v39, 0x1000000, v11, vcc_lo
	v_cmp_eq_u32_e32 vcc_lo, 0, v86
	v_lshlrev_b32_e32 v82, 8, v82
	v_dot4_i32_iu8 v14, v15, v17, v14 neg_lo:[1,1,0]
	v_dot4_i32_iu8 v13, v23, v17, v13 neg_lo:[1,1,0]
	v_or3_b32 v15, v50, v49, v36
	s_wait_alu 0xfffd
	v_cndmask_b32_e32 v53, 0x1000000, v11, vcc_lo
	v_and_or_b32 v55, 0x200, v82, v83
	v_or3_b32 v17, v80, v79, v52
	v_dot4_i32_iu8 v14, v16, v18, v14 neg_lo:[1,1,0]
	v_dot4_i32_iu8 v13, v21, v18, v13 neg_lo:[1,1,0]
	v_or3_b32 v16, v39, v54, v40
	v_add_nc_u32_e32 v55, 0xff00, v55
	v_add_co_u32 v4, vcc_lo, 0x480, v4
	v_dot4_i32_iu8 v14, v15, v19, v14 neg_lo:[1,1,0]
	v_dot4_i32_iu8 v13, v17, v19, v13 neg_lo:[1,1,0]
	s_delay_alu instid0(VALU_DEP_4)
	v_or3_b32 v18, v53, v84, v55
	v_cvt_f32_f16_e32 v15, v20
	v_cvt_f32_f16_e32 v17, v22
	s_wait_loadcnt 0x0
	v_dot4_i32_iu8 v14, v16, v24, v14 neg_lo:[1,1,0]
	s_wait_alu 0xfffd
	v_add_co_ci_u32_e64 v5, null, 0, v5, vcc_lo
	v_dot4_i32_iu8 v13, v18, v24, v13 neg_lo:[1,1,0]
	v_mul_f32_e32 v15, v15, v12
	v_mul_f32_e32 v12, v17, v12
	v_cvt_f32_i32_e32 v14, v14
	s_delay_alu instid0(VALU_DEP_4) | instskip(NEXT) | instid1(VALU_DEP_1)
	v_cvt_f32_i32_e32 v13, v13
	v_dual_fmac_f32 v1, v15, v14 :: v_dual_fmac_f32 v0, v12, v13
	s_wait_alu 0xfffe
	s_and_not1_b32 exec_lo, exec_lo, s1
	s_cbranch_execnz .LBB0_3
; %bb.4:
	s_or_b32 exec_lo, exec_lo, s1
.LBB0_5:
	s_wait_alu 0xfffe
	s_or_b32 exec_lo, exec_lo, s11
	v_mbcnt_lo_u32_b32 v2, -1, 0
	s_delay_alu instid0(VALU_DEP_1) | instskip(SKIP_1) | instid1(VALU_DEP_2)
	v_xor_b32_e32 v3, 16, v2
	v_xor_b32_e32 v5, 8, v2
	v_cmp_gt_i32_e32 vcc_lo, 32, v3
	s_wait_alu 0xfffd
	v_cndmask_b32_e32 v3, v2, v3, vcc_lo
	s_delay_alu instid0(VALU_DEP_3) | instskip(NEXT) | instid1(VALU_DEP_2)
	v_cmp_gt_i32_e32 vcc_lo, 32, v5
	v_lshlrev_b32_e32 v3, 2, v3
	ds_bpermute_b32 v4, v3, v1
	ds_bpermute_b32 v3, v3, v0
	s_wait_alu 0xfffd
	v_cndmask_b32_e32 v5, v2, v5, vcc_lo
	s_wait_dscnt 0x0
	v_dual_add_f32 v1, v1, v4 :: v_dual_add_f32 v0, v0, v3
	s_delay_alu instid0(VALU_DEP_2) | instskip(SKIP_3) | instid1(VALU_DEP_1)
	v_lshlrev_b32_e32 v5, 2, v5
	ds_bpermute_b32 v3, v5, v1
	ds_bpermute_b32 v4, v5, v0
	v_xor_b32_e32 v5, 4, v2
	v_cmp_gt_i32_e32 vcc_lo, 32, v5
	s_wait_alu 0xfffd
	v_cndmask_b32_e32 v5, v2, v5, vcc_lo
	s_delay_alu instid0(VALU_DEP_1)
	v_lshlrev_b32_e32 v5, 2, v5
	s_wait_dscnt 0x0
	v_dual_add_f32 v1, v1, v3 :: v_dual_add_f32 v0, v0, v4
	ds_bpermute_b32 v3, v5, v1
	ds_bpermute_b32 v4, v5, v0
	v_xor_b32_e32 v5, 2, v2
	s_delay_alu instid0(VALU_DEP_1) | instskip(SKIP_2) | instid1(VALU_DEP_1)
	v_cmp_gt_i32_e32 vcc_lo, 32, v5
	s_wait_alu 0xfffd
	v_cndmask_b32_e32 v5, v2, v5, vcc_lo
	v_lshlrev_b32_e32 v5, 2, v5
	s_wait_dscnt 0x1
	v_add_f32_e32 v1, v1, v3
	s_wait_dscnt 0x0
	v_add_f32_e32 v3, v0, v4
	ds_bpermute_b32 v0, v5, v1
	ds_bpermute_b32 v4, v5, v3
	v_xor_b32_e32 v5, 1, v2
	s_delay_alu instid0(VALU_DEP_1) | instskip(SKIP_4) | instid1(VALU_DEP_2)
	v_cmp_gt_i32_e32 vcc_lo, 32, v5
	s_wait_alu 0xfffd
	v_cndmask_b32_e32 v2, v2, v5, vcc_lo
	v_cmp_gt_u32_e32 vcc_lo, 2, v7
	s_wait_dscnt 0x1
	v_dual_add_f32 v0, v1, v0 :: v_dual_lshlrev_b32 v5, 2, v2
	s_wait_dscnt 0x0
	v_dual_add_f32 v1, v3, v4 :: v_dual_add_nc_u32 v4, s2, v7
	ds_bpermute_b32 v2, v5, v0
	ds_bpermute_b32 v3, v5, v1
	v_cmp_gt_u32_e64 s0, s4, v4
	s_and_b32 s0, vcc_lo, s0
	s_wait_alu 0xfffe
	s_and_b32 exec_lo, exec_lo, s0
	s_cbranch_execz .LBB0_7
; %bb.6:
	v_mul_lo_u32 v4, s7, v6
	v_or_b32_e32 v6, s2, v7
	s_mul_i32 s0, s10, ttmp7
	s_wait_dscnt 0x1
	v_dual_mov_b32 v5, 0 :: v_dual_add_f32 v2, v0, v2
	s_wait_dscnt 0x0
	v_add_f32_e32 v3, v1, v3
	v_cmp_eq_u32_e32 vcc_lo, 1, v7
	s_wait_alu 0xfffe
	v_add3_u32 v4, v6, v4, s0
	s_wait_alu 0xfffd
	v_cndmask_b32_e32 v2, v2, v3, vcc_lo
	s_delay_alu instid0(VALU_DEP_2) | instskip(NEXT) | instid1(VALU_DEP_1)
	v_lshlrev_b64_e32 v[0:1], 2, v[4:5]
	v_add_co_u32 v0, vcc_lo, s18, v0
	s_wait_alu 0xfffd
	s_delay_alu instid0(VALU_DEP_2)
	v_add_co_ci_u32_e64 v1, null, s19, v1, vcc_lo
	global_store_b32 v[0:1], v2, off
.LBB0_7:
	s_endpgm
	.section	.rodata,"a",@progbits
	.p2align	6, 0x0
	.amdhsa_kernel _ZL17mul_mat_vec_q_moeIL9ggml_type41ELi2EEvPKvS2_PKiPfj15HIP_vector_typeIjLj3EEjjjjjjjjj
		.amdhsa_group_segment_fixed_size 0
		.amdhsa_private_segment_fixed_size 0
		.amdhsa_kernarg_size 84
		.amdhsa_user_sgpr_count 2
		.amdhsa_user_sgpr_dispatch_ptr 0
		.amdhsa_user_sgpr_queue_ptr 0
		.amdhsa_user_sgpr_kernarg_segment_ptr 1
		.amdhsa_user_sgpr_dispatch_id 0
		.amdhsa_user_sgpr_private_segment_size 0
		.amdhsa_wavefront_size32 1
		.amdhsa_uses_dynamic_stack 0
		.amdhsa_enable_private_segment 0
		.amdhsa_system_sgpr_workgroup_id_x 1
		.amdhsa_system_sgpr_workgroup_id_y 1
		.amdhsa_system_sgpr_workgroup_id_z 0
		.amdhsa_system_sgpr_workgroup_info 0
		.amdhsa_system_vgpr_workitem_id 1
		.amdhsa_next_free_vgpr 87
		.amdhsa_next_free_sgpr 24
		.amdhsa_reserve_vcc 1
		.amdhsa_float_round_mode_32 0
		.amdhsa_float_round_mode_16_64 0
		.amdhsa_float_denorm_mode_32 3
		.amdhsa_float_denorm_mode_16_64 3
		.amdhsa_fp16_overflow 0
		.amdhsa_workgroup_processor_mode 1
		.amdhsa_memory_ordered 1
		.amdhsa_forward_progress 1
		.amdhsa_inst_pref_size 23
		.amdhsa_round_robin_scheduling 0
		.amdhsa_exception_fp_ieee_invalid_op 0
		.amdhsa_exception_fp_denorm_src 0
		.amdhsa_exception_fp_ieee_div_zero 0
		.amdhsa_exception_fp_ieee_overflow 0
		.amdhsa_exception_fp_ieee_underflow 0
		.amdhsa_exception_fp_ieee_inexact 0
		.amdhsa_exception_int_div_zero 0
	.end_amdhsa_kernel
	.section	.text._ZL17mul_mat_vec_q_moeIL9ggml_type41ELi2EEvPKvS2_PKiPfj15HIP_vector_typeIjLj3EEjjjjjjjjj,"axG",@progbits,_ZL17mul_mat_vec_q_moeIL9ggml_type41ELi2EEvPKvS2_PKiPfj15HIP_vector_typeIjLj3EEjjjjjjjjj,comdat
.Lfunc_end0:
	.size	_ZL17mul_mat_vec_q_moeIL9ggml_type41ELi2EEvPKvS2_PKiPfj15HIP_vector_typeIjLj3EEjjjjjjjjj, .Lfunc_end0-_ZL17mul_mat_vec_q_moeIL9ggml_type41ELi2EEvPKvS2_PKiPfj15HIP_vector_typeIjLj3EEjjjjjjjjj
                                        ; -- End function
	.set _ZL17mul_mat_vec_q_moeIL9ggml_type41ELi2EEvPKvS2_PKiPfj15HIP_vector_typeIjLj3EEjjjjjjjjj.num_vgpr, 87
	.set _ZL17mul_mat_vec_q_moeIL9ggml_type41ELi2EEvPKvS2_PKiPfj15HIP_vector_typeIjLj3EEjjjjjjjjj.num_agpr, 0
	.set _ZL17mul_mat_vec_q_moeIL9ggml_type41ELi2EEvPKvS2_PKiPfj15HIP_vector_typeIjLj3EEjjjjjjjjj.numbered_sgpr, 24
	.set _ZL17mul_mat_vec_q_moeIL9ggml_type41ELi2EEvPKvS2_PKiPfj15HIP_vector_typeIjLj3EEjjjjjjjjj.num_named_barrier, 0
	.set _ZL17mul_mat_vec_q_moeIL9ggml_type41ELi2EEvPKvS2_PKiPfj15HIP_vector_typeIjLj3EEjjjjjjjjj.private_seg_size, 0
	.set _ZL17mul_mat_vec_q_moeIL9ggml_type41ELi2EEvPKvS2_PKiPfj15HIP_vector_typeIjLj3EEjjjjjjjjj.uses_vcc, 1
	.set _ZL17mul_mat_vec_q_moeIL9ggml_type41ELi2EEvPKvS2_PKiPfj15HIP_vector_typeIjLj3EEjjjjjjjjj.uses_flat_scratch, 0
	.set _ZL17mul_mat_vec_q_moeIL9ggml_type41ELi2EEvPKvS2_PKiPfj15HIP_vector_typeIjLj3EEjjjjjjjjj.has_dyn_sized_stack, 0
	.set _ZL17mul_mat_vec_q_moeIL9ggml_type41ELi2EEvPKvS2_PKiPfj15HIP_vector_typeIjLj3EEjjjjjjjjj.has_recursion, 0
	.set _ZL17mul_mat_vec_q_moeIL9ggml_type41ELi2EEvPKvS2_PKiPfj15HIP_vector_typeIjLj3EEjjjjjjjjj.has_indirect_call, 0
	.section	.AMDGPU.csdata,"",@progbits
; Kernel info:
; codeLenInByte = 2924
; TotalNumSgprs: 26
; NumVgprs: 87
; ScratchSize: 0
; MemoryBound: 0
; FloatMode: 240
; IeeeMode: 1
; LDSByteSize: 0 bytes/workgroup (compile time only)
; SGPRBlocks: 0
; VGPRBlocks: 10
; NumSGPRsForWavesPerEU: 26
; NumVGPRsForWavesPerEU: 87
; Occupancy: 16
; WaveLimiterHint : 1
; COMPUTE_PGM_RSRC2:SCRATCH_EN: 0
; COMPUTE_PGM_RSRC2:USER_SGPR: 2
; COMPUTE_PGM_RSRC2:TRAP_HANDLER: 0
; COMPUTE_PGM_RSRC2:TGID_X_EN: 1
; COMPUTE_PGM_RSRC2:TGID_Y_EN: 1
; COMPUTE_PGM_RSRC2:TGID_Z_EN: 0
; COMPUTE_PGM_RSRC2:TIDIG_COMP_CNT: 1
	.section	.text._ZL13mul_mat_vec_qIL9ggml_type41ELi1ELb1ELb1EEvPKvS2_PKi31ggml_cuda_mm_fusion_args_devicePfj15HIP_vector_typeIjLj3EEjjjS8_jjjS8_jjjj,"axG",@progbits,_ZL13mul_mat_vec_qIL9ggml_type41ELi1ELb1ELb1EEvPKvS2_PKi31ggml_cuda_mm_fusion_args_devicePfj15HIP_vector_typeIjLj3EEjjjS8_jjjS8_jjjj,comdat
	.globl	_ZL13mul_mat_vec_qIL9ggml_type41ELi1ELb1ELb1EEvPKvS2_PKi31ggml_cuda_mm_fusion_args_devicePfj15HIP_vector_typeIjLj3EEjjjS8_jjjS8_jjjj ; -- Begin function _ZL13mul_mat_vec_qIL9ggml_type41ELi1ELb1ELb1EEvPKvS2_PKi31ggml_cuda_mm_fusion_args_devicePfj15HIP_vector_typeIjLj3EEjjjS8_jjjS8_jjjj
	.p2align	8
	.type	_ZL13mul_mat_vec_qIL9ggml_type41ELi1ELb1ELb1EEvPKvS2_PKi31ggml_cuda_mm_fusion_args_devicePfj15HIP_vector_typeIjLj3EEjjjS8_jjjS8_jjjj,@function
_ZL13mul_mat_vec_qIL9ggml_type41ELi1ELb1ELb1EEvPKvS2_PKi31ggml_cuda_mm_fusion_args_devicePfj15HIP_vector_typeIjLj3EEjjjS8_jjjS8_jjjj: ; @_ZL13mul_mat_vec_qIL9ggml_type41ELi1ELb1ELb1EEvPKvS2_PKi31ggml_cuda_mm_fusion_args_devicePfj15HIP_vector_typeIjLj3EEjjjS8_jjjS8_jjjj
; %bb.0:
	s_clause 0x3
	s_load_b256 s[8:15], s[0:1], 0x0
	s_load_b128 s[16:19], s[0:1], 0x20
	s_load_b128 s[20:23], s[0:1], 0x40
	;; [unrolled: 1-line block ×3, first 2 shown]
	s_and_b32 s27, ttmp7, 0xffff
	s_wait_kmcnt 0x0
	s_cmp_lg_u64 s[12:13], 0
	s_cselect_b32 s2, -1, 0
	s_cmp_eq_u64 s[12:13], 0
	s_cbranch_scc1 .LBB1_24
; %bb.1:
	s_lshl_b32 s3, s27, 2
	s_load_b32 s29, s[12:13], s3 offset:0x0
	s_clause 0x1
	s_load_b32 s30, s[0:1], 0x50
	s_load_b32 s28, s[0:1], 0x78
	s_cbranch_execnz .LBB1_3
.LBB1_2:
	s_load_b64 s[12:13], s[0:1], 0x5c
	s_wait_kmcnt 0x0
	s_mul_hi_u32 s3, s12, s27
	s_delay_alu instid0(SALU_CYCLE_1) | instskip(NEXT) | instid1(SALU_CYCLE_1)
	s_add_co_i32 s3, s27, s3
	s_lshr_b32 s29, s3, s13
.LBB1_3:
	s_and_not1_b32 vcc_lo, exec_lo, s2
	s_mov_b32 s3, s27
	s_mov_b32 s31, s27
	s_cbranch_vccnz .LBB1_5
; %bb.4:
	s_mul_hi_u32 s2, s21, s27
	s_wait_kmcnt 0x0
	s_mov_b32 s3, s29
	s_add_co_i32 s2, s27, s2
	s_delay_alu instid0(SALU_CYCLE_1) | instskip(NEXT) | instid1(SALU_CYCLE_1)
	s_lshr_b32 s2, s2, s22
	s_mul_i32 s2, s2, s23
	s_delay_alu instid0(SALU_CYCLE_1)
	s_sub_co_i32 s31, s27, s2
.LBB1_5:
	s_load_b96 s[24:26], s[0:1], 0x80
	v_bfe_u32 v13, v0, 10, 10
	v_dual_mov_b32 v11, 0 :: v_dual_and_b32 v10, 0x3ff, v0
	s_lshr_b32 s21, ttmp7, 16
	s_cmp_lg_u64 s[14:15], 0
	v_mov_b32_e32 v12, 0
	s_delay_alu instid0(VALU_DEP_2) | instskip(SKIP_3) | instid1(VALU_DEP_1)
	v_or_b32_e32 v0, v10, v13
	s_cselect_b32 s2, -1, 0
	s_mov_b32 s23, 0
	s_mul_i32 s12, s3, s6
	v_cmp_eq_u32_e32 vcc_lo, 0, v0
	s_and_b32 s13, s2, vcc_lo
	s_delay_alu instid0(SALU_CYCLE_1)
	s_and_saveexec_b32 s3, s13
	s_cbranch_execz .LBB1_7
; %bb.6:
	s_wait_kmcnt 0x0
	s_mul_i32 s22, s26, s21
	s_mov_b32 s13, s23
	s_lshl_b64 s[22:23], s[22:23], 2
	s_mov_b32 s34, ttmp9
	s_lshl_b64 s[36:37], s[12:13], 2
	s_add_nc_u64 s[14:15], s[14:15], s[22:23]
	s_ashr_i32 s35, ttmp9, 31
	v_lshlrev_b32_e32 v0, 2, v10
	s_add_nc_u64 s[14:15], s[14:15], s[36:37]
	s_lshl_b64 s[22:23], s[34:35], 2
	s_delay_alu instid0(SALU_CYCLE_1)
	s_add_nc_u64 s[14:15], s[14:15], s[22:23]
	global_load_b32 v12, v0, s[14:15]
.LBB1_7:
	s_or_b32 exec_lo, exec_lo, s3
	s_cmp_lg_u64 s[16:17], 0
	s_cselect_b32 s14, -1, 0
	s_cmp_lg_u64 s[18:19], 0
	s_cselect_b32 s3, -1, 0
	s_delay_alu instid0(SALU_CYCLE_1) | instskip(NEXT) | instid1(SALU_CYCLE_1)
	s_and_b32 s13, s3, s14
	s_and_b32 s13, s13, vcc_lo
	s_delay_alu instid0(SALU_CYCLE_1)
	s_and_saveexec_b32 s15, s13
	s_cbranch_execz .LBB1_9
; %bb.8:
	s_wait_kmcnt 0x0
	s_mul_i32 s34, s26, s21
	s_mov_b32 s35, 0
	s_mov_b32 s22, ttmp9
	s_lshl_b64 s[36:37], s[34:35], 2
	s_mov_b32 s13, s35
	s_add_nc_u64 s[18:19], s[18:19], s[36:37]
	s_lshl_b64 s[12:13], s[12:13], 2
	s_ashr_i32 s23, ttmp9, 31
	v_lshlrev_b32_e32 v0, 2, v10
	s_add_nc_u64 s[12:13], s[18:19], s[12:13]
	s_lshl_b64 s[18:19], s[22:23], 2
	s_delay_alu instid0(SALU_CYCLE_1)
	s_add_nc_u64 s[12:13], s[12:13], s[18:19]
	global_load_b32 v11, v0, s[12:13]
.LBB1_9:
	s_or_b32 exec_lo, exec_lo, s15
	v_lshl_add_u32 v0, v13, 5, v10
	v_dual_mov_b32 v16, 0 :: v_dual_mov_b32 v15, 0
	v_cndmask_b32_e64 v14, 0, 1, s14
	s_lshr_b32 s15, s20, 7
	s_delay_alu instid0(VALU_DEP_3) | instskip(SKIP_2) | instid1(VALU_DEP_1)
	v_lshrrev_b32_e32 v17, 2, v0
	s_mov_b32 s18, exec_lo
	s_wait_alu 0xfffe
	v_cmpx_gt_u32_e64 s15, v17
	s_cbranch_execz .LBB1_15
; %bb.10:
	v_lshrrev_b32_e32 v0, 2, v0
	s_mul_i32 s12, s31, s5
	s_mov_b32 s13, 0
	s_wait_kmcnt 0x0
	s_mul_i32 s5, s25, s21
	s_mul_u64 s[22:23], s[12:13], 36
	v_dual_mov_b32 v19, 0xff000000 :: v_dual_and_b32 v2, 3, v10
	v_mad_co_u64_u32 v[0:1], null, 0x90, v0, s[22:23]
	s_mul_i32 s30, s30, ttmp9
	v_dual_mov_b32 v16, 0 :: v_dual_mov_b32 v15, 0
	v_mov_b32_e32 v18, 0xff0000
	v_lshlrev_b32_e32 v20, 2, v2
	s_mul_i32 s4, s29, s4
	v_mad_co_u64_u32 v[0:1], null, s5, 36, v[0:1]
	s_mul_hi_u32 s5, s7, s21
	s_wait_alu 0xfffe
	s_add_co_i32 s5, s21, s5
	s_wait_alu 0xfffe
	s_lshr_b32 s5, s5, s28
	v_mad_co_u64_u32 v[0:1], null, v2, 36, v[0:1]
	s_wait_alu 0xfffe
	s_mul_i32 s5, s5, s24
	s_wait_alu 0xfffe
	s_add_co_i32 s5, s5, s30
	s_wait_alu 0xfffe
	s_add_co_i32 s5, s4, s5
	s_delay_alu instid0(VALU_DEP_1) | instskip(NEXT) | instid1(VALU_DEP_1)
	v_add_co_u32 v0, vcc_lo, s10, v0
	v_add_co_ci_u32_e64 v1, null, s11, v1, vcc_lo
	s_delay_alu instid0(VALU_DEP_2) | instskip(SKIP_1) | instid1(VALU_DEP_2)
	v_add_co_u32 v8, vcc_lo, v0, 32
	s_wait_alu 0xfffd
	v_add_co_ci_u32_e64 v9, null, 0, v1, vcc_lo
	s_branch .LBB1_12
.LBB1_11:                               ;   in Loop: Header=BB1_12 Depth=1
	s_wait_loadcnt 0x1
	v_and_b32_e32 v24, 1, v23
	v_and_b32_e32 v25, 4, v23
	;; [unrolled: 1-line block ×3, first 2 shown]
	v_lshlrev_b32_e32 v26, 8, v23
	v_and_b32_e32 v28, 8, v23
	v_cmp_eq_u32_e32 vcc_lo, 0, v24
	v_lshlrev_b32_e32 v29, 4, v23
	v_and_b32_e32 v30, 0x80, v23
	v_lshrrev_b32_e32 v31, 4, v23
	v_and_b32_e32 v32, 0x8000, v23
	s_wait_alu 0xfffd
	v_cndmask_b32_e64 v24, 1, 0xff, vcc_lo
	v_cmp_eq_u32_e32 vcc_lo, 0, v25
	v_and_b32_e32 v33, 0x40000, v23
	v_and_b32_e32 v35, 0x100000, v23
	v_lshrrev_b32_e32 v34, 8, v23
	v_and_or_b32 v24, 0x200, v26, v24
	s_wait_alu 0xfffd
	v_cndmask_b32_e32 v25, 0x10000, v18, vcc_lo
	v_cmp_eq_u32_e32 vcc_lo, 0, v27
	v_and_b32_e32 v27, 64, v23
	v_and_b32_e32 v36, 0x80000, v23
	v_add_nc_u32_e32 v24, 0xff00, v24
	v_and_b32_e32 v38, 0x800000, v23
	s_wait_alu 0xfffd
	v_cndmask_b32_e64 v26, 1, 0xff, vcc_lo
	v_cmp_eq_u32_e32 vcc_lo, 0, v28
	v_lshrrev_b32_e32 v37, 12, v23
	v_add_co_u32 v8, s4, 0x480, v8
	s_delay_alu instid0(VALU_DEP_4)
	v_and_or_b32 v26, 0x200, v29, v26
	s_wait_alu 0xfffd
	v_cndmask_b32_e32 v28, 0x1000000, v19, vcc_lo
	v_cmp_eq_u32_e32 vcc_lo, 0, v27
	s_wait_alu 0xf1ff
	v_add_co_ci_u32_e64 v9, null, 0, v9, s4
	v_add_nc_u32_e32 v26, 0xff00, v26
	v_or3_b32 v24, v28, v25, v24
	s_wait_alu 0xfffd
	v_cndmask_b32_e32 v27, 0x10000, v18, vcc_lo
	v_cmp_eq_u32_e32 vcc_lo, 0, v30
	v_and_b32_e32 v30, 0x100, v23
	v_and_b32_e32 v25, 0x400, v23
	;; [unrolled: 1-line block ×3, first 2 shown]
	v_dot4_i32_iu8 v5, v24, v5, 0 neg_lo:[1,1,0]
	s_wait_alu 0xfffd
	v_cndmask_b32_e32 v29, 0x1000000, v19, vcc_lo
	v_cmp_eq_u32_e32 vcc_lo, 0, v30
	v_and_b32_e32 v30, 0x4000, v23
	v_and_b32_e32 v24, 0x8000000, v23
	v_add_nc_u32_e32 v17, 8, v17
	v_or3_b32 v26, v29, v27, v26
	s_wait_alu 0xfffd
	v_cndmask_b32_e64 v27, 1, 0xff, vcc_lo
	v_cmp_eq_u32_e32 vcc_lo, 0, v25
	v_and_b32_e32 v29, 0x800, v23
	v_dot4_i32_iu8 v5, v26, v6, v5 neg_lo:[1,1,0]
	v_ashrrev_i32_e32 v26, 28, v23
	s_wait_alu 0xfffd
	v_cndmask_b32_e32 v25, 0x10000, v18, vcc_lo
	v_cmp_eq_u32_e32 vcc_lo, 0, v28
	v_and_or_b32 v27, 0x200, v23, v27
	v_and_b32_e32 v6, 0x10000000, v23
	s_wait_alu 0xfffd
	v_cndmask_b32_e64 v28, 1, 0xff, vcc_lo
	v_cmp_eq_u32_e32 vcc_lo, 0, v29
	v_add_nc_u32_e32 v27, 0xff00, v27
	s_delay_alu instid0(VALU_DEP_3)
	v_and_or_b32 v28, 0x200, v31, v28
	s_wait_alu 0xfffd
	v_cndmask_b32_e32 v29, 0x1000000, v19, vcc_lo
	v_cmp_eq_u32_e32 vcc_lo, 0, v30
	v_and_b32_e32 v31, 0x10000, v23
	v_add_nc_u32_e32 v28, 0xff00, v28
	s_delay_alu instid0(VALU_DEP_4)
	v_or3_b32 v25, v29, v25, v27
	s_wait_alu 0xfffd
	v_cndmask_b32_e32 v30, 0x10000, v18, vcc_lo
	v_cmp_eq_u32_e32 vcc_lo, 0, v32
	v_and_b32_e32 v27, 0x1000000, v23
	v_dot4_i32_iu8 v5, v25, v7, v5 neg_lo:[1,1,0]
	s_wait_alu 0xfffd
	v_dual_cndmask_b32 v32, 0x1000000, v19 :: v_dual_lshlrev_b32 v25, 8, v26
	v_cmp_eq_u32_e32 vcc_lo, 0, v31
	s_delay_alu instid0(VALU_DEP_2)
	v_or3_b32 v28, v32, v30, v28
	s_wait_alu 0xfffd
	v_cndmask_b32_e64 v31, 1, 0xff, vcc_lo
	v_cmp_eq_u32_e32 vcc_lo, 0, v33
	v_lshrrev_b32_e32 v32, 16, v23
	v_dot4_i32_iu8 v0, v28, v0, v5 neg_lo:[1,1,0]
	s_delay_alu instid0(VALU_DEP_4)
	v_and_or_b32 v31, 0x200, v34, v31
	s_wait_alu 0xfffd
	v_cndmask_b32_e32 v33, 0x10000, v18, vcc_lo
	v_cmp_eq_u32_e32 vcc_lo, 0, v35
	v_and_b32_e32 v35, 0x400000, v23
	v_and_b32_e32 v5, 2.0, v23
	v_add_nc_u32_e32 v31, 0xff00, v31
	s_wait_alu 0xfffd
	v_cndmask_b32_e64 v34, 1, 0xff, vcc_lo
	v_cmp_eq_u32_e32 vcc_lo, 0, v36
	s_delay_alu instid0(VALU_DEP_2) | instskip(SKIP_3) | instid1(VALU_DEP_3)
	v_and_or_b32 v34, 0x200, v37, v34
	s_wait_alu 0xfffd
	v_cndmask_b32_e32 v36, 0x1000000, v19, vcc_lo
	v_cmp_eq_u32_e32 vcc_lo, 0, v35
	v_add_nc_u32_e32 v34, 0xff00, v34
	s_delay_alu instid0(VALU_DEP_3)
	v_or3_b32 v29, v36, v33, v31
	s_wait_alu 0xfffd
	v_cndmask_b32_e32 v35, 0x10000, v18, vcc_lo
	v_cmp_eq_u32_e32 vcc_lo, 0, v38
	v_and_b32_e32 v31, 0x4000000, v23
	v_and_b32_e32 v23, 8, v26
	v_dot4_i32_iu8 v0, v29, v1, v0 neg_lo:[1,1,0]
	s_wait_alu 0xfffd
	v_cndmask_b32_e32 v37, 0x1000000, v19, vcc_lo
	v_cmp_eq_u32_e32 vcc_lo, 0, v27
	s_delay_alu instid0(VALU_DEP_2) | instskip(SKIP_3) | instid1(VALU_DEP_3)
	v_or3_b32 v30, v37, v35, v34
	s_wait_alu 0xfffd
	v_cndmask_b32_e64 v27, 1, 0xff, vcc_lo
	v_cmp_eq_u32_e32 vcc_lo, 0, v31
	v_dot4_i32_iu8 v0, v30, v2, v0 neg_lo:[1,1,0]
	s_delay_alu instid0(VALU_DEP_3)
	v_and_or_b32 v27, 0x200, v32, v27
	s_wait_alu 0xfffd
	v_cndmask_b32_e32 v31, 0x10000, v18, vcc_lo
	v_cmp_eq_u32_e32 vcc_lo, 0, v24
	v_cvt_f32_f16_e32 v2, v21
	v_add_nc_u32_e32 v7, 0xff00, v27
	s_wait_alu 0xfffd
	v_cndmask_b32_e32 v24, 0x1000000, v19, vcc_lo
	v_cmp_eq_u32_e32 vcc_lo, 0, v6
	s_delay_alu instid0(VALU_DEP_2) | instskip(SKIP_3) | instid1(VALU_DEP_3)
	v_or3_b32 v7, v24, v31, v7
	s_wait_alu 0xfffd
	v_cndmask_b32_e64 v6, 1, 0xff, vcc_lo
	v_cmp_eq_u32_e32 vcc_lo, 0, v5
	v_dot4_i32_iu8 v0, v7, v3, v0 neg_lo:[1,1,0]
	s_delay_alu instid0(VALU_DEP_3) | instskip(SKIP_3) | instid1(VALU_DEP_3)
	v_and_or_b32 v6, 0x200, v25, v6
	s_wait_alu 0xfffd
	v_cndmask_b32_e32 v1, 0x10000, v18, vcc_lo
	v_cmp_eq_u32_e32 vcc_lo, 0, v23
	v_add_nc_u32_e32 v6, 0xff00, v6
	s_wait_alu 0xfffd
	v_cndmask_b32_e32 v5, 0x1000000, v19, vcc_lo
	v_cmp_le_u32_e32 vcc_lo, s15, v17
	s_delay_alu instid0(VALU_DEP_2) | instskip(SKIP_2) | instid1(VALU_DEP_1)
	v_or3_b32 v1, v5, v1, v6
	s_or_b32 s13, vcc_lo, s13
	s_wait_loadcnt 0x0
	v_dot4_i32_iu8 v0, v1, v22, v0 neg_lo:[1,1,0]
	v_mul_f32_e32 v1, v2, v4
	s_delay_alu instid0(VALU_DEP_2) | instskip(NEXT) | instid1(VALU_DEP_1)
	v_cvt_f32_i32_e32 v0, v0
	v_fmac_f32_e32 v16, v1, v0
	s_and_not1_b32 exec_lo, exec_lo, s13
	s_cbranch_execz .LBB1_14
.LBB1_12:                               ; =>This Inner Loop Header: Depth=1
	s_wait_alu 0xfffe
	v_add_nc_u32_e32 v24, s5, v17
	s_delay_alu instid0(VALU_DEP_1) | instskip(NEXT) | instid1(VALU_DEP_1)
	v_mad_co_i64_i32 v[21:22], null, v24, 18, s[8:9]
	v_add_co_u32 v25, vcc_lo, v21, v20
	s_wait_alu 0xfffd
	s_delay_alu instid0(VALU_DEP_2)
	v_add_co_ci_u32_e64 v26, null, 0, v22, vcc_lo
	s_clause 0x1
	global_load_b128 v[4:7], v[8:9], off offset:-32
	global_load_b128 v[0:3], v[8:9], off offset:-16
	s_clause 0x1
	global_load_u16 v21, v[21:22], off
	global_load_b32 v23, v[25:26], off offset:2
	global_load_b32 v22, v[8:9], off
	s_and_not1_b32 vcc_lo, exec_lo, s14
	s_wait_loadcnt 0x4
	v_cvt_f32_f16_e32 v4, v4
	s_wait_alu 0xfffe
	s_cbranch_vccnz .LBB1_11
; %bb.13:                               ;   in Loop: Header=BB1_12 Depth=1
	v_mad_co_i64_i32 v[24:25], null, v24, 18, s[16:17]
	s_delay_alu instid0(VALU_DEP_1) | instskip(SKIP_1) | instid1(VALU_DEP_2)
	v_add_co_u32 v26, vcc_lo, v24, v20
	s_wait_alu 0xfffd
	v_add_co_ci_u32_e64 v27, null, 0, v25, vcc_lo
	s_clause 0x1
	global_load_b32 v26, v[26:27], off offset:2
	global_load_u16 v24, v[24:25], off
	s_wait_loadcnt 0x1
	v_and_b32_e32 v25, 1, v26
	v_and_b32_e32 v27, 4, v26
	;; [unrolled: 1-line block ×4, first 2 shown]
	v_ashrrev_i32_e32 v53, 28, v26
	v_cmp_eq_u32_e32 vcc_lo, 0, v25
	v_and_b32_e32 v31, 64, v26
	s_wait_loadcnt 0x0
	v_cvt_f32_f16_e32 v24, v24
	v_lshlrev_b32_e32 v33, 4, v26
	v_and_b32_e32 v34, 0x100, v26
	s_wait_alu 0xfffd
	v_cndmask_b32_e64 v25, 1, 0xff, vcc_lo
	v_cmp_eq_u32_e32 vcc_lo, 0, v27
	v_mul_f32_e32 v24, v4, v24
	v_and_b32_e32 v32, 0x80, v26
	v_and_b32_e32 v35, 0x400, v26
	;; [unrolled: 1-line block ×3, first 2 shown]
	s_wait_alu 0xfffd
	v_cndmask_b32_e32 v27, 0x10000, v18, vcc_lo
	v_cmp_eq_u32_e32 vcc_lo, 0, v28
	v_and_b32_e32 v37, 0x1000, v26
	v_and_b32_e32 v38, 0x4000, v26
	v_and_b32_e32 v39, 0x8000, v26
	v_and_b32_e32 v41, 0x10000, v26
	s_wait_alu 0xfffd
	v_cndmask_b32_e32 v28, 0x1000000, v19, vcc_lo
	v_cmp_eq_u32_e32 vcc_lo, 0, v30
	v_and_b32_e32 v42, 0x40000, v26
	v_and_b32_e32 v43, 0x80000, v26
	;; [unrolled: 1-line block ×4, first 2 shown]
	s_wait_alu 0xfffd
	v_cndmask_b32_e64 v30, 1, 0xff, vcc_lo
	v_cmp_eq_u32_e32 vcc_lo, 0, v31
	v_and_b32_e32 v47, 0x800000, v26
	v_and_b32_e32 v49, 0x1000000, v26
	v_lshrrev_b32_e32 v40, 4, v26
	v_and_or_b32 v30, 0x200, v33, v30
	s_wait_alu 0xfffd
	v_cndmask_b32_e32 v31, 0x10000, v18, vcc_lo
	v_cmp_eq_u32_e32 vcc_lo, 0, v32
	v_lshrrev_b32_e32 v44, 8, v26
	v_lshrrev_b32_e32 v48, 12, v26
	v_and_b32_e32 v50, 0x4000000, v26
	v_and_b32_e32 v51, 0x8000000, v26
	s_wait_alu 0xfffd
	v_cndmask_b32_e32 v32, 0x1000000, v19, vcc_lo
	v_cmp_eq_u32_e32 vcc_lo, 0, v34
	v_lshrrev_b32_e32 v52, 16, v26
	v_and_b32_e32 v54, 0x10000000, v26
	v_and_b32_e32 v55, 2.0, v26
	v_add_nc_u32_e32 v30, 0xff00, v30
	s_wait_alu 0xfffd
	v_cndmask_b32_e64 v34, 1, 0xff, vcc_lo
	v_cmp_eq_u32_e32 vcc_lo, 0, v35
	s_delay_alu instid0(VALU_DEP_3)
	v_or3_b32 v30, v32, v31, v30
	s_wait_alu 0xfffd
	v_cndmask_b32_e32 v35, 0x10000, v18, vcc_lo
	v_cmp_eq_u32_e32 vcc_lo, 0, v36
	v_lshlrev_b32_e32 v29, 8, v26
	v_and_or_b32 v26, 0x200, v26, v34
	s_wait_alu 0xfffd
	v_cndmask_b32_e32 v36, 0x1000000, v19, vcc_lo
	v_cmp_eq_u32_e32 vcc_lo, 0, v37
	v_and_or_b32 v25, 0x200, v29, v25
	v_add_nc_u32_e32 v26, 0xff00, v26
	s_wait_alu 0xfffd
	v_cndmask_b32_e64 v37, 1, 0xff, vcc_lo
	v_cmp_eq_u32_e32 vcc_lo, 0, v38
	v_add_nc_u32_e32 v25, 0xff00, v25
	v_or3_b32 v26, v36, v35, v26
	s_wait_alu 0xfffd
	v_cndmask_b32_e32 v38, 0x10000, v18, vcc_lo
	v_cmp_eq_u32_e32 vcc_lo, 0, v39
	v_or3_b32 v25, v28, v27, v25
	v_and_or_b32 v28, 0x200, v40, v37
	s_wait_alu 0xfffd
	v_cndmask_b32_e32 v39, 0x1000000, v19, vcc_lo
	v_cmp_eq_u32_e32 vcc_lo, 0, v41
	v_dot4_i32_iu8 v25, v25, v5, 0 neg_lo:[1,1,0]
	v_add_nc_u32_e32 v28, 0xff00, v28
	s_wait_alu 0xfffd
	v_cndmask_b32_e64 v41, 1, 0xff, vcc_lo
	v_cmp_eq_u32_e32 vcc_lo, 0, v42
	v_dot4_i32_iu8 v25, v30, v6, v25 neg_lo:[1,1,0]
	v_or3_b32 v28, v39, v38, v28
	s_delay_alu instid0(VALU_DEP_4)
	v_and_or_b32 v32, 0x200, v44, v41
	s_wait_alu 0xfffd
	v_cndmask_b32_e32 v42, 0x10000, v18, vcc_lo
	v_cmp_eq_u32_e32 vcc_lo, 0, v43
	v_dot4_i32_iu8 v25, v26, v7, v25 neg_lo:[1,1,0]
	v_lshlrev_b32_e32 v26, 8, v53
	v_add_nc_u32_e32 v32, 0xff00, v32
	s_wait_alu 0xfffd
	v_cndmask_b32_e32 v43, 0x1000000, v19, vcc_lo
	v_cmp_eq_u32_e32 vcc_lo, 0, v45
	v_dot4_i32_iu8 v25, v28, v0, v25 neg_lo:[1,1,0]
	v_and_b32_e32 v28, 8, v53
	s_delay_alu instid0(VALU_DEP_4) | instskip(SKIP_3) | instid1(VALU_DEP_3)
	v_or3_b32 v32, v43, v42, v32
	s_wait_alu 0xfffd
	v_cndmask_b32_e64 v45, 1, 0xff, vcc_lo
	v_cmp_eq_u32_e32 vcc_lo, 0, v46
	v_dot4_i32_iu8 v25, v32, v1, v25 neg_lo:[1,1,0]
	s_delay_alu instid0(VALU_DEP_3) | instskip(SKIP_3) | instid1(VALU_DEP_3)
	v_and_or_b32 v30, 0x200, v48, v45
	s_wait_alu 0xfffd
	v_cndmask_b32_e32 v46, 0x10000, v18, vcc_lo
	v_cmp_eq_u32_e32 vcc_lo, 0, v47
	v_add_nc_u32_e32 v30, 0xff00, v30
	s_wait_alu 0xfffd
	v_cndmask_b32_e32 v29, 0x1000000, v19, vcc_lo
	v_cmp_eq_u32_e32 vcc_lo, 0, v49
	s_delay_alu instid0(VALU_DEP_2) | instskip(SKIP_3) | instid1(VALU_DEP_3)
	v_or3_b32 v29, v29, v46, v30
	s_wait_alu 0xfffd
	v_cndmask_b32_e64 v47, 1, 0xff, vcc_lo
	v_cmp_eq_u32_e32 vcc_lo, 0, v50
	v_dot4_i32_iu8 v25, v29, v2, v25 neg_lo:[1,1,0]
	s_delay_alu instid0(VALU_DEP_3) | instskip(SKIP_3) | instid1(VALU_DEP_3)
	v_and_or_b32 v34, 0x200, v52, v47
	s_wait_alu 0xfffd
	v_cndmask_b32_e32 v33, 0x10000, v18, vcc_lo
	v_cmp_eq_u32_e32 vcc_lo, 0, v51
	v_add_nc_u32_e32 v34, 0xff00, v34
	s_wait_alu 0xfffd
	v_cndmask_b32_e32 v27, 0x1000000, v19, vcc_lo
	v_cmp_eq_u32_e32 vcc_lo, 0, v54
	s_delay_alu instid0(VALU_DEP_2) | instskip(SKIP_3) | instid1(VALU_DEP_3)
	v_or3_b32 v27, v27, v33, v34
	s_wait_alu 0xfffd
	v_cndmask_b32_e64 v31, 1, 0xff, vcc_lo
	v_cmp_eq_u32_e32 vcc_lo, 0, v55
	v_dot4_i32_iu8 v25, v27, v3, v25 neg_lo:[1,1,0]
	s_delay_alu instid0(VALU_DEP_3) | instskip(SKIP_3) | instid1(VALU_DEP_3)
	v_and_or_b32 v26, 0x200, v26, v31
	s_wait_alu 0xfffd
	v_cndmask_b32_e32 v30, 0x10000, v18, vcc_lo
	v_cmp_eq_u32_e32 vcc_lo, 0, v28
	v_add_nc_u32_e32 v26, 0xff00, v26
	s_wait_alu 0xfffd
	v_cndmask_b32_e32 v28, 0x1000000, v19, vcc_lo
	s_delay_alu instid0(VALU_DEP_1) | instskip(NEXT) | instid1(VALU_DEP_1)
	v_or3_b32 v26, v28, v30, v26
	v_dot4_i32_iu8 v25, v26, v22, v25 neg_lo:[1,1,0]
	s_delay_alu instid0(VALU_DEP_1) | instskip(NEXT) | instid1(VALU_DEP_1)
	v_cvt_f32_i32_e32 v25, v25
	v_fmac_f32_e32 v15, v24, v25
	s_branch .LBB1_11
.LBB1_14:
	s_or_b32 exec_lo, exec_lo, s13
.LBB1_15:
	s_delay_alu instid0(SALU_CYCLE_1)
	s_or_b32 exec_lo, exec_lo, s18
	s_load_b32 s4, s[0:1], 0x30
	s_wait_loadcnt 0x0
	; wave barrier
	global_inv scope:SCOPE_SE
	s_mov_b32 s5, exec_lo
	v_cmpx_eq_u32_e32 0, v13
	s_cbranch_execz .LBB1_43
; %bb.16:
	v_mbcnt_lo_u32_b32 v1, -1, 0
	s_delay_alu instid0(VALU_DEP_1) | instskip(SKIP_2) | instid1(VALU_DEP_3)
	v_xor_b32_e32 v0, 16, v1
	v_xor_b32_e32 v3, 8, v1
	;; [unrolled: 1-line block ×3, first 2 shown]
	v_cmp_gt_i32_e32 vcc_lo, 32, v0
	s_wait_alu 0xfffd
	v_cndmask_b32_e32 v0, v1, v0, vcc_lo
	v_cmp_gt_i32_e32 vcc_lo, 32, v3
	s_wait_alu 0xfffd
	v_cndmask_b32_e32 v3, v1, v3, vcc_lo
	v_cmp_gt_i32_e32 vcc_lo, 32, v4
	s_delay_alu instid0(VALU_DEP_2)
	v_lshlrev_b32_e32 v3, 2, v3
	v_lshlrev_b32_e32 v0, 2, v0
	s_wait_alu 0xfffd
	v_cndmask_b32_e32 v4, v1, v4, vcc_lo
	ds_bpermute_b32 v2, v0, v16
	s_wait_dscnt 0x0
	v_add_f32_e32 v2, v16, v2
	ds_bpermute_b32 v5, v3, v2
	s_wait_dscnt 0x0
	v_add_f32_e32 v2, v2, v5
	v_xor_b32_e32 v5, 2, v1
	s_delay_alu instid0(VALU_DEP_1) | instskip(SKIP_2) | instid1(VALU_DEP_1)
	v_cmp_gt_i32_e32 vcc_lo, 32, v5
	s_wait_alu 0xfffd
	v_cndmask_b32_e32 v5, v1, v5, vcc_lo
	v_lshlrev_b32_e32 v5, 2, v5
	v_lshlrev_b32_e32 v4, 2, v4
	ds_bpermute_b32 v6, v4, v2
	s_wait_dscnt 0x0
	v_add_f32_e32 v2, v2, v6
	v_xor_b32_e32 v6, 1, v1
	ds_bpermute_b32 v7, v5, v2
	v_cmp_gt_i32_e32 vcc_lo, 32, v6
	s_wait_alu 0xfffd
	v_cndmask_b32_e32 v1, v1, v6, vcc_lo
	v_cmp_ne_u32_e32 vcc_lo, 1, v14
	s_delay_alu instid0(VALU_DEP_2)
	v_lshlrev_b32_e32 v6, 2, v1
	s_wait_dscnt 0x0
	v_add_f32_e32 v1, v2, v7
	ds_bpermute_b32 v2, v6, v1
	s_cbranch_vccnz .LBB1_18
; %bb.17:
	ds_bpermute_b32 v0, v0, v15
	s_wait_dscnt 0x0
	v_add_f32_e32 v0, v15, v0
	ds_bpermute_b32 v3, v3, v0
	s_wait_dscnt 0x0
	v_add_f32_e32 v0, v0, v3
	;; [unrolled: 3-line block ×5, first 2 shown]
.LBB1_18:
	v_cmp_eq_u32_e32 vcc_lo, 0, v10
	s_and_b32 exec_lo, exec_lo, vcc_lo
	s_cbranch_execz .LBB1_43
; %bb.19:
	s_wait_dscnt 0x0
	v_add_f32_e32 v0, v1, v2
	v_cmp_ne_u32_e32 vcc_lo, 1, v14
	s_delay_alu instid0(VALU_DEP_2) | instskip(NEXT) | instid1(VALU_DEP_1)
	v_add_f32_e32 v1, v12, v0
	v_cndmask_b32_e64 v0, v0, v1, s2
	s_cbranch_vccnz .LBB1_42
; %bb.20:
	v_add_f32_e32 v1, v11, v15
	s_wait_kmcnt 0x0
	s_cmp_lt_i32 s4, 2
	s_mov_b32 s2, 0
	s_delay_alu instid0(VALU_DEP_1)
	v_cndmask_b32_e64 v1, v15, v1, s3
	s_cbranch_scc1 .LBB1_25
; %bb.21:
	s_cmp_gt_i32 s4, 2
	s_cbranch_scc0 .LBB1_26
; %bb.22:
	s_cmp_eq_u32 s4, 3
	s_cbranch_scc0 .LBB1_27
; %bb.23:
	v_max_num_f32_e32 v2, v1, v1
	s_mov_b32 s3, 0xc0e00000
	s_delay_alu instid0(VALU_DEP_1) | instskip(NEXT) | instid1(VALU_DEP_1)
	v_min_num_f32_e32 v2, 0x40e00000, v2
	v_mul_f32_e32 v3, 0xbfd9db23, v2
	s_delay_alu instid0(VALU_DEP_1) | instskip(NEXT) | instid1(VALU_DEP_1)
	v_mul_f32_e32 v4, 0x3fb8aa3b, v3
	v_fma_f32 v5, 0x3fb8aa3b, v3, -v4
	v_rndne_f32_e32 v6, v4
	s_delay_alu instid0(VALU_DEP_1) | instskip(NEXT) | instid1(VALU_DEP_1)
	v_dual_fmamk_f32 v5, v3, 0x32a5705f, v5 :: v_dual_sub_f32 v4, v4, v6
	v_add_f32_e32 v4, v4, v5
	v_cvt_i32_f32_e32 v5, v6
	v_cmp_ngt_f32_e32 vcc_lo, 0xc2ce8ed0, v3
	s_delay_alu instid0(VALU_DEP_3) | instskip(NEXT) | instid1(TRANS32_DEP_1)
	v_exp_f32_e32 v4, v4
	v_ldexp_f32 v4, v4, v5
	s_wait_alu 0xfffd
	s_delay_alu instid0(VALU_DEP_1) | instskip(SKIP_2) | instid1(VALU_DEP_2)
	v_cndmask_b32_e32 v4, 0, v4, vcc_lo
	v_cmp_nlt_f32_e32 vcc_lo, 0x42b17218, v3
	s_wait_alu 0xfffd
	v_cndmask_b32_e32 v3, 0x7f800000, v4, vcc_lo
	s_delay_alu instid0(VALU_DEP_1) | instskip(NEXT) | instid1(VALU_DEP_1)
	v_add_f32_e32 v3, 1.0, v3
	v_div_scale_f32 v4, null, v3, v3, v2
	v_div_scale_f32 v7, vcc_lo, v2, v3, v2
	s_delay_alu instid0(VALU_DEP_2) | instskip(NEXT) | instid1(TRANS32_DEP_1)
	v_rcp_f32_e32 v5, v4
	v_fma_f32 v6, -v4, v5, 1.0
	s_delay_alu instid0(VALU_DEP_1) | instskip(NEXT) | instid1(VALU_DEP_1)
	v_fmac_f32_e32 v5, v6, v5
	v_mul_f32_e32 v6, v7, v5
	s_delay_alu instid0(VALU_DEP_1) | instskip(NEXT) | instid1(VALU_DEP_1)
	v_fma_f32 v8, -v4, v6, v7
	v_fmac_f32_e32 v6, v8, v5
	s_delay_alu instid0(VALU_DEP_1) | instskip(SKIP_1) | instid1(VALU_DEP_1)
	v_fma_f32 v4, -v4, v6, v7
	s_wait_alu 0xfffd
	v_div_fmas_f32 v4, v4, v5, v6
	s_delay_alu instid0(VALU_DEP_1) | instskip(SKIP_2) | instid1(VALU_DEP_1)
	v_div_fixup_f32 v2, v4, v3, v2
	v_max_num_f32_e32 v7, v0, v0
	s_wait_alu 0xfffe
	v_minmax_num_f32 v5, v7, 0x40e00000, s3
	s_mov_b32 s3, 0
	s_delay_alu instid0(VALU_DEP_1) | instskip(NEXT) | instid1(VALU_DEP_1)
	v_add_f32_e32 v3, 1.0, v5
	v_mul_f32_e32 v2, v3, v2
	s_branch .LBB1_28
.LBB1_24:
                                        ; implicit-def: $sgpr29
	s_clause 0x1
	s_load_b32 s30, s[0:1], 0x50
	s_load_b32 s28, s[0:1], 0x78
	s_branch .LBB1_2
.LBB1_25:
	s_mov_b32 s3, 0
                                        ; implicit-def: $vgpr2
	s_cbranch_execnz .LBB1_32
	s_branch .LBB1_33
.LBB1_26:
	s_mov_b32 s5, -1
	s_mov_b32 s3, 0
                                        ; implicit-def: $vgpr2
	s_branch .LBB1_29
.LBB1_27:
	s_mov_b32 s3, -1
                                        ; implicit-def: $vgpr2
.LBB1_28:
	s_mov_b32 s5, 0
.LBB1_29:
	s_wait_alu 0xfffe
	s_and_b32 vcc_lo, exec_lo, s5
	s_wait_alu 0xfffe
	s_cbranch_vccz .LBB1_31
; %bb.30:
	v_mul_f32_e32 v2, 0xbfb8aa3b, v1
	v_cmp_nlt_f32_e32 vcc_lo, 0x42ce8ed0, v1
	s_delay_alu instid0(VALU_DEP_2) | instskip(SKIP_1) | instid1(VALU_DEP_2)
	v_rndne_f32_e32 v3, v2
	v_fma_f32 v4, 0xbfb8aa3b, v1, -v2
	v_sub_f32_e32 v2, v2, v3
	s_delay_alu instid0(VALU_DEP_2) | instskip(SKIP_1) | instid1(VALU_DEP_2)
	v_fmamk_f32 v4, v1, 0xb2a5705f, v4
	v_cvt_i32_f32_e32 v3, v3
	v_add_f32_e32 v2, v2, v4
	s_delay_alu instid0(VALU_DEP_1) | instskip(NEXT) | instid1(TRANS32_DEP_1)
	v_exp_f32_e32 v2, v2
	v_ldexp_f32 v2, v2, v3
	s_wait_alu 0xfffd
	s_delay_alu instid0(VALU_DEP_1) | instskip(SKIP_2) | instid1(VALU_DEP_2)
	v_cndmask_b32_e32 v2, 0, v2, vcc_lo
	v_cmp_ngt_f32_e32 vcc_lo, 0xc2b17218, v1
	s_wait_alu 0xfffd
	v_cndmask_b32_e32 v2, 0x7f800000, v2, vcc_lo
	s_delay_alu instid0(VALU_DEP_1) | instskip(NEXT) | instid1(VALU_DEP_1)
	v_add_f32_e32 v2, 1.0, v2
	v_div_scale_f32 v3, null, v2, v2, v1
	s_delay_alu instid0(VALU_DEP_1) | instskip(NEXT) | instid1(TRANS32_DEP_1)
	v_rcp_f32_e32 v4, v3
	v_fma_f32 v5, -v3, v4, 1.0
	s_delay_alu instid0(VALU_DEP_1) | instskip(SKIP_1) | instid1(VALU_DEP_1)
	v_fmac_f32_e32 v4, v5, v4
	v_div_scale_f32 v5, vcc_lo, v1, v2, v1
	v_mul_f32_e32 v6, v5, v4
	s_delay_alu instid0(VALU_DEP_1) | instskip(NEXT) | instid1(VALU_DEP_1)
	v_fma_f32 v7, -v3, v6, v5
	v_fmac_f32_e32 v6, v7, v4
	s_delay_alu instid0(VALU_DEP_1) | instskip(SKIP_1) | instid1(VALU_DEP_1)
	v_fma_f32 v3, -v3, v6, v5
	s_wait_alu 0xfffd
	v_div_fmas_f32 v3, v3, v4, v6
	s_delay_alu instid0(VALU_DEP_1) | instskip(NEXT) | instid1(VALU_DEP_1)
	v_div_fixup_f32 v2, v3, v2, v1
	v_mul_f32_e32 v2, v0, v2
.LBB1_31:
	s_branch .LBB1_33
.LBB1_32:
	s_cmp_lg_u32 s4, 1
	s_mov_b32 s2, -1
	s_cselect_b32 s3, -1, 0
.LBB1_33:
	s_wait_alu 0xfffe
	s_and_not1_b32 vcc_lo, exec_lo, s3
	s_wait_alu 0xfffe
	s_cbranch_vccz .LBB1_35
; %bb.34:
	s_and_not1_b32 vcc_lo, exec_lo, s2
	s_wait_alu 0xfffe
	s_cbranch_vccz .LBB1_36
	s_branch .LBB1_41
.LBB1_35:
	v_mul_f32_e32 v2, v1, v0
	s_cbranch_execnz .LBB1_41
.LBB1_36:
	v_mul_f32_e32 v2, 0x3d372713, v1
	v_mul_f32_e32 v3, 0x3f4c422a, v1
	s_delay_alu instid0(VALU_DEP_2) | instskip(NEXT) | instid1(VALU_DEP_1)
	v_fma_f32 v2, v1, v2, 1.0
	v_mul_f32_e32 v2, v3, v2
                                        ; implicit-def: $vgpr3
	s_delay_alu instid0(VALU_DEP_1)
	v_cmp_ngt_f32_e64 s2, 0x3f200000, |v2|
	s_and_saveexec_b32 s3, s2
	s_wait_alu 0xfffe
	s_xor_b32 s2, exec_lo, s3
	s_cbranch_execz .LBB1_38
; %bb.37:
	v_add_f32_e64 v3, |v2|, |v2|
	s_delay_alu instid0(VALU_DEP_1) | instskip(SKIP_1) | instid1(VALU_DEP_2)
	v_mul_f32_e32 v4, 0x3fb8aa3b, v3
	v_cmp_ngt_f32_e32 vcc_lo, 0xc2ce8ed0, v3
	v_rndne_f32_e32 v5, v4
	v_fma_f32 v6, 0x3fb8aa3b, v3, -v4
	s_delay_alu instid0(VALU_DEP_2) | instskip(NEXT) | instid1(VALU_DEP_2)
	v_sub_f32_e32 v4, v4, v5
	v_fmamk_f32 v6, v3, 0x32a5705f, v6
	v_cvt_i32_f32_e32 v5, v5
	s_delay_alu instid0(VALU_DEP_2) | instskip(NEXT) | instid1(VALU_DEP_1)
	v_add_f32_e32 v4, v4, v6
	v_exp_f32_e32 v4, v4
	s_delay_alu instid0(TRANS32_DEP_1) | instskip(SKIP_1) | instid1(VALU_DEP_1)
	v_ldexp_f32 v4, v4, v5
	s_wait_alu 0xfffd
	v_cndmask_b32_e32 v4, 0, v4, vcc_lo
	v_cmp_nlt_f32_e32 vcc_lo, 0x42b17218, v3
	s_wait_alu 0xfffd
	s_delay_alu instid0(VALU_DEP_2) | instskip(NEXT) | instid1(VALU_DEP_1)
	v_cndmask_b32_e32 v3, 0x7f800000, v4, vcc_lo
	v_add_f32_e32 v3, 1.0, v3
	s_delay_alu instid0(VALU_DEP_1) | instskip(NEXT) | instid1(TRANS32_DEP_1)
	v_rcp_f32_e32 v3, v3
	v_fma_f32 v3, v3, -2.0, 1.0
.LBB1_38:
	s_wait_alu 0xfffe
	s_and_not1_saveexec_b32 s2, s2
	s_cbranch_execz .LBB1_40
; %bb.39:
	v_mul_f32_e32 v3, v2, v2
	s_mov_b32 s3, 0xbbbac73d
	s_wait_alu 0xfffe
	s_delay_alu instid0(VALU_DEP_1) | instskip(NEXT) | instid1(VALU_DEP_1)
	v_fmaak_f32 v4, s3, v3, 0x3ca908c9
	v_fmaak_f32 v4, v3, v4, 0xbd5c1c4e
	s_delay_alu instid0(VALU_DEP_1) | instskip(NEXT) | instid1(VALU_DEP_1)
	v_fmaak_f32 v4, v3, v4, 0x3e088382
	v_fmaak_f32 v4, v3, v4, 0xbeaaaa99
	s_delay_alu instid0(VALU_DEP_1) | instskip(NEXT) | instid1(VALU_DEP_1)
	v_mul_f32_e64 v4, |v2|, v4
	v_fma_f32 v3, v3, v4, |v2|
.LBB1_40:
	s_wait_alu 0xfffe
	s_or_b32 exec_lo, exec_lo, s2
	s_delay_alu instid0(VALU_DEP_1) | instskip(NEXT) | instid1(VALU_DEP_1)
	v_bfi_b32 v2, 0x7fffffff, v3, v2
	v_dual_mul_f32 v1, 0.5, v1 :: v_dual_add_f32 v2, 1.0, v2
	s_delay_alu instid0(VALU_DEP_1) | instskip(NEXT) | instid1(VALU_DEP_1)
	v_mul_f32_e32 v1, v1, v2
	v_mul_f32_e32 v2, v0, v1
.LBB1_41:
	s_delay_alu instid0(VALU_DEP_1)
	v_mov_b32_e32 v0, v2
.LBB1_42:
	s_load_b64 s[0:1], s[0:1], 0x38
	s_mul_i32 s2, s6, s27
	s_wait_kmcnt 0x0
	s_mul_i32 s3, s26, s21
	s_wait_alu 0xfffe
	s_add_co_i32 s2, s2, ttmp9
	v_lshlrev_b32_e32 v1, 2, v10
	s_wait_alu 0xfffe
	s_add_co_i32 s2, s2, s3
	s_mov_b32 s3, 0
	s_wait_alu 0xfffe
	s_lshl_b64 s[2:3], s[2:3], 2
	s_wait_alu 0xfffe
	s_add_nc_u64 s[0:1], s[0:1], s[2:3]
	global_store_b32 v1, v0, s[0:1]
.LBB1_43:
	s_endpgm
	.section	.rodata,"a",@progbits
	.p2align	6, 0x0
	.amdhsa_kernel _ZL13mul_mat_vec_qIL9ggml_type41ELi1ELb1ELb1EEvPKvS2_PKi31ggml_cuda_mm_fusion_args_devicePfj15HIP_vector_typeIjLj3EEjjjS8_jjjS8_jjjj
		.amdhsa_group_segment_fixed_size 0
		.amdhsa_private_segment_fixed_size 0
		.amdhsa_kernarg_size 144
		.amdhsa_user_sgpr_count 2
		.amdhsa_user_sgpr_dispatch_ptr 0
		.amdhsa_user_sgpr_queue_ptr 0
		.amdhsa_user_sgpr_kernarg_segment_ptr 1
		.amdhsa_user_sgpr_dispatch_id 0
		.amdhsa_user_sgpr_private_segment_size 0
		.amdhsa_wavefront_size32 1
		.amdhsa_uses_dynamic_stack 0
		.amdhsa_enable_private_segment 0
		.amdhsa_system_sgpr_workgroup_id_x 1
		.amdhsa_system_sgpr_workgroup_id_y 1
		.amdhsa_system_sgpr_workgroup_id_z 1
		.amdhsa_system_sgpr_workgroup_info 0
		.amdhsa_system_vgpr_workitem_id 1
		.amdhsa_next_free_vgpr 56
		.amdhsa_next_free_sgpr 38
		.amdhsa_reserve_vcc 1
		.amdhsa_float_round_mode_32 0
		.amdhsa_float_round_mode_16_64 0
		.amdhsa_float_denorm_mode_32 3
		.amdhsa_float_denorm_mode_16_64 3
		.amdhsa_fp16_overflow 0
		.amdhsa_workgroup_processor_mode 1
		.amdhsa_memory_ordered 1
		.amdhsa_forward_progress 1
		.amdhsa_inst_pref_size 34
		.amdhsa_round_robin_scheduling 0
		.amdhsa_exception_fp_ieee_invalid_op 0
		.amdhsa_exception_fp_denorm_src 0
		.amdhsa_exception_fp_ieee_div_zero 0
		.amdhsa_exception_fp_ieee_overflow 0
		.amdhsa_exception_fp_ieee_underflow 0
		.amdhsa_exception_fp_ieee_inexact 0
		.amdhsa_exception_int_div_zero 0
	.end_amdhsa_kernel
	.section	.text._ZL13mul_mat_vec_qIL9ggml_type41ELi1ELb1ELb1EEvPKvS2_PKi31ggml_cuda_mm_fusion_args_devicePfj15HIP_vector_typeIjLj3EEjjjS8_jjjS8_jjjj,"axG",@progbits,_ZL13mul_mat_vec_qIL9ggml_type41ELi1ELb1ELb1EEvPKvS2_PKi31ggml_cuda_mm_fusion_args_devicePfj15HIP_vector_typeIjLj3EEjjjS8_jjjS8_jjjj,comdat
.Lfunc_end1:
	.size	_ZL13mul_mat_vec_qIL9ggml_type41ELi1ELb1ELb1EEvPKvS2_PKi31ggml_cuda_mm_fusion_args_devicePfj15HIP_vector_typeIjLj3EEjjjS8_jjjS8_jjjj, .Lfunc_end1-_ZL13mul_mat_vec_qIL9ggml_type41ELi1ELb1ELb1EEvPKvS2_PKi31ggml_cuda_mm_fusion_args_devicePfj15HIP_vector_typeIjLj3EEjjjS8_jjjS8_jjjj
                                        ; -- End function
	.set _ZL13mul_mat_vec_qIL9ggml_type41ELi1ELb1ELb1EEvPKvS2_PKi31ggml_cuda_mm_fusion_args_devicePfj15HIP_vector_typeIjLj3EEjjjS8_jjjS8_jjjj.num_vgpr, 56
	.set _ZL13mul_mat_vec_qIL9ggml_type41ELi1ELb1ELb1EEvPKvS2_PKi31ggml_cuda_mm_fusion_args_devicePfj15HIP_vector_typeIjLj3EEjjjS8_jjjS8_jjjj.num_agpr, 0
	.set _ZL13mul_mat_vec_qIL9ggml_type41ELi1ELb1ELb1EEvPKvS2_PKi31ggml_cuda_mm_fusion_args_devicePfj15HIP_vector_typeIjLj3EEjjjS8_jjjS8_jjjj.numbered_sgpr, 38
	.set _ZL13mul_mat_vec_qIL9ggml_type41ELi1ELb1ELb1EEvPKvS2_PKi31ggml_cuda_mm_fusion_args_devicePfj15HIP_vector_typeIjLj3EEjjjS8_jjjS8_jjjj.num_named_barrier, 0
	.set _ZL13mul_mat_vec_qIL9ggml_type41ELi1ELb1ELb1EEvPKvS2_PKi31ggml_cuda_mm_fusion_args_devicePfj15HIP_vector_typeIjLj3EEjjjS8_jjjS8_jjjj.private_seg_size, 0
	.set _ZL13mul_mat_vec_qIL9ggml_type41ELi1ELb1ELb1EEvPKvS2_PKi31ggml_cuda_mm_fusion_args_devicePfj15HIP_vector_typeIjLj3EEjjjS8_jjjS8_jjjj.uses_vcc, 1
	.set _ZL13mul_mat_vec_qIL9ggml_type41ELi1ELb1ELb1EEvPKvS2_PKi31ggml_cuda_mm_fusion_args_devicePfj15HIP_vector_typeIjLj3EEjjjS8_jjjS8_jjjj.uses_flat_scratch, 0
	.set _ZL13mul_mat_vec_qIL9ggml_type41ELi1ELb1ELb1EEvPKvS2_PKi31ggml_cuda_mm_fusion_args_devicePfj15HIP_vector_typeIjLj3EEjjjS8_jjjS8_jjjj.has_dyn_sized_stack, 0
	.set _ZL13mul_mat_vec_qIL9ggml_type41ELi1ELb1ELb1EEvPKvS2_PKi31ggml_cuda_mm_fusion_args_devicePfj15HIP_vector_typeIjLj3EEjjjS8_jjjS8_jjjj.has_recursion, 0
	.set _ZL13mul_mat_vec_qIL9ggml_type41ELi1ELb1ELb1EEvPKvS2_PKi31ggml_cuda_mm_fusion_args_devicePfj15HIP_vector_typeIjLj3EEjjjS8_jjjS8_jjjj.has_indirect_call, 0
	.section	.AMDGPU.csdata,"",@progbits
; Kernel info:
; codeLenInByte = 4332
; TotalNumSgprs: 40
; NumVgprs: 56
; ScratchSize: 0
; MemoryBound: 0
; FloatMode: 240
; IeeeMode: 1
; LDSByteSize: 0 bytes/workgroup (compile time only)
; SGPRBlocks: 0
; VGPRBlocks: 6
; NumSGPRsForWavesPerEU: 40
; NumVGPRsForWavesPerEU: 56
; Occupancy: 16
; WaveLimiterHint : 0
; COMPUTE_PGM_RSRC2:SCRATCH_EN: 0
; COMPUTE_PGM_RSRC2:USER_SGPR: 2
; COMPUTE_PGM_RSRC2:TRAP_HANDLER: 0
; COMPUTE_PGM_RSRC2:TGID_X_EN: 1
; COMPUTE_PGM_RSRC2:TGID_Y_EN: 1
; COMPUTE_PGM_RSRC2:TGID_Z_EN: 1
; COMPUTE_PGM_RSRC2:TIDIG_COMP_CNT: 1
	.section	.text._ZL13mul_mat_vec_qIL9ggml_type41ELi1ELb0ELb1EEvPKvS2_PKi31ggml_cuda_mm_fusion_args_devicePfj15HIP_vector_typeIjLj3EEjjjS8_jjjS8_jjjj,"axG",@progbits,_ZL13mul_mat_vec_qIL9ggml_type41ELi1ELb0ELb1EEvPKvS2_PKi31ggml_cuda_mm_fusion_args_devicePfj15HIP_vector_typeIjLj3EEjjjS8_jjjS8_jjjj,comdat
	.globl	_ZL13mul_mat_vec_qIL9ggml_type41ELi1ELb0ELb1EEvPKvS2_PKi31ggml_cuda_mm_fusion_args_devicePfj15HIP_vector_typeIjLj3EEjjjS8_jjjS8_jjjj ; -- Begin function _ZL13mul_mat_vec_qIL9ggml_type41ELi1ELb0ELb1EEvPKvS2_PKi31ggml_cuda_mm_fusion_args_devicePfj15HIP_vector_typeIjLj3EEjjjS8_jjjS8_jjjj
	.p2align	8
	.type	_ZL13mul_mat_vec_qIL9ggml_type41ELi1ELb0ELb1EEvPKvS2_PKi31ggml_cuda_mm_fusion_args_devicePfj15HIP_vector_typeIjLj3EEjjjS8_jjjS8_jjjj,@function
_ZL13mul_mat_vec_qIL9ggml_type41ELi1ELb0ELb1EEvPKvS2_PKi31ggml_cuda_mm_fusion_args_devicePfj15HIP_vector_typeIjLj3EEjjjS8_jjjS8_jjjj: ; @_ZL13mul_mat_vec_qIL9ggml_type41ELi1ELb0ELb1EEvPKvS2_PKi31ggml_cuda_mm_fusion_args_devicePfj15HIP_vector_typeIjLj3EEjjjS8_jjjS8_jjjj
; %bb.0:
	s_clause 0x1
	s_load_b64 s[2:3], s[0:1], 0x10
	s_load_b128 s[8:11], s[0:1], 0x40
	s_and_b32 s15, ttmp7, 0xffff
	s_wait_kmcnt 0x0
	s_cmp_lg_u64 s[2:3], 0
	s_cselect_b32 s12, -1, 0
	s_cmp_eq_u64 s[2:3], 0
	s_cbranch_scc1 .LBB2_13
; %bb.1:
	s_lshl_b32 s4, s15, 2
	s_load_b32 s19, s[2:3], s4 offset:0x0
	s_clause 0x1
	s_load_b128 s[4:7], s[0:1], 0x68
	s_load_b32 s20, s[0:1], 0x50
	s_cbranch_execnz .LBB2_3
.LBB2_2:
	s_load_b64 s[2:3], s[0:1], 0x5c
	s_wait_kmcnt 0x0
	s_mul_hi_u32 s2, s2, s15
	s_delay_alu instid0(SALU_CYCLE_1) | instskip(NEXT) | instid1(SALU_CYCLE_1)
	s_add_co_i32 s2, s15, s2
	s_lshr_b32 s19, s2, s3
.LBB2_3:
	s_load_b32 s21, s[0:1], 0x78
	s_and_not1_b32 vcc_lo, exec_lo, s12
	s_mov_b32 s2, s15
	s_cbranch_vccnz .LBB2_5
; %bb.4:
	s_mul_hi_u32 s2, s9, s15
	s_delay_alu instid0(SALU_CYCLE_1) | instskip(NEXT) | instid1(SALU_CYCLE_1)
	s_add_co_i32 s2, s15, s2
	s_lshr_b32 s2, s2, s10
	s_delay_alu instid0(SALU_CYCLE_1) | instskip(NEXT) | instid1(SALU_CYCLE_1)
	s_mul_i32 s2, s2, s11
	s_sub_co_i32 s2, s15, s2
.LBB2_5:
	s_load_b96 s[12:14], s[0:1], 0x80
	v_bfe_u32 v3, v0, 10, 10
	v_and_b32_e32 v2, 0x3ff, v0
	v_mov_b32_e32 v4, 0
	s_lshr_b32 s18, s8, 7
	s_lshr_b32 s16, ttmp7, 16
	s_mov_b32 s17, exec_lo
	v_lshl_or_b32 v0, v3, 5, v2
	s_delay_alu instid0(VALU_DEP_1) | instskip(NEXT) | instid1(VALU_DEP_1)
	v_lshrrev_b32_e32 v5, 2, v0
	v_cmpx_gt_u32_e64 s18, v5
	s_cbranch_execz .LBB2_9
; %bb.6:
	v_lshrrev_b32_e32 v0, 2, v0
	s_wait_kmcnt 0x0
	s_mul_i32 s2, s2, s5
	s_mov_b32 s3, 0
	v_dual_mov_b32 v4, 0 :: v_dual_and_b32 v7, 3, v2
	s_mul_u64 s[8:9], s[2:3], 36
	s_mul_i32 s2, s13, s16
	v_mad_co_u64_u32 v[0:1], null, 0x90, v0, s[8:9]
	s_load_b128 s[8:11], s[0:1], 0x0
	s_mul_i32 s20, s20, ttmp9
	v_mov_b32_e32 v6, 0xff0000
	v_mov_b32_e32 v8, 0xff000000
	s_mul_i32 s4, s19, s4
	v_mad_co_u64_u32 v[0:1], null, s2, 36, v[0:1]
	s_mul_hi_u32 s2, s7, s16
	s_wait_alu 0xfffe
	s_add_co_i32 s2, s16, s2
	s_wait_alu 0xfffe
	s_lshr_b32 s2, s2, s21
	v_mad_co_u64_u32 v[0:1], null, v7, 36, v[0:1]
	s_wait_alu 0xfffe
	s_mul_i32 s2, s2, s12
	v_lshlrev_b32_e32 v7, 2, v7
	s_wait_alu 0xfffe
	s_add_co_i32 s2, s2, s20
	s_wait_alu 0xfffe
	s_add_co_i32 s4, s4, s2
	s_wait_kmcnt 0x0
	v_add_co_u32 v0, vcc_lo, s10, v0
	s_delay_alu instid0(VALU_DEP_1) | instskip(NEXT) | instid1(VALU_DEP_2)
	v_add_co_ci_u32_e64 v1, null, s11, v1, vcc_lo
	v_add_co_u32 v0, vcc_lo, v0, 32
	s_wait_alu 0xfffd
	s_delay_alu instid0(VALU_DEP_2)
	v_add_co_ci_u32_e64 v1, null, 0, v1, vcc_lo
.LBB2_7:                                ; =>This Inner Loop Header: Depth=1
	v_add_nc_u32_e32 v9, s4, v5
	v_add_nc_u32_e32 v5, 8, v5
	s_delay_alu instid0(VALU_DEP_2) | instskip(NEXT) | instid1(VALU_DEP_2)
	v_mad_co_i64_i32 v[9:10], null, v9, 18, s[8:9]
	v_cmp_le_u32_e64 s2, s18, v5
	s_or_b32 s3, s2, s3
	v_add_co_u32 v11, vcc_lo, v9, v7
	s_wait_alu 0xfffd
	v_add_co_ci_u32_e64 v12, null, 0, v10, vcc_lo
	s_clause 0x1
	global_load_u16 v17, v[9:10], off
	global_load_b32 v18, v[11:12], off offset:2
	s_clause 0x2
	global_load_b128 v[9:12], v[0:1], off offset:-32
	global_load_b128 v[13:16], v[0:1], off offset:-16
	global_load_b32 v19, v[0:1], off
	s_wait_loadcnt 0x3
	v_and_b32_e32 v20, 1, v18
	v_and_b32_e32 v21, 4, v18
	v_and_b32_e32 v22, 8, v18
	v_and_b32_e32 v24, 16, v18
	v_and_b32_e32 v25, 64, v18
	v_cmp_eq_u32_e32 vcc_lo, 0, v20
	s_wait_loadcnt 0x2
	v_cvt_f32_f16_e32 v9, v9
	v_and_b32_e32 v26, 0x80, v18
	v_and_b32_e32 v28, 0x100, v18
	v_and_b32_e32 v29, 0x400, v18
	s_wait_alu 0xfffd
	v_cndmask_b32_e64 v20, 1, 0xff, vcc_lo
	v_cmp_eq_u32_e32 vcc_lo, 0, v21
	v_and_b32_e32 v30, 0x800, v18
	v_and_b32_e32 v31, 0x1000, v18
	;; [unrolled: 1-line block ×4, first 2 shown]
	s_wait_alu 0xfffd
	v_cndmask_b32_e32 v21, 0x10000, v6, vcc_lo
	v_cmp_eq_u32_e32 vcc_lo, 0, v22
	v_and_b32_e32 v35, 0x10000, v18
	v_ashrrev_i32_e32 v47, 28, v18
	v_and_b32_e32 v36, 0x40000, v18
	v_and_b32_e32 v37, 0x80000, v18
	s_wait_alu 0xfffd
	v_cndmask_b32_e32 v22, 0x1000000, v8, vcc_lo
	v_cmp_eq_u32_e32 vcc_lo, 0, v24
	v_and_b32_e32 v39, 0x100000, v18
	v_and_b32_e32 v40, 0x400000, v18
	;; [unrolled: 1-line block ×4, first 2 shown]
	s_wait_alu 0xfffd
	v_cndmask_b32_e64 v24, 1, 0xff, vcc_lo
	v_cmp_eq_u32_e32 vcc_lo, 0, v25
	v_and_b32_e32 v44, 0x4000000, v18
	v_and_b32_e32 v45, 0x8000000, v18
	;; [unrolled: 1-line block ×3, first 2 shown]
	v_and_b32_e32 v49, 2.0, v18
	s_wait_alu 0xfffd
	v_cndmask_b32_e32 v25, 0x10000, v6, vcc_lo
	v_cmp_eq_u32_e32 vcc_lo, 0, v26
	v_lshlrev_b32_e32 v23, 8, v18
	v_lshrrev_b32_e32 v34, 4, v18
	v_lshrrev_b32_e32 v38, 8, v18
	v_lshrrev_b32_e32 v42, 12, v18
	s_wait_alu 0xfffd
	v_cndmask_b32_e32 v26, 0x1000000, v8, vcc_lo
	v_cmp_eq_u32_e32 vcc_lo, 0, v28
	v_and_or_b32 v20, 0x200, v23, v20
	v_and_b32_e32 v23, 8, v47
	v_lshrrev_b32_e32 v46, 16, v18
	v_lshlrev_b32_e32 v47, 8, v47
	s_wait_alu 0xfffd
	v_cndmask_b32_e64 v28, 1, 0xff, vcc_lo
	v_cmp_eq_u32_e32 vcc_lo, 0, v29
	v_add_nc_u32_e32 v20, 0xff00, v20
	s_wait_alu 0xfffd
	v_cndmask_b32_e32 v29, 0x10000, v6, vcc_lo
	v_cmp_eq_u32_e32 vcc_lo, 0, v30
	s_delay_alu instid0(VALU_DEP_3) | instskip(SKIP_3) | instid1(VALU_DEP_3)
	v_or3_b32 v20, v22, v21, v20
	s_wait_alu 0xfffd
	v_cndmask_b32_e32 v30, 0x1000000, v8, vcc_lo
	v_cmp_eq_u32_e32 vcc_lo, 0, v31
	v_dot4_i32_iu8 v10, v20, v10, 0 neg_lo:[1,1,0]
	s_wait_alu 0xfffd
	v_cndmask_b32_e64 v31, 1, 0xff, vcc_lo
	v_cmp_eq_u32_e32 vcc_lo, 0, v32
	s_wait_alu 0xfffd
	v_cndmask_b32_e32 v32, 0x10000, v6, vcc_lo
	v_cmp_eq_u32_e32 vcc_lo, 0, v33
	s_wait_alu 0xfffd
	v_cndmask_b32_e32 v33, 0x1000000, v8, vcc_lo
	v_cmp_eq_u32_e32 vcc_lo, 0, v35
	s_wait_alu 0xfffd
	v_cndmask_b32_e64 v35, 1, 0xff, vcc_lo
	v_cmp_eq_u32_e32 vcc_lo, 0, v36
	s_delay_alu instid0(VALU_DEP_2) | instskip(SKIP_3) | instid1(VALU_DEP_3)
	v_and_or_b32 v21, 0x200, v38, v35
	s_wait_alu 0xfffd
	v_cndmask_b32_e32 v36, 0x10000, v6, vcc_lo
	v_cmp_eq_u32_e32 vcc_lo, 0, v37
	v_add_nc_u32_e32 v21, 0xff00, v21
	s_wait_alu 0xfffd
	v_cndmask_b32_e32 v37, 0x1000000, v8, vcc_lo
	v_cmp_eq_u32_e32 vcc_lo, 0, v39
	s_wait_alu 0xfffd
	v_cndmask_b32_e64 v39, 1, 0xff, vcc_lo
	v_cmp_eq_u32_e32 vcc_lo, 0, v40
	s_delay_alu instid0(VALU_DEP_2)
	v_and_or_b32 v20, 0x200, v42, v39
	s_wait_alu 0xfffd
	v_cndmask_b32_e32 v40, 0x10000, v6, vcc_lo
	v_cmp_eq_u32_e32 vcc_lo, 0, v41
	s_wait_alu 0xfffd
	v_cndmask_b32_e32 v41, 0x1000000, v8, vcc_lo
	v_cmp_eq_u32_e32 vcc_lo, 0, v43
	s_wait_alu 0xfffd
	v_cndmask_b32_e64 v43, 1, 0xff, vcc_lo
	v_cmp_eq_u32_e32 vcc_lo, 0, v44
	s_wait_alu 0xfffd
	v_cndmask_b32_e32 v44, 0x10000, v6, vcc_lo
	v_cmp_eq_u32_e32 vcc_lo, 0, v45
	s_wait_alu 0xfffd
	v_cndmask_b32_e32 v45, 0x1000000, v8, vcc_lo
	v_cmp_eq_u32_e32 vcc_lo, 0, v48
	s_wait_alu 0xfffd
	v_cndmask_b32_e64 v48, 1, 0xff, vcc_lo
	v_cmp_eq_u32_e32 vcc_lo, 0, v49
	s_wait_alu 0xfffd
	v_cndmask_b32_e32 v49, 0x10000, v6, vcc_lo
	v_cmp_eq_u32_e32 vcc_lo, 0, v23
	v_lshlrev_b32_e32 v27, 4, v18
	v_and_or_b32 v18, 0x200, v18, v28
	s_delay_alu instid0(VALU_DEP_2) | instskip(SKIP_1) | instid1(VALU_DEP_3)
	v_and_or_b32 v24, 0x200, v27, v24
	v_and_or_b32 v27, 0x200, v34, v31
	v_add_nc_u32_e32 v18, 0xff00, v18
	s_delay_alu instid0(VALU_DEP_3) | instskip(NEXT) | instid1(VALU_DEP_2)
	v_add_nc_u32_e32 v24, 0xff00, v24
	v_or3_b32 v18, v30, v29, v18
	s_delay_alu instid0(VALU_DEP_2) | instskip(SKIP_1) | instid1(VALU_DEP_2)
	v_or3_b32 v22, v26, v25, v24
	v_add_nc_u32_e32 v24, 0xff00, v27
	v_dot4_i32_iu8 v10, v22, v11, v10 neg_lo:[1,1,0]
	s_delay_alu instid0(VALU_DEP_2) | instskip(SKIP_1) | instid1(VALU_DEP_3)
	v_or3_b32 v22, v33, v32, v24
	v_and_or_b32 v11, 0x200, v46, v43
	v_dot4_i32_iu8 v10, v18, v12, v10 neg_lo:[1,1,0]
	v_add_nc_u32_e32 v12, 0xff00, v20
	v_or3_b32 v18, v37, v36, v21
	s_delay_alu instid0(VALU_DEP_4)
	v_add_nc_u32_e32 v11, 0xff00, v11
	s_wait_loadcnt 0x1
	v_dot4_i32_iu8 v10, v22, v13, v10 neg_lo:[1,1,0]
	v_and_or_b32 v13, 0x200, v47, v48
	v_or3_b32 v12, v41, v40, v12
	v_or3_b32 v11, v45, v44, v11
	s_delay_alu instid0(VALU_DEP_4)
	v_dot4_i32_iu8 v10, v18, v14, v10 neg_lo:[1,1,0]
	s_wait_alu 0xfffd
	v_cndmask_b32_e32 v14, 0x1000000, v8, vcc_lo
	v_add_nc_u32_e32 v13, 0xff00, v13
	v_add_co_u32 v0, vcc_lo, 0x480, v0
	v_dot4_i32_iu8 v10, v12, v15, v10 neg_lo:[1,1,0]
	s_wait_alu 0xfffd
	v_add_co_ci_u32_e64 v1, null, 0, v1, vcc_lo
	v_or3_b32 v12, v14, v49, v13
	s_delay_alu instid0(VALU_DEP_3) | instskip(SKIP_2) | instid1(VALU_DEP_2)
	v_dot4_i32_iu8 v10, v11, v16, v10 neg_lo:[1,1,0]
	v_cvt_f32_f16_e32 v11, v17
	s_wait_loadcnt 0x0
	v_dot4_i32_iu8 v10, v12, v19, v10 neg_lo:[1,1,0]
	s_delay_alu instid0(VALU_DEP_2) | instskip(NEXT) | instid1(VALU_DEP_2)
	v_mul_f32_e32 v9, v11, v9
	v_cvt_f32_i32_e32 v10, v10
	s_delay_alu instid0(VALU_DEP_1)
	v_fmac_f32_e32 v4, v9, v10
	s_wait_alu 0xfffe
	s_and_not1_b32 exec_lo, exec_lo, s3
	s_cbranch_execnz .LBB2_7
; %bb.8:
	s_or_b32 exec_lo, exec_lo, s3
.LBB2_9:
	s_delay_alu instid0(SALU_CYCLE_1)
	s_or_b32 exec_lo, exec_lo, s17
	; wave barrier
	global_inv scope:SCOPE_SE
	s_mov_b32 s2, exec_lo
	v_cmpx_eq_u32_e32 0, v3
	s_cbranch_execz .LBB2_12
; %bb.10:
	v_mbcnt_lo_u32_b32 v0, -1, 0
	s_delay_alu instid0(VALU_DEP_1) | instskip(SKIP_1) | instid1(VALU_DEP_2)
	v_xor_b32_e32 v1, 16, v0
	v_xor_b32_e32 v3, 8, v0
	v_cmp_gt_i32_e32 vcc_lo, 32, v1
	s_wait_alu 0xfffd
	v_cndmask_b32_e32 v1, v0, v1, vcc_lo
	s_delay_alu instid0(VALU_DEP_3) | instskip(NEXT) | instid1(VALU_DEP_2)
	v_cmp_gt_i32_e32 vcc_lo, 32, v3
	v_lshlrev_b32_e32 v1, 2, v1
	s_wait_alu 0xfffd
	v_cndmask_b32_e32 v3, v0, v3, vcc_lo
	ds_bpermute_b32 v1, v1, v4
	v_lshlrev_b32_e32 v3, 2, v3
	s_wait_dscnt 0x0
	v_add_f32_e32 v1, v4, v1
	v_xor_b32_e32 v4, 4, v0
	ds_bpermute_b32 v3, v3, v1
	v_cmp_gt_i32_e32 vcc_lo, 32, v4
	s_wait_alu 0xfffd
	v_cndmask_b32_e32 v4, v0, v4, vcc_lo
	s_wait_dscnt 0x0
	s_delay_alu instid0(VALU_DEP_1) | instskip(SKIP_2) | instid1(VALU_DEP_1)
	v_dual_add_f32 v1, v1, v3 :: v_dual_lshlrev_b32 v4, 2, v4
	ds_bpermute_b32 v3, v4, v1
	v_xor_b32_e32 v4, 2, v0
	v_cmp_gt_i32_e32 vcc_lo, 32, v4
	s_wait_alu 0xfffd
	v_cndmask_b32_e32 v4, v0, v4, vcc_lo
	s_wait_dscnt 0x0
	s_delay_alu instid0(VALU_DEP_1) | instskip(SKIP_2) | instid1(VALU_DEP_1)
	v_dual_add_f32 v1, v1, v3 :: v_dual_lshlrev_b32 v4, 2, v4
	ds_bpermute_b32 v3, v4, v1
	v_xor_b32_e32 v4, 1, v0
	v_cmp_gt_i32_e32 vcc_lo, 32, v4
	s_wait_alu 0xfffd
	v_cndmask_b32_e32 v0, v0, v4, vcc_lo
	v_cmp_eq_u32_e32 vcc_lo, 0, v2
	s_delay_alu instid0(VALU_DEP_2)
	v_lshlrev_b32_e32 v4, 2, v0
	s_wait_dscnt 0x0
	v_add_f32_e32 v0, v1, v3
	ds_bpermute_b32 v1, v4, v0
	s_and_b32 exec_lo, exec_lo, vcc_lo
	s_cbranch_execz .LBB2_12
; %bb.11:
	s_load_b64 s[0:1], s[0:1], 0x38
	s_wait_kmcnt 0x0
	s_mul_i32 s2, s6, s15
	s_mul_i32 s3, s14, s16
	s_wait_alu 0xfffe
	s_add_co_i32 s2, s2, ttmp9
	s_wait_dscnt 0x0
	v_dual_add_f32 v0, v0, v1 :: v_dual_mov_b32 v1, 0
	s_wait_alu 0xfffe
	s_add_co_i32 s2, s2, s3
	s_mov_b32 s3, 0
	s_wait_alu 0xfffe
	s_lshl_b64 s[2:3], s[2:3], 2
	s_wait_alu 0xfffe
	s_add_nc_u64 s[0:1], s[0:1], s[2:3]
	global_store_b32 v1, v0, s[0:1]
.LBB2_12:
	s_endpgm
.LBB2_13:
                                        ; implicit-def: $sgpr19
	s_clause 0x1
	s_load_b128 s[4:7], s[0:1], 0x68
	s_load_b32 s20, s[0:1], 0x50
	s_branch .LBB2_2
	.section	.rodata,"a",@progbits
	.p2align	6, 0x0
	.amdhsa_kernel _ZL13mul_mat_vec_qIL9ggml_type41ELi1ELb0ELb1EEvPKvS2_PKi31ggml_cuda_mm_fusion_args_devicePfj15HIP_vector_typeIjLj3EEjjjS8_jjjS8_jjjj
		.amdhsa_group_segment_fixed_size 0
		.amdhsa_private_segment_fixed_size 0
		.amdhsa_kernarg_size 144
		.amdhsa_user_sgpr_count 2
		.amdhsa_user_sgpr_dispatch_ptr 0
		.amdhsa_user_sgpr_queue_ptr 0
		.amdhsa_user_sgpr_kernarg_segment_ptr 1
		.amdhsa_user_sgpr_dispatch_id 0
		.amdhsa_user_sgpr_private_segment_size 0
		.amdhsa_wavefront_size32 1
		.amdhsa_uses_dynamic_stack 0
		.amdhsa_enable_private_segment 0
		.amdhsa_system_sgpr_workgroup_id_x 1
		.amdhsa_system_sgpr_workgroup_id_y 1
		.amdhsa_system_sgpr_workgroup_id_z 1
		.amdhsa_system_sgpr_workgroup_info 0
		.amdhsa_system_vgpr_workitem_id 1
		.amdhsa_next_free_vgpr 50
		.amdhsa_next_free_sgpr 22
		.amdhsa_reserve_vcc 1
		.amdhsa_float_round_mode_32 0
		.amdhsa_float_round_mode_16_64 0
		.amdhsa_float_denorm_mode_32 3
		.amdhsa_float_denorm_mode_16_64 3
		.amdhsa_fp16_overflow 0
		.amdhsa_workgroup_processor_mode 1
		.amdhsa_memory_ordered 1
		.amdhsa_forward_progress 1
		.amdhsa_inst_pref_size 15
		.amdhsa_round_robin_scheduling 0
		.amdhsa_exception_fp_ieee_invalid_op 0
		.amdhsa_exception_fp_denorm_src 0
		.amdhsa_exception_fp_ieee_div_zero 0
		.amdhsa_exception_fp_ieee_overflow 0
		.amdhsa_exception_fp_ieee_underflow 0
		.amdhsa_exception_fp_ieee_inexact 0
		.amdhsa_exception_int_div_zero 0
	.end_amdhsa_kernel
	.section	.text._ZL13mul_mat_vec_qIL9ggml_type41ELi1ELb0ELb1EEvPKvS2_PKi31ggml_cuda_mm_fusion_args_devicePfj15HIP_vector_typeIjLj3EEjjjS8_jjjS8_jjjj,"axG",@progbits,_ZL13mul_mat_vec_qIL9ggml_type41ELi1ELb0ELb1EEvPKvS2_PKi31ggml_cuda_mm_fusion_args_devicePfj15HIP_vector_typeIjLj3EEjjjS8_jjjS8_jjjj,comdat
.Lfunc_end2:
	.size	_ZL13mul_mat_vec_qIL9ggml_type41ELi1ELb0ELb1EEvPKvS2_PKi31ggml_cuda_mm_fusion_args_devicePfj15HIP_vector_typeIjLj3EEjjjS8_jjjS8_jjjj, .Lfunc_end2-_ZL13mul_mat_vec_qIL9ggml_type41ELi1ELb0ELb1EEvPKvS2_PKi31ggml_cuda_mm_fusion_args_devicePfj15HIP_vector_typeIjLj3EEjjjS8_jjjS8_jjjj
                                        ; -- End function
	.set _ZL13mul_mat_vec_qIL9ggml_type41ELi1ELb0ELb1EEvPKvS2_PKi31ggml_cuda_mm_fusion_args_devicePfj15HIP_vector_typeIjLj3EEjjjS8_jjjS8_jjjj.num_vgpr, 50
	.set _ZL13mul_mat_vec_qIL9ggml_type41ELi1ELb0ELb1EEvPKvS2_PKi31ggml_cuda_mm_fusion_args_devicePfj15HIP_vector_typeIjLj3EEjjjS8_jjjS8_jjjj.num_agpr, 0
	.set _ZL13mul_mat_vec_qIL9ggml_type41ELi1ELb0ELb1EEvPKvS2_PKi31ggml_cuda_mm_fusion_args_devicePfj15HIP_vector_typeIjLj3EEjjjS8_jjjS8_jjjj.numbered_sgpr, 22
	.set _ZL13mul_mat_vec_qIL9ggml_type41ELi1ELb0ELb1EEvPKvS2_PKi31ggml_cuda_mm_fusion_args_devicePfj15HIP_vector_typeIjLj3EEjjjS8_jjjS8_jjjj.num_named_barrier, 0
	.set _ZL13mul_mat_vec_qIL9ggml_type41ELi1ELb0ELb1EEvPKvS2_PKi31ggml_cuda_mm_fusion_args_devicePfj15HIP_vector_typeIjLj3EEjjjS8_jjjS8_jjjj.private_seg_size, 0
	.set _ZL13mul_mat_vec_qIL9ggml_type41ELi1ELb0ELb1EEvPKvS2_PKi31ggml_cuda_mm_fusion_args_devicePfj15HIP_vector_typeIjLj3EEjjjS8_jjjS8_jjjj.uses_vcc, 1
	.set _ZL13mul_mat_vec_qIL9ggml_type41ELi1ELb0ELb1EEvPKvS2_PKi31ggml_cuda_mm_fusion_args_devicePfj15HIP_vector_typeIjLj3EEjjjS8_jjjS8_jjjj.uses_flat_scratch, 0
	.set _ZL13mul_mat_vec_qIL9ggml_type41ELi1ELb0ELb1EEvPKvS2_PKi31ggml_cuda_mm_fusion_args_devicePfj15HIP_vector_typeIjLj3EEjjjS8_jjjS8_jjjj.has_dyn_sized_stack, 0
	.set _ZL13mul_mat_vec_qIL9ggml_type41ELi1ELb0ELb1EEvPKvS2_PKi31ggml_cuda_mm_fusion_args_devicePfj15HIP_vector_typeIjLj3EEjjjS8_jjjS8_jjjj.has_recursion, 0
	.set _ZL13mul_mat_vec_qIL9ggml_type41ELi1ELb0ELb1EEvPKvS2_PKi31ggml_cuda_mm_fusion_args_devicePfj15HIP_vector_typeIjLj3EEjjjS8_jjjS8_jjjj.has_indirect_call, 0
	.section	.AMDGPU.csdata,"",@progbits
; Kernel info:
; codeLenInByte = 1912
; TotalNumSgprs: 24
; NumVgprs: 50
; ScratchSize: 0
; MemoryBound: 0
; FloatMode: 240
; IeeeMode: 1
; LDSByteSize: 0 bytes/workgroup (compile time only)
; SGPRBlocks: 0
; VGPRBlocks: 6
; NumSGPRsForWavesPerEU: 24
; NumVGPRsForWavesPerEU: 50
; Occupancy: 16
; WaveLimiterHint : 0
; COMPUTE_PGM_RSRC2:SCRATCH_EN: 0
; COMPUTE_PGM_RSRC2:USER_SGPR: 2
; COMPUTE_PGM_RSRC2:TRAP_HANDLER: 0
; COMPUTE_PGM_RSRC2:TGID_X_EN: 1
; COMPUTE_PGM_RSRC2:TGID_Y_EN: 1
; COMPUTE_PGM_RSRC2:TGID_Z_EN: 1
; COMPUTE_PGM_RSRC2:TIDIG_COMP_CNT: 1
	.section	.text._ZL13mul_mat_vec_qIL9ggml_type41ELi1ELb1ELb0EEvPKvS2_PKi31ggml_cuda_mm_fusion_args_devicePfj15HIP_vector_typeIjLj3EEjjjS8_jjjS8_jjjj,"axG",@progbits,_ZL13mul_mat_vec_qIL9ggml_type41ELi1ELb1ELb0EEvPKvS2_PKi31ggml_cuda_mm_fusion_args_devicePfj15HIP_vector_typeIjLj3EEjjjS8_jjjS8_jjjj,comdat
	.globl	_ZL13mul_mat_vec_qIL9ggml_type41ELi1ELb1ELb0EEvPKvS2_PKi31ggml_cuda_mm_fusion_args_devicePfj15HIP_vector_typeIjLj3EEjjjS8_jjjS8_jjjj ; -- Begin function _ZL13mul_mat_vec_qIL9ggml_type41ELi1ELb1ELb0EEvPKvS2_PKi31ggml_cuda_mm_fusion_args_devicePfj15HIP_vector_typeIjLj3EEjjjS8_jjjS8_jjjj
	.p2align	8
	.type	_ZL13mul_mat_vec_qIL9ggml_type41ELi1ELb1ELb0EEvPKvS2_PKi31ggml_cuda_mm_fusion_args_devicePfj15HIP_vector_typeIjLj3EEjjjS8_jjjS8_jjjj,@function
_ZL13mul_mat_vec_qIL9ggml_type41ELi1ELb1ELb0EEvPKvS2_PKi31ggml_cuda_mm_fusion_args_devicePfj15HIP_vector_typeIjLj3EEjjjS8_jjjS8_jjjj: ; @_ZL13mul_mat_vec_qIL9ggml_type41ELi1ELb1ELb0EEvPKvS2_PKi31ggml_cuda_mm_fusion_args_devicePfj15HIP_vector_typeIjLj3EEjjjS8_jjjS8_jjjj
; %bb.0:
	s_clause 0x3
	s_load_b256 s[8:15], s[0:1], 0x0
	s_load_b128 s[16:19], s[0:1], 0x20
	s_load_b128 s[20:23], s[0:1], 0x40
	;; [unrolled: 1-line block ×3, first 2 shown]
	s_and_b32 s27, ttmp7, 0xffff
	s_wait_kmcnt 0x0
	s_cmp_lg_u64 s[12:13], 0
	s_cselect_b32 s2, -1, 0
	s_cmp_eq_u64 s[12:13], 0
	s_cbranch_scc1 .LBB3_24
; %bb.1:
	s_lshl_b32 s3, s27, 2
	s_load_b32 s29, s[12:13], s3 offset:0x0
	s_clause 0x1
	s_load_b32 s30, s[0:1], 0x50
	s_load_b32 s28, s[0:1], 0x78
	s_cbranch_execnz .LBB3_3
.LBB3_2:
	s_load_b64 s[12:13], s[0:1], 0x5c
	s_wait_kmcnt 0x0
	s_mul_hi_u32 s3, s12, s27
	s_delay_alu instid0(SALU_CYCLE_1) | instskip(NEXT) | instid1(SALU_CYCLE_1)
	s_add_co_i32 s3, s27, s3
	s_lshr_b32 s29, s3, s13
.LBB3_3:
	s_and_not1_b32 vcc_lo, exec_lo, s2
	s_mov_b32 s3, s27
	s_mov_b32 s31, s27
	s_cbranch_vccnz .LBB3_5
; %bb.4:
	s_mul_hi_u32 s2, s21, s27
	s_wait_kmcnt 0x0
	s_mov_b32 s3, s29
	s_add_co_i32 s2, s27, s2
	s_delay_alu instid0(SALU_CYCLE_1) | instskip(NEXT) | instid1(SALU_CYCLE_1)
	s_lshr_b32 s2, s2, s22
	s_mul_i32 s2, s2, s23
	s_delay_alu instid0(SALU_CYCLE_1)
	s_sub_co_i32 s31, s27, s2
.LBB3_5:
	s_load_b96 s[24:26], s[0:1], 0x80
	v_bfe_u32 v13, v0, 10, 10
	v_dual_mov_b32 v11, 0 :: v_dual_and_b32 v10, 0x3ff, v0
	s_lshr_b32 s21, ttmp7, 16
	s_cmp_lg_u64 s[14:15], 0
	v_mov_b32_e32 v12, 0
	s_delay_alu instid0(VALU_DEP_2) | instskip(SKIP_3) | instid1(VALU_DEP_1)
	v_or_b32_e32 v0, v10, v13
	s_cselect_b32 s2, -1, 0
	s_mov_b32 s23, 0
	s_mul_i32 s12, s3, s6
	v_cmp_eq_u32_e32 vcc_lo, 0, v0
	s_and_b32 s13, s2, vcc_lo
	s_delay_alu instid0(SALU_CYCLE_1)
	s_and_saveexec_b32 s3, s13
	s_cbranch_execz .LBB3_7
; %bb.6:
	s_wait_kmcnt 0x0
	s_mul_i32 s22, s26, s21
	s_mov_b32 s13, s23
	s_lshl_b64 s[22:23], s[22:23], 2
	s_mov_b32 s34, ttmp9
	s_lshl_b64 s[36:37], s[12:13], 2
	s_add_nc_u64 s[14:15], s[14:15], s[22:23]
	s_ashr_i32 s35, ttmp9, 31
	v_lshlrev_b32_e32 v0, 2, v10
	s_add_nc_u64 s[14:15], s[14:15], s[36:37]
	s_lshl_b64 s[22:23], s[34:35], 2
	s_delay_alu instid0(SALU_CYCLE_1)
	s_add_nc_u64 s[14:15], s[14:15], s[22:23]
	global_load_b32 v12, v0, s[14:15]
.LBB3_7:
	s_or_b32 exec_lo, exec_lo, s3
	s_cmp_lg_u64 s[16:17], 0
	s_cselect_b32 s14, -1, 0
	s_cmp_lg_u64 s[18:19], 0
	s_cselect_b32 s3, -1, 0
	s_delay_alu instid0(SALU_CYCLE_1) | instskip(NEXT) | instid1(SALU_CYCLE_1)
	s_and_b32 s13, s3, s14
	s_and_b32 s13, s13, vcc_lo
	s_delay_alu instid0(SALU_CYCLE_1)
	s_and_saveexec_b32 s15, s13
	s_cbranch_execz .LBB3_9
; %bb.8:
	s_wait_kmcnt 0x0
	s_mul_i32 s34, s26, s21
	s_mov_b32 s35, 0
	s_mov_b32 s22, ttmp9
	s_lshl_b64 s[36:37], s[34:35], 2
	s_mov_b32 s13, s35
	s_add_nc_u64 s[18:19], s[18:19], s[36:37]
	s_lshl_b64 s[12:13], s[12:13], 2
	s_ashr_i32 s23, ttmp9, 31
	v_lshlrev_b32_e32 v0, 2, v10
	s_add_nc_u64 s[12:13], s[18:19], s[12:13]
	s_lshl_b64 s[18:19], s[22:23], 2
	s_delay_alu instid0(SALU_CYCLE_1)
	s_add_nc_u64 s[12:13], s[12:13], s[18:19]
	global_load_b32 v11, v0, s[12:13]
.LBB3_9:
	s_or_b32 exec_lo, exec_lo, s15
	v_lshl_add_u32 v0, v13, 5, v10
	v_dual_mov_b32 v16, 0 :: v_dual_mov_b32 v15, 0
	v_cndmask_b32_e64 v14, 0, 1, s14
	s_lshr_b32 s15, s20, 7
	s_delay_alu instid0(VALU_DEP_3) | instskip(SKIP_2) | instid1(VALU_DEP_1)
	v_lshrrev_b32_e32 v17, 2, v0
	s_mov_b32 s18, exec_lo
	s_wait_alu 0xfffe
	v_cmpx_gt_u32_e64 s15, v17
	s_cbranch_execz .LBB3_15
; %bb.10:
	v_lshrrev_b32_e32 v0, 2, v0
	s_mul_i32 s12, s31, s5
	s_mov_b32 s13, 0
	s_wait_kmcnt 0x0
	s_mul_i32 s5, s25, s21
	s_mul_u64 s[22:23], s[12:13], 36
	v_dual_mov_b32 v19, 0xff000000 :: v_dual_and_b32 v2, 3, v10
	v_mad_co_u64_u32 v[0:1], null, 0x90, v0, s[22:23]
	s_mul_i32 s30, s30, ttmp9
	v_dual_mov_b32 v16, 0 :: v_dual_mov_b32 v15, 0
	v_mov_b32_e32 v18, 0xff0000
	v_lshlrev_b32_e32 v20, 2, v2
	s_mul_i32 s4, s29, s4
	v_mad_co_u64_u32 v[0:1], null, s5, 36, v[0:1]
	s_mul_hi_u32 s5, s7, s21
	s_wait_alu 0xfffe
	s_add_co_i32 s5, s21, s5
	s_wait_alu 0xfffe
	s_lshr_b32 s5, s5, s28
	v_mad_co_u64_u32 v[0:1], null, v2, 36, v[0:1]
	s_wait_alu 0xfffe
	s_mul_i32 s5, s5, s24
	s_wait_alu 0xfffe
	s_add_co_i32 s5, s5, s30
	s_wait_alu 0xfffe
	s_add_co_i32 s5, s4, s5
	s_delay_alu instid0(VALU_DEP_1) | instskip(NEXT) | instid1(VALU_DEP_1)
	v_add_co_u32 v0, vcc_lo, s10, v0
	v_add_co_ci_u32_e64 v1, null, s11, v1, vcc_lo
	s_delay_alu instid0(VALU_DEP_2) | instskip(SKIP_1) | instid1(VALU_DEP_2)
	v_add_co_u32 v8, vcc_lo, v0, 32
	s_wait_alu 0xfffd
	v_add_co_ci_u32_e64 v9, null, 0, v1, vcc_lo
	s_branch .LBB3_12
.LBB3_11:                               ;   in Loop: Header=BB3_12 Depth=1
	s_wait_loadcnt 0x1
	v_and_b32_e32 v24, 1, v23
	v_and_b32_e32 v25, 4, v23
	;; [unrolled: 1-line block ×3, first 2 shown]
	v_lshlrev_b32_e32 v26, 8, v23
	v_and_b32_e32 v28, 8, v23
	v_cmp_eq_u32_e32 vcc_lo, 0, v24
	v_lshlrev_b32_e32 v29, 4, v23
	v_and_b32_e32 v30, 0x80, v23
	v_lshrrev_b32_e32 v31, 4, v23
	v_and_b32_e32 v32, 0x8000, v23
	s_wait_alu 0xfffd
	v_cndmask_b32_e64 v24, 1, 0xff, vcc_lo
	v_cmp_eq_u32_e32 vcc_lo, 0, v25
	v_and_b32_e32 v33, 0x40000, v23
	v_and_b32_e32 v35, 0x100000, v23
	v_lshrrev_b32_e32 v34, 8, v23
	v_and_or_b32 v24, 0x200, v26, v24
	s_wait_alu 0xfffd
	v_cndmask_b32_e32 v25, 0x10000, v18, vcc_lo
	v_cmp_eq_u32_e32 vcc_lo, 0, v27
	v_and_b32_e32 v27, 64, v23
	v_and_b32_e32 v36, 0x80000, v23
	v_add_nc_u32_e32 v24, 0xff00, v24
	v_and_b32_e32 v38, 0x800000, v23
	s_wait_alu 0xfffd
	v_cndmask_b32_e64 v26, 1, 0xff, vcc_lo
	v_cmp_eq_u32_e32 vcc_lo, 0, v28
	v_lshrrev_b32_e32 v37, 12, v23
	v_add_co_u32 v8, s4, 0x480, v8
	s_delay_alu instid0(VALU_DEP_4)
	v_and_or_b32 v26, 0x200, v29, v26
	s_wait_alu 0xfffd
	v_cndmask_b32_e32 v28, 0x1000000, v19, vcc_lo
	v_cmp_eq_u32_e32 vcc_lo, 0, v27
	s_wait_alu 0xf1ff
	v_add_co_ci_u32_e64 v9, null, 0, v9, s4
	v_add_nc_u32_e32 v26, 0xff00, v26
	v_or3_b32 v24, v28, v25, v24
	s_wait_alu 0xfffd
	v_cndmask_b32_e32 v27, 0x10000, v18, vcc_lo
	v_cmp_eq_u32_e32 vcc_lo, 0, v30
	v_and_b32_e32 v30, 0x100, v23
	v_and_b32_e32 v25, 0x400, v23
	;; [unrolled: 1-line block ×3, first 2 shown]
	v_dot4_i32_iu8 v5, v24, v5, 0 neg_lo:[1,1,0]
	s_wait_alu 0xfffd
	v_cndmask_b32_e32 v29, 0x1000000, v19, vcc_lo
	v_cmp_eq_u32_e32 vcc_lo, 0, v30
	v_and_b32_e32 v30, 0x4000, v23
	v_and_b32_e32 v24, 0x8000000, v23
	v_add_nc_u32_e32 v17, 8, v17
	v_or3_b32 v26, v29, v27, v26
	s_wait_alu 0xfffd
	v_cndmask_b32_e64 v27, 1, 0xff, vcc_lo
	v_cmp_eq_u32_e32 vcc_lo, 0, v25
	v_and_b32_e32 v29, 0x800, v23
	v_dot4_i32_iu8 v5, v26, v6, v5 neg_lo:[1,1,0]
	v_ashrrev_i32_e32 v26, 28, v23
	s_wait_alu 0xfffd
	v_cndmask_b32_e32 v25, 0x10000, v18, vcc_lo
	v_cmp_eq_u32_e32 vcc_lo, 0, v28
	v_and_or_b32 v27, 0x200, v23, v27
	v_and_b32_e32 v6, 0x10000000, v23
	s_wait_alu 0xfffd
	v_cndmask_b32_e64 v28, 1, 0xff, vcc_lo
	v_cmp_eq_u32_e32 vcc_lo, 0, v29
	v_add_nc_u32_e32 v27, 0xff00, v27
	s_delay_alu instid0(VALU_DEP_3)
	v_and_or_b32 v28, 0x200, v31, v28
	s_wait_alu 0xfffd
	v_cndmask_b32_e32 v29, 0x1000000, v19, vcc_lo
	v_cmp_eq_u32_e32 vcc_lo, 0, v30
	v_and_b32_e32 v31, 0x10000, v23
	v_add_nc_u32_e32 v28, 0xff00, v28
	s_delay_alu instid0(VALU_DEP_4)
	v_or3_b32 v25, v29, v25, v27
	s_wait_alu 0xfffd
	v_cndmask_b32_e32 v30, 0x10000, v18, vcc_lo
	v_cmp_eq_u32_e32 vcc_lo, 0, v32
	v_and_b32_e32 v27, 0x1000000, v23
	v_dot4_i32_iu8 v5, v25, v7, v5 neg_lo:[1,1,0]
	s_wait_alu 0xfffd
	v_dual_cndmask_b32 v32, 0x1000000, v19 :: v_dual_lshlrev_b32 v25, 8, v26
	v_cmp_eq_u32_e32 vcc_lo, 0, v31
	s_delay_alu instid0(VALU_DEP_2)
	v_or3_b32 v28, v32, v30, v28
	s_wait_alu 0xfffd
	v_cndmask_b32_e64 v31, 1, 0xff, vcc_lo
	v_cmp_eq_u32_e32 vcc_lo, 0, v33
	v_lshrrev_b32_e32 v32, 16, v23
	v_dot4_i32_iu8 v0, v28, v0, v5 neg_lo:[1,1,0]
	s_delay_alu instid0(VALU_DEP_4)
	v_and_or_b32 v31, 0x200, v34, v31
	s_wait_alu 0xfffd
	v_cndmask_b32_e32 v33, 0x10000, v18, vcc_lo
	v_cmp_eq_u32_e32 vcc_lo, 0, v35
	v_and_b32_e32 v35, 0x400000, v23
	v_and_b32_e32 v5, 2.0, v23
	v_add_nc_u32_e32 v31, 0xff00, v31
	s_wait_alu 0xfffd
	v_cndmask_b32_e64 v34, 1, 0xff, vcc_lo
	v_cmp_eq_u32_e32 vcc_lo, 0, v36
	s_delay_alu instid0(VALU_DEP_2) | instskip(SKIP_3) | instid1(VALU_DEP_3)
	v_and_or_b32 v34, 0x200, v37, v34
	s_wait_alu 0xfffd
	v_cndmask_b32_e32 v36, 0x1000000, v19, vcc_lo
	v_cmp_eq_u32_e32 vcc_lo, 0, v35
	v_add_nc_u32_e32 v34, 0xff00, v34
	s_delay_alu instid0(VALU_DEP_3)
	v_or3_b32 v29, v36, v33, v31
	s_wait_alu 0xfffd
	v_cndmask_b32_e32 v35, 0x10000, v18, vcc_lo
	v_cmp_eq_u32_e32 vcc_lo, 0, v38
	v_and_b32_e32 v31, 0x4000000, v23
	v_and_b32_e32 v23, 8, v26
	v_dot4_i32_iu8 v0, v29, v1, v0 neg_lo:[1,1,0]
	s_wait_alu 0xfffd
	v_cndmask_b32_e32 v37, 0x1000000, v19, vcc_lo
	v_cmp_eq_u32_e32 vcc_lo, 0, v27
	s_delay_alu instid0(VALU_DEP_2) | instskip(SKIP_3) | instid1(VALU_DEP_3)
	v_or3_b32 v30, v37, v35, v34
	s_wait_alu 0xfffd
	v_cndmask_b32_e64 v27, 1, 0xff, vcc_lo
	v_cmp_eq_u32_e32 vcc_lo, 0, v31
	v_dot4_i32_iu8 v0, v30, v2, v0 neg_lo:[1,1,0]
	s_delay_alu instid0(VALU_DEP_3)
	v_and_or_b32 v27, 0x200, v32, v27
	s_wait_alu 0xfffd
	v_cndmask_b32_e32 v31, 0x10000, v18, vcc_lo
	v_cmp_eq_u32_e32 vcc_lo, 0, v24
	v_cvt_f32_f16_e32 v2, v21
	v_add_nc_u32_e32 v7, 0xff00, v27
	s_wait_alu 0xfffd
	v_cndmask_b32_e32 v24, 0x1000000, v19, vcc_lo
	v_cmp_eq_u32_e32 vcc_lo, 0, v6
	s_delay_alu instid0(VALU_DEP_2) | instskip(SKIP_3) | instid1(VALU_DEP_3)
	v_or3_b32 v7, v24, v31, v7
	s_wait_alu 0xfffd
	v_cndmask_b32_e64 v6, 1, 0xff, vcc_lo
	v_cmp_eq_u32_e32 vcc_lo, 0, v5
	v_dot4_i32_iu8 v0, v7, v3, v0 neg_lo:[1,1,0]
	s_delay_alu instid0(VALU_DEP_3) | instskip(SKIP_3) | instid1(VALU_DEP_3)
	v_and_or_b32 v6, 0x200, v25, v6
	s_wait_alu 0xfffd
	v_cndmask_b32_e32 v1, 0x10000, v18, vcc_lo
	v_cmp_eq_u32_e32 vcc_lo, 0, v23
	v_add_nc_u32_e32 v6, 0xff00, v6
	s_wait_alu 0xfffd
	v_cndmask_b32_e32 v5, 0x1000000, v19, vcc_lo
	v_cmp_le_u32_e32 vcc_lo, s15, v17
	s_delay_alu instid0(VALU_DEP_2) | instskip(SKIP_2) | instid1(VALU_DEP_1)
	v_or3_b32 v1, v5, v1, v6
	s_or_b32 s13, vcc_lo, s13
	s_wait_loadcnt 0x0
	v_dot4_i32_iu8 v0, v1, v22, v0 neg_lo:[1,1,0]
	v_mul_f32_e32 v1, v2, v4
	s_delay_alu instid0(VALU_DEP_2) | instskip(NEXT) | instid1(VALU_DEP_1)
	v_cvt_f32_i32_e32 v0, v0
	v_fmac_f32_e32 v16, v1, v0
	s_and_not1_b32 exec_lo, exec_lo, s13
	s_cbranch_execz .LBB3_14
.LBB3_12:                               ; =>This Inner Loop Header: Depth=1
	s_wait_alu 0xfffe
	v_add_nc_u32_e32 v24, s5, v17
	s_delay_alu instid0(VALU_DEP_1) | instskip(NEXT) | instid1(VALU_DEP_1)
	v_mad_co_i64_i32 v[21:22], null, v24, 18, s[8:9]
	v_add_co_u32 v25, vcc_lo, v21, v20
	s_wait_alu 0xfffd
	s_delay_alu instid0(VALU_DEP_2)
	v_add_co_ci_u32_e64 v26, null, 0, v22, vcc_lo
	s_clause 0x1
	global_load_b128 v[4:7], v[8:9], off offset:-32
	global_load_b128 v[0:3], v[8:9], off offset:-16
	s_clause 0x1
	global_load_u16 v21, v[21:22], off
	global_load_b32 v23, v[25:26], off offset:2
	global_load_b32 v22, v[8:9], off
	s_and_not1_b32 vcc_lo, exec_lo, s14
	s_wait_loadcnt 0x4
	v_cvt_f32_f16_e32 v4, v4
	s_wait_alu 0xfffe
	s_cbranch_vccnz .LBB3_11
; %bb.13:                               ;   in Loop: Header=BB3_12 Depth=1
	v_mad_co_i64_i32 v[24:25], null, v24, 18, s[16:17]
	s_delay_alu instid0(VALU_DEP_1) | instskip(SKIP_1) | instid1(VALU_DEP_2)
	v_add_co_u32 v26, vcc_lo, v24, v20
	s_wait_alu 0xfffd
	v_add_co_ci_u32_e64 v27, null, 0, v25, vcc_lo
	s_clause 0x1
	global_load_b32 v26, v[26:27], off offset:2
	global_load_u16 v24, v[24:25], off
	s_wait_loadcnt 0x1
	v_and_b32_e32 v25, 1, v26
	v_and_b32_e32 v27, 4, v26
	;; [unrolled: 1-line block ×4, first 2 shown]
	v_ashrrev_i32_e32 v53, 28, v26
	v_cmp_eq_u32_e32 vcc_lo, 0, v25
	v_and_b32_e32 v31, 64, v26
	s_wait_loadcnt 0x0
	v_cvt_f32_f16_e32 v24, v24
	v_lshlrev_b32_e32 v33, 4, v26
	v_and_b32_e32 v34, 0x100, v26
	s_wait_alu 0xfffd
	v_cndmask_b32_e64 v25, 1, 0xff, vcc_lo
	v_cmp_eq_u32_e32 vcc_lo, 0, v27
	v_mul_f32_e32 v24, v4, v24
	v_and_b32_e32 v32, 0x80, v26
	v_and_b32_e32 v35, 0x400, v26
	;; [unrolled: 1-line block ×3, first 2 shown]
	s_wait_alu 0xfffd
	v_cndmask_b32_e32 v27, 0x10000, v18, vcc_lo
	v_cmp_eq_u32_e32 vcc_lo, 0, v28
	v_and_b32_e32 v37, 0x1000, v26
	v_and_b32_e32 v38, 0x4000, v26
	;; [unrolled: 1-line block ×4, first 2 shown]
	s_wait_alu 0xfffd
	v_cndmask_b32_e32 v28, 0x1000000, v19, vcc_lo
	v_cmp_eq_u32_e32 vcc_lo, 0, v30
	v_and_b32_e32 v42, 0x40000, v26
	v_and_b32_e32 v43, 0x80000, v26
	;; [unrolled: 1-line block ×4, first 2 shown]
	s_wait_alu 0xfffd
	v_cndmask_b32_e64 v30, 1, 0xff, vcc_lo
	v_cmp_eq_u32_e32 vcc_lo, 0, v31
	v_and_b32_e32 v47, 0x800000, v26
	v_and_b32_e32 v49, 0x1000000, v26
	v_lshrrev_b32_e32 v40, 4, v26
	v_and_or_b32 v30, 0x200, v33, v30
	s_wait_alu 0xfffd
	v_cndmask_b32_e32 v31, 0x10000, v18, vcc_lo
	v_cmp_eq_u32_e32 vcc_lo, 0, v32
	v_lshrrev_b32_e32 v44, 8, v26
	v_lshrrev_b32_e32 v48, 12, v26
	v_and_b32_e32 v50, 0x4000000, v26
	v_and_b32_e32 v51, 0x8000000, v26
	s_wait_alu 0xfffd
	v_cndmask_b32_e32 v32, 0x1000000, v19, vcc_lo
	v_cmp_eq_u32_e32 vcc_lo, 0, v34
	v_lshrrev_b32_e32 v52, 16, v26
	v_and_b32_e32 v54, 0x10000000, v26
	v_and_b32_e32 v55, 2.0, v26
	v_add_nc_u32_e32 v30, 0xff00, v30
	s_wait_alu 0xfffd
	v_cndmask_b32_e64 v34, 1, 0xff, vcc_lo
	v_cmp_eq_u32_e32 vcc_lo, 0, v35
	s_delay_alu instid0(VALU_DEP_3)
	v_or3_b32 v30, v32, v31, v30
	s_wait_alu 0xfffd
	v_cndmask_b32_e32 v35, 0x10000, v18, vcc_lo
	v_cmp_eq_u32_e32 vcc_lo, 0, v36
	v_lshlrev_b32_e32 v29, 8, v26
	v_and_or_b32 v26, 0x200, v26, v34
	s_wait_alu 0xfffd
	v_cndmask_b32_e32 v36, 0x1000000, v19, vcc_lo
	v_cmp_eq_u32_e32 vcc_lo, 0, v37
	v_and_or_b32 v25, 0x200, v29, v25
	v_add_nc_u32_e32 v26, 0xff00, v26
	s_wait_alu 0xfffd
	v_cndmask_b32_e64 v37, 1, 0xff, vcc_lo
	v_cmp_eq_u32_e32 vcc_lo, 0, v38
	v_add_nc_u32_e32 v25, 0xff00, v25
	v_or3_b32 v26, v36, v35, v26
	s_wait_alu 0xfffd
	v_cndmask_b32_e32 v38, 0x10000, v18, vcc_lo
	v_cmp_eq_u32_e32 vcc_lo, 0, v39
	v_or3_b32 v25, v28, v27, v25
	v_and_or_b32 v28, 0x200, v40, v37
	s_wait_alu 0xfffd
	v_cndmask_b32_e32 v39, 0x1000000, v19, vcc_lo
	v_cmp_eq_u32_e32 vcc_lo, 0, v41
	v_dot4_i32_iu8 v25, v25, v5, 0 neg_lo:[1,1,0]
	v_add_nc_u32_e32 v28, 0xff00, v28
	s_wait_alu 0xfffd
	v_cndmask_b32_e64 v41, 1, 0xff, vcc_lo
	v_cmp_eq_u32_e32 vcc_lo, 0, v42
	v_dot4_i32_iu8 v25, v30, v6, v25 neg_lo:[1,1,0]
	v_or3_b32 v28, v39, v38, v28
	s_delay_alu instid0(VALU_DEP_4)
	v_and_or_b32 v32, 0x200, v44, v41
	s_wait_alu 0xfffd
	v_cndmask_b32_e32 v42, 0x10000, v18, vcc_lo
	v_cmp_eq_u32_e32 vcc_lo, 0, v43
	v_dot4_i32_iu8 v25, v26, v7, v25 neg_lo:[1,1,0]
	v_lshlrev_b32_e32 v26, 8, v53
	v_add_nc_u32_e32 v32, 0xff00, v32
	s_wait_alu 0xfffd
	v_cndmask_b32_e32 v43, 0x1000000, v19, vcc_lo
	v_cmp_eq_u32_e32 vcc_lo, 0, v45
	v_dot4_i32_iu8 v25, v28, v0, v25 neg_lo:[1,1,0]
	v_and_b32_e32 v28, 8, v53
	s_delay_alu instid0(VALU_DEP_4) | instskip(SKIP_3) | instid1(VALU_DEP_3)
	v_or3_b32 v32, v43, v42, v32
	s_wait_alu 0xfffd
	v_cndmask_b32_e64 v45, 1, 0xff, vcc_lo
	v_cmp_eq_u32_e32 vcc_lo, 0, v46
	v_dot4_i32_iu8 v25, v32, v1, v25 neg_lo:[1,1,0]
	s_delay_alu instid0(VALU_DEP_3) | instskip(SKIP_3) | instid1(VALU_DEP_3)
	v_and_or_b32 v30, 0x200, v48, v45
	s_wait_alu 0xfffd
	v_cndmask_b32_e32 v46, 0x10000, v18, vcc_lo
	v_cmp_eq_u32_e32 vcc_lo, 0, v47
	v_add_nc_u32_e32 v30, 0xff00, v30
	s_wait_alu 0xfffd
	v_cndmask_b32_e32 v29, 0x1000000, v19, vcc_lo
	v_cmp_eq_u32_e32 vcc_lo, 0, v49
	s_delay_alu instid0(VALU_DEP_2) | instskip(SKIP_3) | instid1(VALU_DEP_3)
	v_or3_b32 v29, v29, v46, v30
	s_wait_alu 0xfffd
	v_cndmask_b32_e64 v47, 1, 0xff, vcc_lo
	v_cmp_eq_u32_e32 vcc_lo, 0, v50
	v_dot4_i32_iu8 v25, v29, v2, v25 neg_lo:[1,1,0]
	s_delay_alu instid0(VALU_DEP_3) | instskip(SKIP_3) | instid1(VALU_DEP_3)
	v_and_or_b32 v34, 0x200, v52, v47
	s_wait_alu 0xfffd
	v_cndmask_b32_e32 v33, 0x10000, v18, vcc_lo
	v_cmp_eq_u32_e32 vcc_lo, 0, v51
	v_add_nc_u32_e32 v34, 0xff00, v34
	s_wait_alu 0xfffd
	v_cndmask_b32_e32 v27, 0x1000000, v19, vcc_lo
	v_cmp_eq_u32_e32 vcc_lo, 0, v54
	s_delay_alu instid0(VALU_DEP_2) | instskip(SKIP_3) | instid1(VALU_DEP_3)
	v_or3_b32 v27, v27, v33, v34
	s_wait_alu 0xfffd
	v_cndmask_b32_e64 v31, 1, 0xff, vcc_lo
	v_cmp_eq_u32_e32 vcc_lo, 0, v55
	v_dot4_i32_iu8 v25, v27, v3, v25 neg_lo:[1,1,0]
	s_delay_alu instid0(VALU_DEP_3) | instskip(SKIP_3) | instid1(VALU_DEP_3)
	v_and_or_b32 v26, 0x200, v26, v31
	s_wait_alu 0xfffd
	v_cndmask_b32_e32 v30, 0x10000, v18, vcc_lo
	v_cmp_eq_u32_e32 vcc_lo, 0, v28
	v_add_nc_u32_e32 v26, 0xff00, v26
	s_wait_alu 0xfffd
	v_cndmask_b32_e32 v28, 0x1000000, v19, vcc_lo
	s_delay_alu instid0(VALU_DEP_1) | instskip(NEXT) | instid1(VALU_DEP_1)
	v_or3_b32 v26, v28, v30, v26
	v_dot4_i32_iu8 v25, v26, v22, v25 neg_lo:[1,1,0]
	s_delay_alu instid0(VALU_DEP_1) | instskip(NEXT) | instid1(VALU_DEP_1)
	v_cvt_f32_i32_e32 v25, v25
	v_fmac_f32_e32 v15, v24, v25
	s_branch .LBB3_11
.LBB3_14:
	s_or_b32 exec_lo, exec_lo, s13
.LBB3_15:
	s_delay_alu instid0(SALU_CYCLE_1)
	s_or_b32 exec_lo, exec_lo, s18
	s_load_b32 s4, s[0:1], 0x30
	s_wait_loadcnt 0x0
	; wave barrier
	global_inv scope:SCOPE_SE
	s_mov_b32 s5, exec_lo
	v_cmpx_eq_u32_e32 0, v13
	s_cbranch_execz .LBB3_43
; %bb.16:
	v_mbcnt_lo_u32_b32 v1, -1, 0
	s_delay_alu instid0(VALU_DEP_1) | instskip(SKIP_2) | instid1(VALU_DEP_3)
	v_xor_b32_e32 v0, 16, v1
	v_xor_b32_e32 v3, 8, v1
	;; [unrolled: 1-line block ×3, first 2 shown]
	v_cmp_gt_i32_e32 vcc_lo, 32, v0
	s_wait_alu 0xfffd
	v_cndmask_b32_e32 v0, v1, v0, vcc_lo
	v_cmp_gt_i32_e32 vcc_lo, 32, v3
	s_wait_alu 0xfffd
	v_cndmask_b32_e32 v3, v1, v3, vcc_lo
	v_cmp_gt_i32_e32 vcc_lo, 32, v4
	s_delay_alu instid0(VALU_DEP_2)
	v_lshlrev_b32_e32 v3, 2, v3
	v_lshlrev_b32_e32 v0, 2, v0
	s_wait_alu 0xfffd
	v_cndmask_b32_e32 v4, v1, v4, vcc_lo
	ds_bpermute_b32 v2, v0, v16
	s_wait_dscnt 0x0
	v_add_f32_e32 v2, v16, v2
	ds_bpermute_b32 v5, v3, v2
	s_wait_dscnt 0x0
	v_add_f32_e32 v2, v2, v5
	v_xor_b32_e32 v5, 2, v1
	s_delay_alu instid0(VALU_DEP_1) | instskip(SKIP_2) | instid1(VALU_DEP_1)
	v_cmp_gt_i32_e32 vcc_lo, 32, v5
	s_wait_alu 0xfffd
	v_cndmask_b32_e32 v5, v1, v5, vcc_lo
	v_lshlrev_b32_e32 v5, 2, v5
	v_lshlrev_b32_e32 v4, 2, v4
	ds_bpermute_b32 v6, v4, v2
	s_wait_dscnt 0x0
	v_add_f32_e32 v2, v2, v6
	v_xor_b32_e32 v6, 1, v1
	ds_bpermute_b32 v7, v5, v2
	v_cmp_gt_i32_e32 vcc_lo, 32, v6
	s_wait_alu 0xfffd
	v_cndmask_b32_e32 v1, v1, v6, vcc_lo
	v_cmp_ne_u32_e32 vcc_lo, 1, v14
	s_delay_alu instid0(VALU_DEP_2)
	v_lshlrev_b32_e32 v6, 2, v1
	s_wait_dscnt 0x0
	v_add_f32_e32 v1, v2, v7
	ds_bpermute_b32 v2, v6, v1
	s_cbranch_vccnz .LBB3_18
; %bb.17:
	ds_bpermute_b32 v0, v0, v15
	s_wait_dscnt 0x0
	v_add_f32_e32 v0, v15, v0
	ds_bpermute_b32 v3, v3, v0
	s_wait_dscnt 0x0
	v_add_f32_e32 v0, v0, v3
	;; [unrolled: 3-line block ×5, first 2 shown]
.LBB3_18:
	v_cmp_eq_u32_e32 vcc_lo, 0, v10
	s_and_b32 exec_lo, exec_lo, vcc_lo
	s_cbranch_execz .LBB3_43
; %bb.19:
	s_wait_dscnt 0x0
	v_add_f32_e32 v0, v1, v2
	v_cmp_ne_u32_e32 vcc_lo, 1, v14
	s_delay_alu instid0(VALU_DEP_2) | instskip(NEXT) | instid1(VALU_DEP_1)
	v_add_f32_e32 v1, v12, v0
	v_cndmask_b32_e64 v0, v0, v1, s2
	s_cbranch_vccnz .LBB3_42
; %bb.20:
	v_add_f32_e32 v1, v11, v15
	s_wait_kmcnt 0x0
	s_cmp_lt_i32 s4, 2
	s_mov_b32 s2, 0
	s_delay_alu instid0(VALU_DEP_1)
	v_cndmask_b32_e64 v1, v15, v1, s3
	s_cbranch_scc1 .LBB3_25
; %bb.21:
	s_cmp_gt_i32 s4, 2
	s_cbranch_scc0 .LBB3_26
; %bb.22:
	s_cmp_eq_u32 s4, 3
	s_cbranch_scc0 .LBB3_27
; %bb.23:
	v_max_num_f32_e32 v2, v1, v1
	s_mov_b32 s3, 0xc0e00000
	s_delay_alu instid0(VALU_DEP_1) | instskip(NEXT) | instid1(VALU_DEP_1)
	v_min_num_f32_e32 v2, 0x40e00000, v2
	v_mul_f32_e32 v3, 0xbfd9db23, v2
	s_delay_alu instid0(VALU_DEP_1) | instskip(NEXT) | instid1(VALU_DEP_1)
	v_mul_f32_e32 v4, 0x3fb8aa3b, v3
	v_fma_f32 v5, 0x3fb8aa3b, v3, -v4
	v_rndne_f32_e32 v6, v4
	s_delay_alu instid0(VALU_DEP_1) | instskip(NEXT) | instid1(VALU_DEP_1)
	v_dual_fmamk_f32 v5, v3, 0x32a5705f, v5 :: v_dual_sub_f32 v4, v4, v6
	v_add_f32_e32 v4, v4, v5
	v_cvt_i32_f32_e32 v5, v6
	v_cmp_ngt_f32_e32 vcc_lo, 0xc2ce8ed0, v3
	s_delay_alu instid0(VALU_DEP_3) | instskip(NEXT) | instid1(TRANS32_DEP_1)
	v_exp_f32_e32 v4, v4
	v_ldexp_f32 v4, v4, v5
	s_wait_alu 0xfffd
	s_delay_alu instid0(VALU_DEP_1) | instskip(SKIP_2) | instid1(VALU_DEP_2)
	v_cndmask_b32_e32 v4, 0, v4, vcc_lo
	v_cmp_nlt_f32_e32 vcc_lo, 0x42b17218, v3
	s_wait_alu 0xfffd
	v_cndmask_b32_e32 v3, 0x7f800000, v4, vcc_lo
	s_delay_alu instid0(VALU_DEP_1) | instskip(NEXT) | instid1(VALU_DEP_1)
	v_add_f32_e32 v3, 1.0, v3
	v_div_scale_f32 v4, null, v3, v3, v2
	v_div_scale_f32 v7, vcc_lo, v2, v3, v2
	s_delay_alu instid0(VALU_DEP_2) | instskip(NEXT) | instid1(TRANS32_DEP_1)
	v_rcp_f32_e32 v5, v4
	v_fma_f32 v6, -v4, v5, 1.0
	s_delay_alu instid0(VALU_DEP_1) | instskip(NEXT) | instid1(VALU_DEP_1)
	v_fmac_f32_e32 v5, v6, v5
	v_mul_f32_e32 v6, v7, v5
	s_delay_alu instid0(VALU_DEP_1) | instskip(NEXT) | instid1(VALU_DEP_1)
	v_fma_f32 v8, -v4, v6, v7
	v_fmac_f32_e32 v6, v8, v5
	s_delay_alu instid0(VALU_DEP_1) | instskip(SKIP_1) | instid1(VALU_DEP_1)
	v_fma_f32 v4, -v4, v6, v7
	s_wait_alu 0xfffd
	v_div_fmas_f32 v4, v4, v5, v6
	s_delay_alu instid0(VALU_DEP_1) | instskip(SKIP_2) | instid1(VALU_DEP_1)
	v_div_fixup_f32 v2, v4, v3, v2
	v_max_num_f32_e32 v7, v0, v0
	s_wait_alu 0xfffe
	v_minmax_num_f32 v5, v7, 0x40e00000, s3
	s_mov_b32 s3, 0
	s_delay_alu instid0(VALU_DEP_1) | instskip(NEXT) | instid1(VALU_DEP_1)
	v_add_f32_e32 v3, 1.0, v5
	v_mul_f32_e32 v2, v3, v2
	s_branch .LBB3_28
.LBB3_24:
                                        ; implicit-def: $sgpr29
	s_clause 0x1
	s_load_b32 s30, s[0:1], 0x50
	s_load_b32 s28, s[0:1], 0x78
	s_branch .LBB3_2
.LBB3_25:
	s_mov_b32 s3, 0
                                        ; implicit-def: $vgpr2
	s_cbranch_execnz .LBB3_32
	s_branch .LBB3_33
.LBB3_26:
	s_mov_b32 s5, -1
	s_mov_b32 s3, 0
                                        ; implicit-def: $vgpr2
	s_branch .LBB3_29
.LBB3_27:
	s_mov_b32 s3, -1
                                        ; implicit-def: $vgpr2
.LBB3_28:
	s_mov_b32 s5, 0
.LBB3_29:
	s_wait_alu 0xfffe
	s_and_b32 vcc_lo, exec_lo, s5
	s_wait_alu 0xfffe
	s_cbranch_vccz .LBB3_31
; %bb.30:
	v_mul_f32_e32 v2, 0xbfb8aa3b, v1
	v_cmp_nlt_f32_e32 vcc_lo, 0x42ce8ed0, v1
	s_delay_alu instid0(VALU_DEP_2) | instskip(SKIP_1) | instid1(VALU_DEP_2)
	v_rndne_f32_e32 v3, v2
	v_fma_f32 v4, 0xbfb8aa3b, v1, -v2
	v_sub_f32_e32 v2, v2, v3
	s_delay_alu instid0(VALU_DEP_2) | instskip(SKIP_1) | instid1(VALU_DEP_2)
	v_fmamk_f32 v4, v1, 0xb2a5705f, v4
	v_cvt_i32_f32_e32 v3, v3
	v_add_f32_e32 v2, v2, v4
	s_delay_alu instid0(VALU_DEP_1) | instskip(NEXT) | instid1(TRANS32_DEP_1)
	v_exp_f32_e32 v2, v2
	v_ldexp_f32 v2, v2, v3
	s_wait_alu 0xfffd
	s_delay_alu instid0(VALU_DEP_1) | instskip(SKIP_2) | instid1(VALU_DEP_2)
	v_cndmask_b32_e32 v2, 0, v2, vcc_lo
	v_cmp_ngt_f32_e32 vcc_lo, 0xc2b17218, v1
	s_wait_alu 0xfffd
	v_cndmask_b32_e32 v2, 0x7f800000, v2, vcc_lo
	s_delay_alu instid0(VALU_DEP_1) | instskip(NEXT) | instid1(VALU_DEP_1)
	v_add_f32_e32 v2, 1.0, v2
	v_div_scale_f32 v3, null, v2, v2, v1
	s_delay_alu instid0(VALU_DEP_1) | instskip(NEXT) | instid1(TRANS32_DEP_1)
	v_rcp_f32_e32 v4, v3
	v_fma_f32 v5, -v3, v4, 1.0
	s_delay_alu instid0(VALU_DEP_1) | instskip(SKIP_1) | instid1(VALU_DEP_1)
	v_fmac_f32_e32 v4, v5, v4
	v_div_scale_f32 v5, vcc_lo, v1, v2, v1
	v_mul_f32_e32 v6, v5, v4
	s_delay_alu instid0(VALU_DEP_1) | instskip(NEXT) | instid1(VALU_DEP_1)
	v_fma_f32 v7, -v3, v6, v5
	v_fmac_f32_e32 v6, v7, v4
	s_delay_alu instid0(VALU_DEP_1) | instskip(SKIP_1) | instid1(VALU_DEP_1)
	v_fma_f32 v3, -v3, v6, v5
	s_wait_alu 0xfffd
	v_div_fmas_f32 v3, v3, v4, v6
	s_delay_alu instid0(VALU_DEP_1) | instskip(NEXT) | instid1(VALU_DEP_1)
	v_div_fixup_f32 v2, v3, v2, v1
	v_mul_f32_e32 v2, v0, v2
.LBB3_31:
	s_branch .LBB3_33
.LBB3_32:
	s_cmp_lg_u32 s4, 1
	s_mov_b32 s2, -1
	s_cselect_b32 s3, -1, 0
.LBB3_33:
	s_wait_alu 0xfffe
	s_and_not1_b32 vcc_lo, exec_lo, s3
	s_wait_alu 0xfffe
	s_cbranch_vccz .LBB3_35
; %bb.34:
	s_and_not1_b32 vcc_lo, exec_lo, s2
	s_wait_alu 0xfffe
	s_cbranch_vccz .LBB3_36
	s_branch .LBB3_41
.LBB3_35:
	v_mul_f32_e32 v2, v1, v0
	s_cbranch_execnz .LBB3_41
.LBB3_36:
	v_mul_f32_e32 v2, 0x3d372713, v1
	v_mul_f32_e32 v3, 0x3f4c422a, v1
	s_delay_alu instid0(VALU_DEP_2) | instskip(NEXT) | instid1(VALU_DEP_1)
	v_fma_f32 v2, v1, v2, 1.0
	v_mul_f32_e32 v2, v3, v2
                                        ; implicit-def: $vgpr3
	s_delay_alu instid0(VALU_DEP_1)
	v_cmp_ngt_f32_e64 s2, 0x3f200000, |v2|
	s_and_saveexec_b32 s3, s2
	s_wait_alu 0xfffe
	s_xor_b32 s2, exec_lo, s3
	s_cbranch_execz .LBB3_38
; %bb.37:
	v_add_f32_e64 v3, |v2|, |v2|
	s_delay_alu instid0(VALU_DEP_1) | instskip(SKIP_1) | instid1(VALU_DEP_2)
	v_mul_f32_e32 v4, 0x3fb8aa3b, v3
	v_cmp_ngt_f32_e32 vcc_lo, 0xc2ce8ed0, v3
	v_rndne_f32_e32 v5, v4
	v_fma_f32 v6, 0x3fb8aa3b, v3, -v4
	s_delay_alu instid0(VALU_DEP_2) | instskip(NEXT) | instid1(VALU_DEP_2)
	v_sub_f32_e32 v4, v4, v5
	v_fmamk_f32 v6, v3, 0x32a5705f, v6
	v_cvt_i32_f32_e32 v5, v5
	s_delay_alu instid0(VALU_DEP_2) | instskip(NEXT) | instid1(VALU_DEP_1)
	v_add_f32_e32 v4, v4, v6
	v_exp_f32_e32 v4, v4
	s_delay_alu instid0(TRANS32_DEP_1) | instskip(SKIP_1) | instid1(VALU_DEP_1)
	v_ldexp_f32 v4, v4, v5
	s_wait_alu 0xfffd
	v_cndmask_b32_e32 v4, 0, v4, vcc_lo
	v_cmp_nlt_f32_e32 vcc_lo, 0x42b17218, v3
	s_wait_alu 0xfffd
	s_delay_alu instid0(VALU_DEP_2) | instskip(NEXT) | instid1(VALU_DEP_1)
	v_cndmask_b32_e32 v3, 0x7f800000, v4, vcc_lo
	v_add_f32_e32 v3, 1.0, v3
	s_delay_alu instid0(VALU_DEP_1) | instskip(NEXT) | instid1(TRANS32_DEP_1)
	v_rcp_f32_e32 v3, v3
	v_fma_f32 v3, v3, -2.0, 1.0
.LBB3_38:
	s_wait_alu 0xfffe
	s_and_not1_saveexec_b32 s2, s2
	s_cbranch_execz .LBB3_40
; %bb.39:
	v_mul_f32_e32 v3, v2, v2
	s_mov_b32 s3, 0xbbbac73d
	s_wait_alu 0xfffe
	s_delay_alu instid0(VALU_DEP_1) | instskip(NEXT) | instid1(VALU_DEP_1)
	v_fmaak_f32 v4, s3, v3, 0x3ca908c9
	v_fmaak_f32 v4, v3, v4, 0xbd5c1c4e
	s_delay_alu instid0(VALU_DEP_1) | instskip(NEXT) | instid1(VALU_DEP_1)
	v_fmaak_f32 v4, v3, v4, 0x3e088382
	v_fmaak_f32 v4, v3, v4, 0xbeaaaa99
	s_delay_alu instid0(VALU_DEP_1) | instskip(NEXT) | instid1(VALU_DEP_1)
	v_mul_f32_e64 v4, |v2|, v4
	v_fma_f32 v3, v3, v4, |v2|
.LBB3_40:
	s_wait_alu 0xfffe
	s_or_b32 exec_lo, exec_lo, s2
	s_delay_alu instid0(VALU_DEP_1) | instskip(NEXT) | instid1(VALU_DEP_1)
	v_bfi_b32 v2, 0x7fffffff, v3, v2
	v_dual_mul_f32 v1, 0.5, v1 :: v_dual_add_f32 v2, 1.0, v2
	s_delay_alu instid0(VALU_DEP_1) | instskip(NEXT) | instid1(VALU_DEP_1)
	v_mul_f32_e32 v1, v1, v2
	v_mul_f32_e32 v2, v0, v1
.LBB3_41:
	s_delay_alu instid0(VALU_DEP_1)
	v_mov_b32_e32 v0, v2
.LBB3_42:
	s_load_b64 s[0:1], s[0:1], 0x38
	s_mul_i32 s2, s6, s27
	s_wait_kmcnt 0x0
	s_mul_i32 s3, s26, s21
	s_wait_alu 0xfffe
	s_add_co_i32 s2, s2, ttmp9
	v_lshlrev_b32_e32 v1, 2, v10
	s_wait_alu 0xfffe
	s_add_co_i32 s2, s2, s3
	s_mov_b32 s3, 0
	s_wait_alu 0xfffe
	s_lshl_b64 s[2:3], s[2:3], 2
	s_wait_alu 0xfffe
	s_add_nc_u64 s[0:1], s[0:1], s[2:3]
	global_store_b32 v1, v0, s[0:1]
.LBB3_43:
	s_endpgm
	.section	.rodata,"a",@progbits
	.p2align	6, 0x0
	.amdhsa_kernel _ZL13mul_mat_vec_qIL9ggml_type41ELi1ELb1ELb0EEvPKvS2_PKi31ggml_cuda_mm_fusion_args_devicePfj15HIP_vector_typeIjLj3EEjjjS8_jjjS8_jjjj
		.amdhsa_group_segment_fixed_size 0
		.amdhsa_private_segment_fixed_size 0
		.amdhsa_kernarg_size 144
		.amdhsa_user_sgpr_count 2
		.amdhsa_user_sgpr_dispatch_ptr 0
		.amdhsa_user_sgpr_queue_ptr 0
		.amdhsa_user_sgpr_kernarg_segment_ptr 1
		.amdhsa_user_sgpr_dispatch_id 0
		.amdhsa_user_sgpr_private_segment_size 0
		.amdhsa_wavefront_size32 1
		.amdhsa_uses_dynamic_stack 0
		.amdhsa_enable_private_segment 0
		.amdhsa_system_sgpr_workgroup_id_x 1
		.amdhsa_system_sgpr_workgroup_id_y 1
		.amdhsa_system_sgpr_workgroup_id_z 1
		.amdhsa_system_sgpr_workgroup_info 0
		.amdhsa_system_vgpr_workitem_id 1
		.amdhsa_next_free_vgpr 56
		.amdhsa_next_free_sgpr 38
		.amdhsa_reserve_vcc 1
		.amdhsa_float_round_mode_32 0
		.amdhsa_float_round_mode_16_64 0
		.amdhsa_float_denorm_mode_32 3
		.amdhsa_float_denorm_mode_16_64 3
		.amdhsa_fp16_overflow 0
		.amdhsa_workgroup_processor_mode 1
		.amdhsa_memory_ordered 1
		.amdhsa_forward_progress 1
		.amdhsa_inst_pref_size 34
		.amdhsa_round_robin_scheduling 0
		.amdhsa_exception_fp_ieee_invalid_op 0
		.amdhsa_exception_fp_denorm_src 0
		.amdhsa_exception_fp_ieee_div_zero 0
		.amdhsa_exception_fp_ieee_overflow 0
		.amdhsa_exception_fp_ieee_underflow 0
		.amdhsa_exception_fp_ieee_inexact 0
		.amdhsa_exception_int_div_zero 0
	.end_amdhsa_kernel
	.section	.text._ZL13mul_mat_vec_qIL9ggml_type41ELi1ELb1ELb0EEvPKvS2_PKi31ggml_cuda_mm_fusion_args_devicePfj15HIP_vector_typeIjLj3EEjjjS8_jjjS8_jjjj,"axG",@progbits,_ZL13mul_mat_vec_qIL9ggml_type41ELi1ELb1ELb0EEvPKvS2_PKi31ggml_cuda_mm_fusion_args_devicePfj15HIP_vector_typeIjLj3EEjjjS8_jjjS8_jjjj,comdat
.Lfunc_end3:
	.size	_ZL13mul_mat_vec_qIL9ggml_type41ELi1ELb1ELb0EEvPKvS2_PKi31ggml_cuda_mm_fusion_args_devicePfj15HIP_vector_typeIjLj3EEjjjS8_jjjS8_jjjj, .Lfunc_end3-_ZL13mul_mat_vec_qIL9ggml_type41ELi1ELb1ELb0EEvPKvS2_PKi31ggml_cuda_mm_fusion_args_devicePfj15HIP_vector_typeIjLj3EEjjjS8_jjjS8_jjjj
                                        ; -- End function
	.set _ZL13mul_mat_vec_qIL9ggml_type41ELi1ELb1ELb0EEvPKvS2_PKi31ggml_cuda_mm_fusion_args_devicePfj15HIP_vector_typeIjLj3EEjjjS8_jjjS8_jjjj.num_vgpr, 56
	.set _ZL13mul_mat_vec_qIL9ggml_type41ELi1ELb1ELb0EEvPKvS2_PKi31ggml_cuda_mm_fusion_args_devicePfj15HIP_vector_typeIjLj3EEjjjS8_jjjS8_jjjj.num_agpr, 0
	.set _ZL13mul_mat_vec_qIL9ggml_type41ELi1ELb1ELb0EEvPKvS2_PKi31ggml_cuda_mm_fusion_args_devicePfj15HIP_vector_typeIjLj3EEjjjS8_jjjS8_jjjj.numbered_sgpr, 38
	.set _ZL13mul_mat_vec_qIL9ggml_type41ELi1ELb1ELb0EEvPKvS2_PKi31ggml_cuda_mm_fusion_args_devicePfj15HIP_vector_typeIjLj3EEjjjS8_jjjS8_jjjj.num_named_barrier, 0
	.set _ZL13mul_mat_vec_qIL9ggml_type41ELi1ELb1ELb0EEvPKvS2_PKi31ggml_cuda_mm_fusion_args_devicePfj15HIP_vector_typeIjLj3EEjjjS8_jjjS8_jjjj.private_seg_size, 0
	.set _ZL13mul_mat_vec_qIL9ggml_type41ELi1ELb1ELb0EEvPKvS2_PKi31ggml_cuda_mm_fusion_args_devicePfj15HIP_vector_typeIjLj3EEjjjS8_jjjS8_jjjj.uses_vcc, 1
	.set _ZL13mul_mat_vec_qIL9ggml_type41ELi1ELb1ELb0EEvPKvS2_PKi31ggml_cuda_mm_fusion_args_devicePfj15HIP_vector_typeIjLj3EEjjjS8_jjjS8_jjjj.uses_flat_scratch, 0
	.set _ZL13mul_mat_vec_qIL9ggml_type41ELi1ELb1ELb0EEvPKvS2_PKi31ggml_cuda_mm_fusion_args_devicePfj15HIP_vector_typeIjLj3EEjjjS8_jjjS8_jjjj.has_dyn_sized_stack, 0
	.set _ZL13mul_mat_vec_qIL9ggml_type41ELi1ELb1ELb0EEvPKvS2_PKi31ggml_cuda_mm_fusion_args_devicePfj15HIP_vector_typeIjLj3EEjjjS8_jjjS8_jjjj.has_recursion, 0
	.set _ZL13mul_mat_vec_qIL9ggml_type41ELi1ELb1ELb0EEvPKvS2_PKi31ggml_cuda_mm_fusion_args_devicePfj15HIP_vector_typeIjLj3EEjjjS8_jjjS8_jjjj.has_indirect_call, 0
	.section	.AMDGPU.csdata,"",@progbits
; Kernel info:
; codeLenInByte = 4332
; TotalNumSgprs: 40
; NumVgprs: 56
; ScratchSize: 0
; MemoryBound: 0
; FloatMode: 240
; IeeeMode: 1
; LDSByteSize: 0 bytes/workgroup (compile time only)
; SGPRBlocks: 0
; VGPRBlocks: 6
; NumSGPRsForWavesPerEU: 40
; NumVGPRsForWavesPerEU: 56
; Occupancy: 16
; WaveLimiterHint : 0
; COMPUTE_PGM_RSRC2:SCRATCH_EN: 0
; COMPUTE_PGM_RSRC2:USER_SGPR: 2
; COMPUTE_PGM_RSRC2:TRAP_HANDLER: 0
; COMPUTE_PGM_RSRC2:TGID_X_EN: 1
; COMPUTE_PGM_RSRC2:TGID_Y_EN: 1
; COMPUTE_PGM_RSRC2:TGID_Z_EN: 1
; COMPUTE_PGM_RSRC2:TIDIG_COMP_CNT: 1
	.section	.text._ZL13mul_mat_vec_qIL9ggml_type41ELi1ELb0ELb0EEvPKvS2_PKi31ggml_cuda_mm_fusion_args_devicePfj15HIP_vector_typeIjLj3EEjjjS8_jjjS8_jjjj,"axG",@progbits,_ZL13mul_mat_vec_qIL9ggml_type41ELi1ELb0ELb0EEvPKvS2_PKi31ggml_cuda_mm_fusion_args_devicePfj15HIP_vector_typeIjLj3EEjjjS8_jjjS8_jjjj,comdat
	.globl	_ZL13mul_mat_vec_qIL9ggml_type41ELi1ELb0ELb0EEvPKvS2_PKi31ggml_cuda_mm_fusion_args_devicePfj15HIP_vector_typeIjLj3EEjjjS8_jjjS8_jjjj ; -- Begin function _ZL13mul_mat_vec_qIL9ggml_type41ELi1ELb0ELb0EEvPKvS2_PKi31ggml_cuda_mm_fusion_args_devicePfj15HIP_vector_typeIjLj3EEjjjS8_jjjS8_jjjj
	.p2align	8
	.type	_ZL13mul_mat_vec_qIL9ggml_type41ELi1ELb0ELb0EEvPKvS2_PKi31ggml_cuda_mm_fusion_args_devicePfj15HIP_vector_typeIjLj3EEjjjS8_jjjS8_jjjj,@function
_ZL13mul_mat_vec_qIL9ggml_type41ELi1ELb0ELb0EEvPKvS2_PKi31ggml_cuda_mm_fusion_args_devicePfj15HIP_vector_typeIjLj3EEjjjS8_jjjS8_jjjj: ; @_ZL13mul_mat_vec_qIL9ggml_type41ELi1ELb0ELb0EEvPKvS2_PKi31ggml_cuda_mm_fusion_args_devicePfj15HIP_vector_typeIjLj3EEjjjS8_jjjS8_jjjj
; %bb.0:
	s_clause 0x1
	s_load_b64 s[2:3], s[0:1], 0x10
	s_load_b128 s[8:11], s[0:1], 0x40
	s_and_b32 s15, ttmp7, 0xffff
	s_wait_kmcnt 0x0
	s_cmp_lg_u64 s[2:3], 0
	s_cselect_b32 s12, -1, 0
	s_cmp_eq_u64 s[2:3], 0
	s_cbranch_scc1 .LBB4_13
; %bb.1:
	s_lshl_b32 s4, s15, 2
	s_load_b32 s19, s[2:3], s4 offset:0x0
	s_clause 0x1
	s_load_b128 s[4:7], s[0:1], 0x68
	s_load_b32 s20, s[0:1], 0x50
	s_cbranch_execnz .LBB4_3
.LBB4_2:
	s_load_b64 s[2:3], s[0:1], 0x5c
	s_wait_kmcnt 0x0
	s_mul_hi_u32 s2, s2, s15
	s_delay_alu instid0(SALU_CYCLE_1) | instskip(NEXT) | instid1(SALU_CYCLE_1)
	s_add_co_i32 s2, s15, s2
	s_lshr_b32 s19, s2, s3
.LBB4_3:
	s_load_b32 s21, s[0:1], 0x78
	s_and_not1_b32 vcc_lo, exec_lo, s12
	s_mov_b32 s2, s15
	s_cbranch_vccnz .LBB4_5
; %bb.4:
	s_mul_hi_u32 s2, s9, s15
	s_delay_alu instid0(SALU_CYCLE_1) | instskip(NEXT) | instid1(SALU_CYCLE_1)
	s_add_co_i32 s2, s15, s2
	s_lshr_b32 s2, s2, s10
	s_delay_alu instid0(SALU_CYCLE_1) | instskip(NEXT) | instid1(SALU_CYCLE_1)
	s_mul_i32 s2, s2, s11
	s_sub_co_i32 s2, s15, s2
.LBB4_5:
	s_load_b96 s[12:14], s[0:1], 0x80
	v_bfe_u32 v3, v0, 10, 10
	v_and_b32_e32 v2, 0x3ff, v0
	v_mov_b32_e32 v4, 0
	s_lshr_b32 s18, s8, 7
	s_lshr_b32 s16, ttmp7, 16
	s_mov_b32 s17, exec_lo
	v_lshl_or_b32 v0, v3, 5, v2
	s_delay_alu instid0(VALU_DEP_1) | instskip(NEXT) | instid1(VALU_DEP_1)
	v_lshrrev_b32_e32 v5, 2, v0
	v_cmpx_gt_u32_e64 s18, v5
	s_cbranch_execz .LBB4_9
; %bb.6:
	v_lshrrev_b32_e32 v0, 2, v0
	s_wait_kmcnt 0x0
	s_mul_i32 s2, s2, s5
	s_mov_b32 s3, 0
	v_dual_mov_b32 v4, 0 :: v_dual_and_b32 v7, 3, v2
	s_mul_u64 s[8:9], s[2:3], 36
	s_mul_i32 s2, s13, s16
	v_mad_co_u64_u32 v[0:1], null, 0x90, v0, s[8:9]
	s_load_b128 s[8:11], s[0:1], 0x0
	s_mul_i32 s20, s20, ttmp9
	v_mov_b32_e32 v6, 0xff0000
	v_mov_b32_e32 v8, 0xff000000
	s_mul_i32 s4, s19, s4
	v_mad_co_u64_u32 v[0:1], null, s2, 36, v[0:1]
	s_mul_hi_u32 s2, s7, s16
	s_wait_alu 0xfffe
	s_add_co_i32 s2, s16, s2
	s_wait_alu 0xfffe
	s_lshr_b32 s2, s2, s21
	v_mad_co_u64_u32 v[0:1], null, v7, 36, v[0:1]
	s_wait_alu 0xfffe
	s_mul_i32 s2, s2, s12
	v_lshlrev_b32_e32 v7, 2, v7
	s_wait_alu 0xfffe
	s_add_co_i32 s2, s2, s20
	s_wait_alu 0xfffe
	s_add_co_i32 s4, s4, s2
	s_wait_kmcnt 0x0
	v_add_co_u32 v0, vcc_lo, s10, v0
	s_delay_alu instid0(VALU_DEP_1) | instskip(NEXT) | instid1(VALU_DEP_2)
	v_add_co_ci_u32_e64 v1, null, s11, v1, vcc_lo
	v_add_co_u32 v0, vcc_lo, v0, 32
	s_wait_alu 0xfffd
	s_delay_alu instid0(VALU_DEP_2)
	v_add_co_ci_u32_e64 v1, null, 0, v1, vcc_lo
.LBB4_7:                                ; =>This Inner Loop Header: Depth=1
	v_add_nc_u32_e32 v9, s4, v5
	v_add_nc_u32_e32 v5, 8, v5
	s_delay_alu instid0(VALU_DEP_2) | instskip(NEXT) | instid1(VALU_DEP_2)
	v_mad_co_i64_i32 v[9:10], null, v9, 18, s[8:9]
	v_cmp_le_u32_e64 s2, s18, v5
	s_or_b32 s3, s2, s3
	v_add_co_u32 v11, vcc_lo, v9, v7
	s_wait_alu 0xfffd
	v_add_co_ci_u32_e64 v12, null, 0, v10, vcc_lo
	s_clause 0x1
	global_load_u16 v17, v[9:10], off
	global_load_b32 v18, v[11:12], off offset:2
	s_clause 0x2
	global_load_b128 v[9:12], v[0:1], off offset:-32
	global_load_b128 v[13:16], v[0:1], off offset:-16
	global_load_b32 v19, v[0:1], off
	s_wait_loadcnt 0x3
	v_and_b32_e32 v20, 1, v18
	v_and_b32_e32 v21, 4, v18
	;; [unrolled: 1-line block ×5, first 2 shown]
	v_cmp_eq_u32_e32 vcc_lo, 0, v20
	s_wait_loadcnt 0x2
	v_cvt_f32_f16_e32 v9, v9
	v_and_b32_e32 v26, 0x80, v18
	v_and_b32_e32 v28, 0x100, v18
	;; [unrolled: 1-line block ×3, first 2 shown]
	s_wait_alu 0xfffd
	v_cndmask_b32_e64 v20, 1, 0xff, vcc_lo
	v_cmp_eq_u32_e32 vcc_lo, 0, v21
	v_and_b32_e32 v30, 0x800, v18
	v_and_b32_e32 v31, 0x1000, v18
	;; [unrolled: 1-line block ×4, first 2 shown]
	s_wait_alu 0xfffd
	v_cndmask_b32_e32 v21, 0x10000, v6, vcc_lo
	v_cmp_eq_u32_e32 vcc_lo, 0, v22
	v_and_b32_e32 v35, 0x10000, v18
	v_ashrrev_i32_e32 v47, 28, v18
	v_and_b32_e32 v36, 0x40000, v18
	v_and_b32_e32 v37, 0x80000, v18
	s_wait_alu 0xfffd
	v_cndmask_b32_e32 v22, 0x1000000, v8, vcc_lo
	v_cmp_eq_u32_e32 vcc_lo, 0, v24
	v_and_b32_e32 v39, 0x100000, v18
	v_and_b32_e32 v40, 0x400000, v18
	;; [unrolled: 1-line block ×4, first 2 shown]
	s_wait_alu 0xfffd
	v_cndmask_b32_e64 v24, 1, 0xff, vcc_lo
	v_cmp_eq_u32_e32 vcc_lo, 0, v25
	v_and_b32_e32 v44, 0x4000000, v18
	v_and_b32_e32 v45, 0x8000000, v18
	;; [unrolled: 1-line block ×3, first 2 shown]
	v_and_b32_e32 v49, 2.0, v18
	s_wait_alu 0xfffd
	v_cndmask_b32_e32 v25, 0x10000, v6, vcc_lo
	v_cmp_eq_u32_e32 vcc_lo, 0, v26
	v_lshlrev_b32_e32 v23, 8, v18
	v_lshrrev_b32_e32 v34, 4, v18
	v_lshrrev_b32_e32 v38, 8, v18
	v_lshrrev_b32_e32 v42, 12, v18
	s_wait_alu 0xfffd
	v_cndmask_b32_e32 v26, 0x1000000, v8, vcc_lo
	v_cmp_eq_u32_e32 vcc_lo, 0, v28
	v_and_or_b32 v20, 0x200, v23, v20
	v_and_b32_e32 v23, 8, v47
	v_lshrrev_b32_e32 v46, 16, v18
	v_lshlrev_b32_e32 v47, 8, v47
	s_wait_alu 0xfffd
	v_cndmask_b32_e64 v28, 1, 0xff, vcc_lo
	v_cmp_eq_u32_e32 vcc_lo, 0, v29
	v_add_nc_u32_e32 v20, 0xff00, v20
	s_wait_alu 0xfffd
	v_cndmask_b32_e32 v29, 0x10000, v6, vcc_lo
	v_cmp_eq_u32_e32 vcc_lo, 0, v30
	s_delay_alu instid0(VALU_DEP_3) | instskip(SKIP_3) | instid1(VALU_DEP_3)
	v_or3_b32 v20, v22, v21, v20
	s_wait_alu 0xfffd
	v_cndmask_b32_e32 v30, 0x1000000, v8, vcc_lo
	v_cmp_eq_u32_e32 vcc_lo, 0, v31
	v_dot4_i32_iu8 v10, v20, v10, 0 neg_lo:[1,1,0]
	s_wait_alu 0xfffd
	v_cndmask_b32_e64 v31, 1, 0xff, vcc_lo
	v_cmp_eq_u32_e32 vcc_lo, 0, v32
	s_wait_alu 0xfffd
	v_cndmask_b32_e32 v32, 0x10000, v6, vcc_lo
	v_cmp_eq_u32_e32 vcc_lo, 0, v33
	s_wait_alu 0xfffd
	v_cndmask_b32_e32 v33, 0x1000000, v8, vcc_lo
	v_cmp_eq_u32_e32 vcc_lo, 0, v35
	s_wait_alu 0xfffd
	v_cndmask_b32_e64 v35, 1, 0xff, vcc_lo
	v_cmp_eq_u32_e32 vcc_lo, 0, v36
	s_delay_alu instid0(VALU_DEP_2) | instskip(SKIP_3) | instid1(VALU_DEP_3)
	v_and_or_b32 v21, 0x200, v38, v35
	s_wait_alu 0xfffd
	v_cndmask_b32_e32 v36, 0x10000, v6, vcc_lo
	v_cmp_eq_u32_e32 vcc_lo, 0, v37
	v_add_nc_u32_e32 v21, 0xff00, v21
	s_wait_alu 0xfffd
	v_cndmask_b32_e32 v37, 0x1000000, v8, vcc_lo
	v_cmp_eq_u32_e32 vcc_lo, 0, v39
	s_wait_alu 0xfffd
	v_cndmask_b32_e64 v39, 1, 0xff, vcc_lo
	v_cmp_eq_u32_e32 vcc_lo, 0, v40
	s_delay_alu instid0(VALU_DEP_2)
	v_and_or_b32 v20, 0x200, v42, v39
	s_wait_alu 0xfffd
	v_cndmask_b32_e32 v40, 0x10000, v6, vcc_lo
	v_cmp_eq_u32_e32 vcc_lo, 0, v41
	s_wait_alu 0xfffd
	v_cndmask_b32_e32 v41, 0x1000000, v8, vcc_lo
	v_cmp_eq_u32_e32 vcc_lo, 0, v43
	s_wait_alu 0xfffd
	v_cndmask_b32_e64 v43, 1, 0xff, vcc_lo
	v_cmp_eq_u32_e32 vcc_lo, 0, v44
	s_wait_alu 0xfffd
	v_cndmask_b32_e32 v44, 0x10000, v6, vcc_lo
	v_cmp_eq_u32_e32 vcc_lo, 0, v45
	s_wait_alu 0xfffd
	v_cndmask_b32_e32 v45, 0x1000000, v8, vcc_lo
	v_cmp_eq_u32_e32 vcc_lo, 0, v48
	s_wait_alu 0xfffd
	v_cndmask_b32_e64 v48, 1, 0xff, vcc_lo
	v_cmp_eq_u32_e32 vcc_lo, 0, v49
	s_wait_alu 0xfffd
	v_cndmask_b32_e32 v49, 0x10000, v6, vcc_lo
	v_cmp_eq_u32_e32 vcc_lo, 0, v23
	v_lshlrev_b32_e32 v27, 4, v18
	v_and_or_b32 v18, 0x200, v18, v28
	s_delay_alu instid0(VALU_DEP_2) | instskip(SKIP_1) | instid1(VALU_DEP_3)
	v_and_or_b32 v24, 0x200, v27, v24
	v_and_or_b32 v27, 0x200, v34, v31
	v_add_nc_u32_e32 v18, 0xff00, v18
	s_delay_alu instid0(VALU_DEP_3) | instskip(NEXT) | instid1(VALU_DEP_2)
	v_add_nc_u32_e32 v24, 0xff00, v24
	v_or3_b32 v18, v30, v29, v18
	s_delay_alu instid0(VALU_DEP_2) | instskip(SKIP_1) | instid1(VALU_DEP_2)
	v_or3_b32 v22, v26, v25, v24
	v_add_nc_u32_e32 v24, 0xff00, v27
	v_dot4_i32_iu8 v10, v22, v11, v10 neg_lo:[1,1,0]
	s_delay_alu instid0(VALU_DEP_2) | instskip(SKIP_1) | instid1(VALU_DEP_3)
	v_or3_b32 v22, v33, v32, v24
	v_and_or_b32 v11, 0x200, v46, v43
	v_dot4_i32_iu8 v10, v18, v12, v10 neg_lo:[1,1,0]
	v_add_nc_u32_e32 v12, 0xff00, v20
	v_or3_b32 v18, v37, v36, v21
	s_delay_alu instid0(VALU_DEP_4)
	v_add_nc_u32_e32 v11, 0xff00, v11
	s_wait_loadcnt 0x1
	v_dot4_i32_iu8 v10, v22, v13, v10 neg_lo:[1,1,0]
	v_and_or_b32 v13, 0x200, v47, v48
	v_or3_b32 v12, v41, v40, v12
	v_or3_b32 v11, v45, v44, v11
	s_delay_alu instid0(VALU_DEP_4)
	v_dot4_i32_iu8 v10, v18, v14, v10 neg_lo:[1,1,0]
	s_wait_alu 0xfffd
	v_cndmask_b32_e32 v14, 0x1000000, v8, vcc_lo
	v_add_nc_u32_e32 v13, 0xff00, v13
	v_add_co_u32 v0, vcc_lo, 0x480, v0
	v_dot4_i32_iu8 v10, v12, v15, v10 neg_lo:[1,1,0]
	s_wait_alu 0xfffd
	v_add_co_ci_u32_e64 v1, null, 0, v1, vcc_lo
	v_or3_b32 v12, v14, v49, v13
	s_delay_alu instid0(VALU_DEP_3) | instskip(SKIP_2) | instid1(VALU_DEP_2)
	v_dot4_i32_iu8 v10, v11, v16, v10 neg_lo:[1,1,0]
	v_cvt_f32_f16_e32 v11, v17
	s_wait_loadcnt 0x0
	v_dot4_i32_iu8 v10, v12, v19, v10 neg_lo:[1,1,0]
	s_delay_alu instid0(VALU_DEP_2) | instskip(NEXT) | instid1(VALU_DEP_2)
	v_mul_f32_e32 v9, v11, v9
	v_cvt_f32_i32_e32 v10, v10
	s_delay_alu instid0(VALU_DEP_1)
	v_fmac_f32_e32 v4, v9, v10
	s_wait_alu 0xfffe
	s_and_not1_b32 exec_lo, exec_lo, s3
	s_cbranch_execnz .LBB4_7
; %bb.8:
	s_or_b32 exec_lo, exec_lo, s3
.LBB4_9:
	s_delay_alu instid0(SALU_CYCLE_1)
	s_or_b32 exec_lo, exec_lo, s17
	; wave barrier
	global_inv scope:SCOPE_SE
	s_mov_b32 s2, exec_lo
	v_cmpx_eq_u32_e32 0, v3
	s_cbranch_execz .LBB4_12
; %bb.10:
	v_mbcnt_lo_u32_b32 v0, -1, 0
	s_delay_alu instid0(VALU_DEP_1) | instskip(SKIP_1) | instid1(VALU_DEP_2)
	v_xor_b32_e32 v1, 16, v0
	v_xor_b32_e32 v3, 8, v0
	v_cmp_gt_i32_e32 vcc_lo, 32, v1
	s_wait_alu 0xfffd
	v_cndmask_b32_e32 v1, v0, v1, vcc_lo
	s_delay_alu instid0(VALU_DEP_3) | instskip(NEXT) | instid1(VALU_DEP_2)
	v_cmp_gt_i32_e32 vcc_lo, 32, v3
	v_lshlrev_b32_e32 v1, 2, v1
	s_wait_alu 0xfffd
	v_cndmask_b32_e32 v3, v0, v3, vcc_lo
	ds_bpermute_b32 v1, v1, v4
	v_lshlrev_b32_e32 v3, 2, v3
	s_wait_dscnt 0x0
	v_add_f32_e32 v1, v4, v1
	v_xor_b32_e32 v4, 4, v0
	ds_bpermute_b32 v3, v3, v1
	v_cmp_gt_i32_e32 vcc_lo, 32, v4
	s_wait_alu 0xfffd
	v_cndmask_b32_e32 v4, v0, v4, vcc_lo
	s_wait_dscnt 0x0
	s_delay_alu instid0(VALU_DEP_1) | instskip(SKIP_2) | instid1(VALU_DEP_1)
	v_dual_add_f32 v1, v1, v3 :: v_dual_lshlrev_b32 v4, 2, v4
	ds_bpermute_b32 v3, v4, v1
	v_xor_b32_e32 v4, 2, v0
	v_cmp_gt_i32_e32 vcc_lo, 32, v4
	s_wait_alu 0xfffd
	v_cndmask_b32_e32 v4, v0, v4, vcc_lo
	s_wait_dscnt 0x0
	s_delay_alu instid0(VALU_DEP_1) | instskip(SKIP_2) | instid1(VALU_DEP_1)
	v_dual_add_f32 v1, v1, v3 :: v_dual_lshlrev_b32 v4, 2, v4
	ds_bpermute_b32 v3, v4, v1
	v_xor_b32_e32 v4, 1, v0
	v_cmp_gt_i32_e32 vcc_lo, 32, v4
	s_wait_alu 0xfffd
	v_cndmask_b32_e32 v0, v0, v4, vcc_lo
	v_cmp_eq_u32_e32 vcc_lo, 0, v2
	s_delay_alu instid0(VALU_DEP_2)
	v_lshlrev_b32_e32 v4, 2, v0
	s_wait_dscnt 0x0
	v_add_f32_e32 v0, v1, v3
	ds_bpermute_b32 v1, v4, v0
	s_and_b32 exec_lo, exec_lo, vcc_lo
	s_cbranch_execz .LBB4_12
; %bb.11:
	s_load_b64 s[0:1], s[0:1], 0x38
	s_wait_kmcnt 0x0
	s_mul_i32 s2, s6, s15
	s_mul_i32 s3, s14, s16
	s_wait_alu 0xfffe
	s_add_co_i32 s2, s2, ttmp9
	s_wait_dscnt 0x0
	v_dual_add_f32 v0, v0, v1 :: v_dual_mov_b32 v1, 0
	s_wait_alu 0xfffe
	s_add_co_i32 s2, s2, s3
	s_mov_b32 s3, 0
	s_wait_alu 0xfffe
	s_lshl_b64 s[2:3], s[2:3], 2
	s_wait_alu 0xfffe
	s_add_nc_u64 s[0:1], s[0:1], s[2:3]
	global_store_b32 v1, v0, s[0:1]
.LBB4_12:
	s_endpgm
.LBB4_13:
                                        ; implicit-def: $sgpr19
	s_clause 0x1
	s_load_b128 s[4:7], s[0:1], 0x68
	s_load_b32 s20, s[0:1], 0x50
	s_branch .LBB4_2
	.section	.rodata,"a",@progbits
	.p2align	6, 0x0
	.amdhsa_kernel _ZL13mul_mat_vec_qIL9ggml_type41ELi1ELb0ELb0EEvPKvS2_PKi31ggml_cuda_mm_fusion_args_devicePfj15HIP_vector_typeIjLj3EEjjjS8_jjjS8_jjjj
		.amdhsa_group_segment_fixed_size 0
		.amdhsa_private_segment_fixed_size 0
		.amdhsa_kernarg_size 144
		.amdhsa_user_sgpr_count 2
		.amdhsa_user_sgpr_dispatch_ptr 0
		.amdhsa_user_sgpr_queue_ptr 0
		.amdhsa_user_sgpr_kernarg_segment_ptr 1
		.amdhsa_user_sgpr_dispatch_id 0
		.amdhsa_user_sgpr_private_segment_size 0
		.amdhsa_wavefront_size32 1
		.amdhsa_uses_dynamic_stack 0
		.amdhsa_enable_private_segment 0
		.amdhsa_system_sgpr_workgroup_id_x 1
		.amdhsa_system_sgpr_workgroup_id_y 1
		.amdhsa_system_sgpr_workgroup_id_z 1
		.amdhsa_system_sgpr_workgroup_info 0
		.amdhsa_system_vgpr_workitem_id 1
		.amdhsa_next_free_vgpr 50
		.amdhsa_next_free_sgpr 22
		.amdhsa_reserve_vcc 1
		.amdhsa_float_round_mode_32 0
		.amdhsa_float_round_mode_16_64 0
		.amdhsa_float_denorm_mode_32 3
		.amdhsa_float_denorm_mode_16_64 3
		.amdhsa_fp16_overflow 0
		.amdhsa_workgroup_processor_mode 1
		.amdhsa_memory_ordered 1
		.amdhsa_forward_progress 1
		.amdhsa_inst_pref_size 15
		.amdhsa_round_robin_scheduling 0
		.amdhsa_exception_fp_ieee_invalid_op 0
		.amdhsa_exception_fp_denorm_src 0
		.amdhsa_exception_fp_ieee_div_zero 0
		.amdhsa_exception_fp_ieee_overflow 0
		.amdhsa_exception_fp_ieee_underflow 0
		.amdhsa_exception_fp_ieee_inexact 0
		.amdhsa_exception_int_div_zero 0
	.end_amdhsa_kernel
	.section	.text._ZL13mul_mat_vec_qIL9ggml_type41ELi1ELb0ELb0EEvPKvS2_PKi31ggml_cuda_mm_fusion_args_devicePfj15HIP_vector_typeIjLj3EEjjjS8_jjjS8_jjjj,"axG",@progbits,_ZL13mul_mat_vec_qIL9ggml_type41ELi1ELb0ELb0EEvPKvS2_PKi31ggml_cuda_mm_fusion_args_devicePfj15HIP_vector_typeIjLj3EEjjjS8_jjjS8_jjjj,comdat
.Lfunc_end4:
	.size	_ZL13mul_mat_vec_qIL9ggml_type41ELi1ELb0ELb0EEvPKvS2_PKi31ggml_cuda_mm_fusion_args_devicePfj15HIP_vector_typeIjLj3EEjjjS8_jjjS8_jjjj, .Lfunc_end4-_ZL13mul_mat_vec_qIL9ggml_type41ELi1ELb0ELb0EEvPKvS2_PKi31ggml_cuda_mm_fusion_args_devicePfj15HIP_vector_typeIjLj3EEjjjS8_jjjS8_jjjj
                                        ; -- End function
	.set _ZL13mul_mat_vec_qIL9ggml_type41ELi1ELb0ELb0EEvPKvS2_PKi31ggml_cuda_mm_fusion_args_devicePfj15HIP_vector_typeIjLj3EEjjjS8_jjjS8_jjjj.num_vgpr, 50
	.set _ZL13mul_mat_vec_qIL9ggml_type41ELi1ELb0ELb0EEvPKvS2_PKi31ggml_cuda_mm_fusion_args_devicePfj15HIP_vector_typeIjLj3EEjjjS8_jjjS8_jjjj.num_agpr, 0
	.set _ZL13mul_mat_vec_qIL9ggml_type41ELi1ELb0ELb0EEvPKvS2_PKi31ggml_cuda_mm_fusion_args_devicePfj15HIP_vector_typeIjLj3EEjjjS8_jjjS8_jjjj.numbered_sgpr, 22
	.set _ZL13mul_mat_vec_qIL9ggml_type41ELi1ELb0ELb0EEvPKvS2_PKi31ggml_cuda_mm_fusion_args_devicePfj15HIP_vector_typeIjLj3EEjjjS8_jjjS8_jjjj.num_named_barrier, 0
	.set _ZL13mul_mat_vec_qIL9ggml_type41ELi1ELb0ELb0EEvPKvS2_PKi31ggml_cuda_mm_fusion_args_devicePfj15HIP_vector_typeIjLj3EEjjjS8_jjjS8_jjjj.private_seg_size, 0
	.set _ZL13mul_mat_vec_qIL9ggml_type41ELi1ELb0ELb0EEvPKvS2_PKi31ggml_cuda_mm_fusion_args_devicePfj15HIP_vector_typeIjLj3EEjjjS8_jjjS8_jjjj.uses_vcc, 1
	.set _ZL13mul_mat_vec_qIL9ggml_type41ELi1ELb0ELb0EEvPKvS2_PKi31ggml_cuda_mm_fusion_args_devicePfj15HIP_vector_typeIjLj3EEjjjS8_jjjS8_jjjj.uses_flat_scratch, 0
	.set _ZL13mul_mat_vec_qIL9ggml_type41ELi1ELb0ELb0EEvPKvS2_PKi31ggml_cuda_mm_fusion_args_devicePfj15HIP_vector_typeIjLj3EEjjjS8_jjjS8_jjjj.has_dyn_sized_stack, 0
	.set _ZL13mul_mat_vec_qIL9ggml_type41ELi1ELb0ELb0EEvPKvS2_PKi31ggml_cuda_mm_fusion_args_devicePfj15HIP_vector_typeIjLj3EEjjjS8_jjjS8_jjjj.has_recursion, 0
	.set _ZL13mul_mat_vec_qIL9ggml_type41ELi1ELb0ELb0EEvPKvS2_PKi31ggml_cuda_mm_fusion_args_devicePfj15HIP_vector_typeIjLj3EEjjjS8_jjjS8_jjjj.has_indirect_call, 0
	.section	.AMDGPU.csdata,"",@progbits
; Kernel info:
; codeLenInByte = 1912
; TotalNumSgprs: 24
; NumVgprs: 50
; ScratchSize: 0
; MemoryBound: 0
; FloatMode: 240
; IeeeMode: 1
; LDSByteSize: 0 bytes/workgroup (compile time only)
; SGPRBlocks: 0
; VGPRBlocks: 6
; NumSGPRsForWavesPerEU: 24
; NumVGPRsForWavesPerEU: 50
; Occupancy: 16
; WaveLimiterHint : 0
; COMPUTE_PGM_RSRC2:SCRATCH_EN: 0
; COMPUTE_PGM_RSRC2:USER_SGPR: 2
; COMPUTE_PGM_RSRC2:TRAP_HANDLER: 0
; COMPUTE_PGM_RSRC2:TGID_X_EN: 1
; COMPUTE_PGM_RSRC2:TGID_Y_EN: 1
; COMPUTE_PGM_RSRC2:TGID_Z_EN: 1
; COMPUTE_PGM_RSRC2:TIDIG_COMP_CNT: 1
	.section	.text._ZL13mul_mat_vec_qIL9ggml_type41ELi2ELb0ELb0EEvPKvS2_PKi31ggml_cuda_mm_fusion_args_devicePfj15HIP_vector_typeIjLj3EEjjjS8_jjjS8_jjjj,"axG",@progbits,_ZL13mul_mat_vec_qIL9ggml_type41ELi2ELb0ELb0EEvPKvS2_PKi31ggml_cuda_mm_fusion_args_devicePfj15HIP_vector_typeIjLj3EEjjjS8_jjjS8_jjjj,comdat
	.globl	_ZL13mul_mat_vec_qIL9ggml_type41ELi2ELb0ELb0EEvPKvS2_PKi31ggml_cuda_mm_fusion_args_devicePfj15HIP_vector_typeIjLj3EEjjjS8_jjjS8_jjjj ; -- Begin function _ZL13mul_mat_vec_qIL9ggml_type41ELi2ELb0ELb0EEvPKvS2_PKi31ggml_cuda_mm_fusion_args_devicePfj15HIP_vector_typeIjLj3EEjjjS8_jjjS8_jjjj
	.p2align	8
	.type	_ZL13mul_mat_vec_qIL9ggml_type41ELi2ELb0ELb0EEvPKvS2_PKi31ggml_cuda_mm_fusion_args_devicePfj15HIP_vector_typeIjLj3EEjjjS8_jjjS8_jjjj,@function
_ZL13mul_mat_vec_qIL9ggml_type41ELi2ELb0ELb0EEvPKvS2_PKi31ggml_cuda_mm_fusion_args_devicePfj15HIP_vector_typeIjLj3EEjjjS8_jjjS8_jjjj: ; @_ZL13mul_mat_vec_qIL9ggml_type41ELi2ELb0ELb0EEvPKvS2_PKi31ggml_cuda_mm_fusion_args_devicePfj15HIP_vector_typeIjLj3EEjjjS8_jjjS8_jjjj
; %bb.0:
	s_clause 0x5
	s_load_b96 s[16:18], s[0:1], 0x80
	s_load_b32 s2, s[0:1], 0x40
	s_load_b128 s[4:7], s[0:1], 0x50
	s_load_b32 s23, s[0:1], 0x60
	s_load_b128 s[8:11], s[0:1], 0x68
	s_load_b32 s24, s[0:1], 0x78
	v_bfe_u32 v6, v0, 10, 10
	v_dual_mov_b32 v5, 0 :: v_dual_and_b32 v4, 0x3ff, v0
	v_mov_b32_e32 v8, 0
	s_and_b32 s19, ttmp7, 0xffff
	s_lshr_b32 s20, ttmp7, 16
	s_delay_alu instid0(VALU_DEP_2) | instskip(SKIP_1) | instid1(VALU_DEP_1)
	v_lshl_or_b32 v0, v6, 5, v4
	s_mov_b32 s22, exec_lo
	v_lshrrev_b32_e32 v7, 2, v0
	s_wait_kmcnt 0x0
	s_lshr_b32 s21, s2, 7
	s_delay_alu instid0(VALU_DEP_1) | instid1(SALU_CYCLE_1)
	v_cmpx_gt_u32_e64 s21, v7
	s_cbranch_execz .LBB5_4
; %bb.1:
	v_lshl_add_u32 v0, v6, 5, v4
	s_mov_b32 s3, 0
	s_mul_i32 s12, s9, s19
	s_mov_b32 s13, s3
	s_mul_i32 s2, s17, s20
	v_lshrrev_b32_e32 v0, 2, v0
	s_mul_u64 s[26:27], s[12:13], 36
	s_load_b128 s[12:15], s[0:1], 0x0
	v_dual_mov_b32 v5, 0 :: v_dual_and_b32 v2, 3, v4
	s_delay_alu instid0(VALU_DEP_2)
	v_mad_co_u64_u32 v[0:1], null, 0x90, v0, s[26:27]
	s_mul_i32 s9, s4, ttmp9
	s_mul_hi_u32 s4, s7, s19
	s_mul_hi_u32 s7, s11, s20
	v_lshl_add_u32 v9, v7, 2, s5
	s_add_co_i32 s11, s19, s4
	s_mul_u64 s[4:5], s[2:3], 36
	v_mad_co_u64_u32 v[0:1], null, s2, 36, v[0:1]
	s_add_co_i32 s7, s20, s7
	s_lshr_b32 s2, s11, s23
	v_dual_mov_b32 v11, 0xff0000 :: v_dual_lshlrev_b32 v10, 2, v2
	s_lshr_b32 s7, s7, s24
	s_wait_alu 0xfffe
	s_mul_i32 s2, s2, s8
	v_mad_co_u64_u32 v[0:1], null, v2, 36, v[0:1]
	s_wait_kmcnt 0x0
	s_add_nc_u64 s[4:5], s[14:15], s[4:5]
	v_mov_b32_e32 v12, 0xff000000
	s_wait_alu 0xfffe
	s_add_nc_u64 s[4:5], s[4:5], s[26:27]
	s_mul_i32 s7, s7, s16
	s_add_co_i32 s2, s2, s9
	v_add_co_u32 v3, vcc_lo, s14, v0
	s_delay_alu instid0(VALU_DEP_1) | instskip(SKIP_2) | instid1(VALU_DEP_3)
	v_add_co_ci_u32_e64 v8, null, s15, v1, vcc_lo
	s_wait_alu 0xfffe
	v_mad_co_u64_u32 v[0:1], null, v2, 36, s[4:5]
	v_add_co_u32 v2, vcc_lo, v3, 32
	s_wait_alu 0xfffd
	v_add_co_ci_u32_e64 v3, null, 0, v8, vcc_lo
	v_mov_b32_e32 v8, 0
	s_add_co_i32 s4, s7, s2
.LBB5_2:                                ; =>This Inner Loop Header: Depth=1
	s_wait_alu 0xfffe
	v_add_nc_u32_e32 v13, s4, v7
	v_mad_co_u64_u32 v[29:30], null, v9, 36, v[0:1]
	s_delay_alu instid0(VALU_DEP_2) | instskip(NEXT) | instid1(VALU_DEP_1)
	v_mad_co_i64_i32 v[13:14], null, v13, 18, s[12:13]
	v_add_co_u32 v15, vcc_lo, v13, v10
	s_wait_alu 0xfffd
	s_delay_alu instid0(VALU_DEP_2)
	v_add_co_ci_u32_e64 v16, null, 0, v14, vcc_lo
	s_clause 0x1
	global_load_u16 v31, v[13:14], off
	global_load_b32 v32, v[15:16], off offset:2
	global_load_b128 v[13:16], v[2:3], off offset:-32
	global_load_b128 v[17:20], v[29:30], off
	global_load_b128 v[21:24], v[2:3], off offset:-16
	global_load_b128 v[25:28], v[29:30], off offset:16
	global_load_b32 v33, v[2:3], off
	global_load_b32 v29, v[29:30], off offset:32
	s_wait_loadcnt 0x5
	v_cvt_f32_f16_e32 v13, v13
	s_wait_loadcnt 0x4
	v_cvt_f32_f16_e32 v17, v17
	v_and_b32_e32 v30, 1, v32
	v_and_b32_e32 v34, 4, v32
	;; [unrolled: 1-line block ×5, first 2 shown]
	v_cmp_eq_u32_e32 vcc_lo, 0, v30
	v_and_b32_e32 v39, 0x80, v32
	v_and_b32_e32 v41, 0x100, v32
	;; [unrolled: 1-line block ×4, first 2 shown]
	s_wait_alu 0xfffd
	v_cndmask_b32_e64 v30, 1, 0xff, vcc_lo
	v_cmp_eq_u32_e32 vcc_lo, 0, v34
	v_add_nc_u32_e32 v9, 32, v9
	v_and_b32_e32 v44, 0x1000, v32
	v_and_b32_e32 v45, 0x4000, v32
	;; [unrolled: 1-line block ×3, first 2 shown]
	s_wait_alu 0xfffd
	v_cndmask_b32_e32 v34, 0x10000, v11, vcc_lo
	v_cmp_eq_u32_e32 vcc_lo, 0, v35
	v_and_b32_e32 v48, 0x10000, v32
	v_and_b32_e32 v49, 0x40000, v32
	;; [unrolled: 1-line block ×4, first 2 shown]
	s_wait_alu 0xfffd
	v_cndmask_b32_e32 v35, 0x1000000, v12, vcc_lo
	v_cmp_eq_u32_e32 vcc_lo, 0, v37
	v_and_b32_e32 v53, 0x400000, v32
	v_and_b32_e32 v54, 0x800000, v32
	v_lshlrev_b32_e32 v40, 4, v32
	v_and_b32_e32 v56, 0x1000000, v32
	s_wait_alu 0xfffd
	v_cndmask_b32_e64 v37, 1, 0xff, vcc_lo
	v_cmp_eq_u32_e32 vcc_lo, 0, v38
	v_and_b32_e32 v57, 0x4000000, v32
	v_lshrrev_b32_e32 v47, 4, v32
	v_lshrrev_b32_e32 v51, 8, v32
	;; [unrolled: 1-line block ×3, first 2 shown]
	s_wait_alu 0xfffd
	v_cndmask_b32_e32 v38, 0x10000, v11, vcc_lo
	v_cmp_eq_u32_e32 vcc_lo, 0, v39
	v_and_b32_e32 v58, 0x8000000, v32
	v_lshrrev_b32_e32 v59, 16, v32
	v_ashrrev_i32_e32 v60, 28, v32
	v_and_b32_e32 v61, 0x10000000, v32
	s_wait_alu 0xfffd
	v_cndmask_b32_e32 v39, 0x1000000, v12, vcc_lo
	v_cmp_eq_u32_e32 vcc_lo, 0, v41
	v_and_b32_e32 v62, 2.0, v32
	v_and_b32_e32 v63, 8, v60
	v_lshlrev_b32_e32 v60, 8, v60
	s_wait_alu 0xfffd
	v_cndmask_b32_e64 v41, 1, 0xff, vcc_lo
	v_cmp_eq_u32_e32 vcc_lo, 0, v42
	s_wait_alu 0xfffd
	v_cndmask_b32_e32 v42, 0x10000, v11, vcc_lo
	v_cmp_eq_u32_e32 vcc_lo, 0, v43
	s_wait_alu 0xfffd
	v_cndmask_b32_e32 v43, 0x1000000, v12, vcc_lo
	v_cmp_eq_u32_e32 vcc_lo, 0, v44
	s_wait_alu 0xfffd
	v_cndmask_b32_e64 v44, 1, 0xff, vcc_lo
	v_cmp_eq_u32_e32 vcc_lo, 0, v45
	s_wait_alu 0xfffd
	v_cndmask_b32_e32 v45, 0x10000, v11, vcc_lo
	v_cmp_eq_u32_e32 vcc_lo, 0, v46
	s_wait_alu 0xfffd
	v_dual_cndmask_b32 v46, 0x1000000, v12 :: v_dual_add_nc_u32 v7, 8, v7
	v_cmp_eq_u32_e32 vcc_lo, 0, v48
	s_delay_alu instid0(VALU_DEP_2)
	v_cmp_le_u32_e64 s2, s21, v7
	s_wait_alu 0xfffd
	v_cndmask_b32_e64 v48, 1, 0xff, vcc_lo
	v_cmp_eq_u32_e32 vcc_lo, 0, v49
	s_or_b32 s3, s2, s3
	s_wait_alu 0xfffd
	v_cndmask_b32_e32 v49, 0x10000, v11, vcc_lo
	v_cmp_eq_u32_e32 vcc_lo, 0, v50
	s_wait_alu 0xfffd
	v_cndmask_b32_e32 v50, 0x1000000, v12, vcc_lo
	v_cmp_eq_u32_e32 vcc_lo, 0, v52
	s_wait_alu 0xfffd
	v_cndmask_b32_e64 v52, 1, 0xff, vcc_lo
	v_cmp_eq_u32_e32 vcc_lo, 0, v53
	v_lshlrev_b32_e32 v36, 8, v32
	v_and_or_b32 v32, 0x200, v32, v41
	s_delay_alu instid0(VALU_DEP_4)
	v_and_or_b32 v41, 0x200, v55, v52
	s_wait_alu 0xfffd
	v_cndmask_b32_e32 v53, 0x10000, v11, vcc_lo
	v_cmp_eq_u32_e32 vcc_lo, 0, v54
	v_and_or_b32 v30, 0x200, v36, v30
	v_and_or_b32 v36, 0x200, v40, v37
	;; [unrolled: 1-line block ×3, first 2 shown]
	v_add_nc_u32_e32 v32, 0xff00, v32
	s_wait_alu 0xfffd
	v_cndmask_b32_e32 v54, 0x1000000, v12, vcc_lo
	v_cmp_eq_u32_e32 vcc_lo, 0, v56
	v_add_nc_u32_e32 v30, 0xff00, v30
	v_add_nc_u32_e32 v36, 0xff00, v36
	v_and_or_b32 v40, 0x200, v51, v48
	v_or3_b32 v32, v43, v42, v32
	s_wait_alu 0xfffd
	v_cndmask_b32_e64 v56, 1, 0xff, vcc_lo
	v_cmp_eq_u32_e32 vcc_lo, 0, v57
	v_or3_b32 v30, v35, v34, v30
	v_or3_b32 v34, v39, v38, v36
	s_delay_alu instid0(VALU_DEP_4)
	v_and_or_b32 v44, 0x200, v59, v56
	s_wait_alu 0xfffd
	v_cndmask_b32_e32 v57, 0x10000, v11, vcc_lo
	v_cmp_eq_u32_e32 vcc_lo, 0, v58
	v_dot4_i32_iu8 v14, v30, v14, 0 neg_lo:[1,1,0]
	v_dot4_i32_iu8 v18, v30, v18, 0 neg_lo:[1,1,0]
	v_add_nc_u32_e32 v30, 0xff00, v37
	s_wait_alu 0xfffd
	v_cndmask_b32_e32 v58, 0x1000000, v12, vcc_lo
	v_cmp_eq_u32_e32 vcc_lo, 0, v61
	v_dot4_i32_iu8 v14, v34, v15, v14 neg_lo:[1,1,0]
	v_dot4_i32_iu8 v15, v34, v19, v18 neg_lo:[1,1,0]
	v_add_nc_u32_e32 v18, 0xff00, v40
	v_or3_b32 v19, v46, v45, v30
	s_wait_alu 0xfffd
	v_cndmask_b32_e64 v61, 1, 0xff, vcc_lo
	v_cmp_eq_u32_e32 vcc_lo, 0, v62
	v_dot4_i32_iu8 v14, v32, v16, v14 neg_lo:[1,1,0]
	v_dot4_i32_iu8 v15, v32, v20, v15 neg_lo:[1,1,0]
	v_add_nc_u32_e32 v16, 0xff00, v41
	v_or3_b32 v18, v50, v49, v18
	s_wait_alu 0xfffd
	v_cndmask_b32_e32 v62, 0x10000, v11, vcc_lo
	s_wait_loadcnt 0x3
	v_dot4_i32_iu8 v14, v19, v21, v14 neg_lo:[1,1,0]
	s_wait_loadcnt 0x2
	v_dot4_i32_iu8 v15, v19, v25, v15 neg_lo:[1,1,0]
	v_cmp_eq_u32_e32 vcc_lo, 0, v63
	v_and_or_b32 v48, 0x200, v60, v61
	v_add_nc_u32_e32 v19, 0xff00, v44
	v_or3_b32 v16, v54, v53, v16
	v_dot4_i32_iu8 v14, v18, v22, v14 neg_lo:[1,1,0]
	v_dot4_i32_iu8 v15, v18, v26, v15 neg_lo:[1,1,0]
	s_wait_alu 0xfffd
	v_cndmask_b32_e32 v47, 0x1000000, v12, vcc_lo
	v_add_nc_u32_e32 v18, 0xff00, v48
	v_or3_b32 v19, v58, v57, v19
	v_dot4_i32_iu8 v14, v16, v23, v14 neg_lo:[1,1,0]
	v_dot4_i32_iu8 v15, v16, v27, v15 neg_lo:[1,1,0]
	v_add_co_u32 v2, vcc_lo, 0x480, v2
	v_or3_b32 v16, v47, v62, v18
	s_delay_alu instid0(VALU_DEP_4) | instskip(NEXT) | instid1(VALU_DEP_4)
	v_dot4_i32_iu8 v14, v19, v24, v14 neg_lo:[1,1,0]
	v_dot4_i32_iu8 v15, v19, v28, v15 neg_lo:[1,1,0]
	v_cvt_f32_f16_e32 v18, v31
	s_wait_alu 0xfffd
	v_add_co_ci_u32_e64 v3, null, 0, v3, vcc_lo
	s_wait_loadcnt 0x1
	v_dot4_i32_iu8 v14, v16, v33, v14 neg_lo:[1,1,0]
	s_wait_loadcnt 0x0
	v_dot4_i32_iu8 v15, v16, v29, v15 neg_lo:[1,1,0]
	v_mul_f32_e32 v13, v18, v13
	v_mul_f32_e32 v16, v18, v17
	v_cvt_f32_i32_e32 v14, v14
	s_delay_alu instid0(VALU_DEP_4) | instskip(NEXT) | instid1(VALU_DEP_1)
	v_cvt_f32_i32_e32 v15, v15
	v_dual_fmac_f32 v8, v13, v14 :: v_dual_fmac_f32 v5, v16, v15
	s_wait_alu 0xfffe
	s_and_not1_b32 exec_lo, exec_lo, s3
	s_cbranch_execnz .LBB5_2
; %bb.3:
	s_or_b32 exec_lo, exec_lo, s3
.LBB5_4:
	s_delay_alu instid0(SALU_CYCLE_1)
	s_or_b32 exec_lo, exec_lo, s22
	s_mov_b32 s3, 0
	; wave barrier
	global_inv scope:SCOPE_SE
	s_mov_b32 s2, exec_lo
	v_cmpx_eq_u32_e32 0, v6
	s_cbranch_execz .LBB5_9
; %bb.5:
	v_mbcnt_lo_u32_b32 v6, -1, 0
	s_load_b64 s[0:1], s[0:1], 0x38
	s_mul_i32 s2, s10, s19
	s_mul_i32 s4, s18, s20
	s_wait_alu 0xfffe
	s_add_co_i32 s2, s2, ttmp9
	v_xor_b32_e32 v0, 16, v6
	v_xor_b32_e32 v1, 8, v6
	;; [unrolled: 1-line block ×3, first 2 shown]
	s_wait_alu 0xfffe
	s_add_co_i32 s2, s2, s4
	s_wait_alu 0xfffe
	s_lshl_b64 s[2:3], s[2:3], 2
	v_cmp_gt_i32_e32 vcc_lo, 32, v0
	s_wait_alu 0xfffd
	v_cndmask_b32_e32 v0, v6, v0, vcc_lo
	v_cmp_gt_i32_e32 vcc_lo, 32, v1
	s_wait_kmcnt 0x0
	s_wait_alu 0xfffe
	s_add_nc_u64 s[0:1], s[0:1], s[2:3]
	s_wait_alu 0xfffd
	v_cndmask_b32_e32 v1, v6, v1, vcc_lo
	s_delay_alu instid0(VALU_DEP_1)
	v_lshlrev_b32_e32 v1, 2, v1
	v_lshlrev_b32_e32 v0, 2, v0
	ds_bpermute_b32 v2, v0, v8
	s_wait_dscnt 0x0
	v_add_f32_e32 v3, v8, v2
	v_xor_b32_e32 v2, 4, v6
	ds_bpermute_b32 v7, v1, v3
	v_cmp_gt_i32_e32 vcc_lo, 32, v2
	s_wait_dscnt 0x0
	s_wait_alu 0xfffd
	v_dual_cndmask_b32 v2, v6, v2 :: v_dual_add_f32 v7, v3, v7
	s_delay_alu instid0(VALU_DEP_1)
	v_lshlrev_b32_e32 v2, 2, v2
	v_xor_b32_e32 v3, 2, v6
	ds_bpermute_b32 v8, v2, v7
	v_cmp_gt_i32_e32 vcc_lo, 32, v3
	s_wait_alu 0xfffd
	v_cndmask_b32_e32 v3, v6, v3, vcc_lo
	v_cmp_gt_i32_e32 vcc_lo, 32, v9
	s_wait_alu 0xfffd
	v_cndmask_b32_e32 v6, v6, v9, vcc_lo
	v_cmp_eq_u32_e32 vcc_lo, 0, v4
	s_delay_alu instid0(VALU_DEP_2)
	v_lshlrev_b32_e32 v6, 2, v6
	v_lshlrev_b32_e32 v3, 2, v3
	s_wait_dscnt 0x0
	v_add_f32_e32 v7, v7, v8
	ds_bpermute_b32 v8, v3, v7
	s_wait_dscnt 0x0
	v_add_f32_e32 v7, v7, v8
	ds_bpermute_b32 v8, v6, v7
	s_and_saveexec_b32 s2, vcc_lo
	s_cbranch_execz .LBB5_7
; %bb.6:
	s_wait_dscnt 0x0
	v_dual_add_f32 v4, v7, v8 :: v_dual_mov_b32 v7, 0
	global_store_b32 v7, v4, s[0:1]
.LBB5_7:
	s_wait_alu 0xfffe
	s_or_b32 exec_lo, exec_lo, s2
	ds_bpermute_b32 v0, v0, v5
	s_wait_dscnt 0x0
	v_add_f32_e32 v0, v5, v0
	ds_bpermute_b32 v1, v1, v0
	s_wait_dscnt 0x0
	v_add_f32_e32 v0, v0, v1
	;; [unrolled: 3-line block ×4, first 2 shown]
	ds_bpermute_b32 v1, v6, v0
	s_and_b32 exec_lo, exec_lo, vcc_lo
	s_cbranch_execz .LBB5_9
; %bb.8:
	s_mov_b32 s7, 0
	s_wait_dscnt 0x0
	v_dual_add_f32 v0, v0, v1 :: v_dual_mov_b32 v1, 0
	s_lshl_b64 s[2:3], s[6:7], 2
	s_wait_alu 0xfffe
	s_add_nc_u64 s[0:1], s[0:1], s[2:3]
	global_store_b32 v1, v0, s[0:1]
.LBB5_9:
	s_endpgm
	.section	.rodata,"a",@progbits
	.p2align	6, 0x0
	.amdhsa_kernel _ZL13mul_mat_vec_qIL9ggml_type41ELi2ELb0ELb0EEvPKvS2_PKi31ggml_cuda_mm_fusion_args_devicePfj15HIP_vector_typeIjLj3EEjjjS8_jjjS8_jjjj
		.amdhsa_group_segment_fixed_size 0
		.amdhsa_private_segment_fixed_size 0
		.amdhsa_kernarg_size 144
		.amdhsa_user_sgpr_count 2
		.amdhsa_user_sgpr_dispatch_ptr 0
		.amdhsa_user_sgpr_queue_ptr 0
		.amdhsa_user_sgpr_kernarg_segment_ptr 1
		.amdhsa_user_sgpr_dispatch_id 0
		.amdhsa_user_sgpr_private_segment_size 0
		.amdhsa_wavefront_size32 1
		.amdhsa_uses_dynamic_stack 0
		.amdhsa_enable_private_segment 0
		.amdhsa_system_sgpr_workgroup_id_x 1
		.amdhsa_system_sgpr_workgroup_id_y 1
		.amdhsa_system_sgpr_workgroup_id_z 1
		.amdhsa_system_sgpr_workgroup_info 0
		.amdhsa_system_vgpr_workitem_id 1
		.amdhsa_next_free_vgpr 64
		.amdhsa_next_free_sgpr 28
		.amdhsa_reserve_vcc 1
		.amdhsa_float_round_mode_32 0
		.amdhsa_float_round_mode_16_64 0
		.amdhsa_float_denorm_mode_32 3
		.amdhsa_float_denorm_mode_16_64 3
		.amdhsa_fp16_overflow 0
		.amdhsa_workgroup_processor_mode 1
		.amdhsa_memory_ordered 1
		.amdhsa_forward_progress 1
		.amdhsa_inst_pref_size 17
		.amdhsa_round_robin_scheduling 0
		.amdhsa_exception_fp_ieee_invalid_op 0
		.amdhsa_exception_fp_denorm_src 0
		.amdhsa_exception_fp_ieee_div_zero 0
		.amdhsa_exception_fp_ieee_overflow 0
		.amdhsa_exception_fp_ieee_underflow 0
		.amdhsa_exception_fp_ieee_inexact 0
		.amdhsa_exception_int_div_zero 0
	.end_amdhsa_kernel
	.section	.text._ZL13mul_mat_vec_qIL9ggml_type41ELi2ELb0ELb0EEvPKvS2_PKi31ggml_cuda_mm_fusion_args_devicePfj15HIP_vector_typeIjLj3EEjjjS8_jjjS8_jjjj,"axG",@progbits,_ZL13mul_mat_vec_qIL9ggml_type41ELi2ELb0ELb0EEvPKvS2_PKi31ggml_cuda_mm_fusion_args_devicePfj15HIP_vector_typeIjLj3EEjjjS8_jjjS8_jjjj,comdat
.Lfunc_end5:
	.size	_ZL13mul_mat_vec_qIL9ggml_type41ELi2ELb0ELb0EEvPKvS2_PKi31ggml_cuda_mm_fusion_args_devicePfj15HIP_vector_typeIjLj3EEjjjS8_jjjS8_jjjj, .Lfunc_end5-_ZL13mul_mat_vec_qIL9ggml_type41ELi2ELb0ELb0EEvPKvS2_PKi31ggml_cuda_mm_fusion_args_devicePfj15HIP_vector_typeIjLj3EEjjjS8_jjjS8_jjjj
                                        ; -- End function
	.set _ZL13mul_mat_vec_qIL9ggml_type41ELi2ELb0ELb0EEvPKvS2_PKi31ggml_cuda_mm_fusion_args_devicePfj15HIP_vector_typeIjLj3EEjjjS8_jjjS8_jjjj.num_vgpr, 64
	.set _ZL13mul_mat_vec_qIL9ggml_type41ELi2ELb0ELb0EEvPKvS2_PKi31ggml_cuda_mm_fusion_args_devicePfj15HIP_vector_typeIjLj3EEjjjS8_jjjS8_jjjj.num_agpr, 0
	.set _ZL13mul_mat_vec_qIL9ggml_type41ELi2ELb0ELb0EEvPKvS2_PKi31ggml_cuda_mm_fusion_args_devicePfj15HIP_vector_typeIjLj3EEjjjS8_jjjS8_jjjj.numbered_sgpr, 28
	.set _ZL13mul_mat_vec_qIL9ggml_type41ELi2ELb0ELb0EEvPKvS2_PKi31ggml_cuda_mm_fusion_args_devicePfj15HIP_vector_typeIjLj3EEjjjS8_jjjS8_jjjj.num_named_barrier, 0
	.set _ZL13mul_mat_vec_qIL9ggml_type41ELi2ELb0ELb0EEvPKvS2_PKi31ggml_cuda_mm_fusion_args_devicePfj15HIP_vector_typeIjLj3EEjjjS8_jjjS8_jjjj.private_seg_size, 0
	.set _ZL13mul_mat_vec_qIL9ggml_type41ELi2ELb0ELb0EEvPKvS2_PKi31ggml_cuda_mm_fusion_args_devicePfj15HIP_vector_typeIjLj3EEjjjS8_jjjS8_jjjj.uses_vcc, 1
	.set _ZL13mul_mat_vec_qIL9ggml_type41ELi2ELb0ELb0EEvPKvS2_PKi31ggml_cuda_mm_fusion_args_devicePfj15HIP_vector_typeIjLj3EEjjjS8_jjjS8_jjjj.uses_flat_scratch, 0
	.set _ZL13mul_mat_vec_qIL9ggml_type41ELi2ELb0ELb0EEvPKvS2_PKi31ggml_cuda_mm_fusion_args_devicePfj15HIP_vector_typeIjLj3EEjjjS8_jjjS8_jjjj.has_dyn_sized_stack, 0
	.set _ZL13mul_mat_vec_qIL9ggml_type41ELi2ELb0ELb0EEvPKvS2_PKi31ggml_cuda_mm_fusion_args_devicePfj15HIP_vector_typeIjLj3EEjjjS8_jjjS8_jjjj.has_recursion, 0
	.set _ZL13mul_mat_vec_qIL9ggml_type41ELi2ELb0ELb0EEvPKvS2_PKi31ggml_cuda_mm_fusion_args_devicePfj15HIP_vector_typeIjLj3EEjjjS8_jjjS8_jjjj.has_indirect_call, 0
	.section	.AMDGPU.csdata,"",@progbits
; Kernel info:
; codeLenInByte = 2068
; TotalNumSgprs: 30
; NumVgprs: 64
; ScratchSize: 0
; MemoryBound: 0
; FloatMode: 240
; IeeeMode: 1
; LDSByteSize: 0 bytes/workgroup (compile time only)
; SGPRBlocks: 0
; VGPRBlocks: 7
; NumSGPRsForWavesPerEU: 30
; NumVGPRsForWavesPerEU: 64
; Occupancy: 16
; WaveLimiterHint : 0
; COMPUTE_PGM_RSRC2:SCRATCH_EN: 0
; COMPUTE_PGM_RSRC2:USER_SGPR: 2
; COMPUTE_PGM_RSRC2:TRAP_HANDLER: 0
; COMPUTE_PGM_RSRC2:TGID_X_EN: 1
; COMPUTE_PGM_RSRC2:TGID_Y_EN: 1
; COMPUTE_PGM_RSRC2:TGID_Z_EN: 1
; COMPUTE_PGM_RSRC2:TIDIG_COMP_CNT: 1
	.section	.text._ZL13mul_mat_vec_qIL9ggml_type41ELi3ELb0ELb0EEvPKvS2_PKi31ggml_cuda_mm_fusion_args_devicePfj15HIP_vector_typeIjLj3EEjjjS8_jjjS8_jjjj,"axG",@progbits,_ZL13mul_mat_vec_qIL9ggml_type41ELi3ELb0ELb0EEvPKvS2_PKi31ggml_cuda_mm_fusion_args_devicePfj15HIP_vector_typeIjLj3EEjjjS8_jjjS8_jjjj,comdat
	.globl	_ZL13mul_mat_vec_qIL9ggml_type41ELi3ELb0ELb0EEvPKvS2_PKi31ggml_cuda_mm_fusion_args_devicePfj15HIP_vector_typeIjLj3EEjjjS8_jjjS8_jjjj ; -- Begin function _ZL13mul_mat_vec_qIL9ggml_type41ELi3ELb0ELb0EEvPKvS2_PKi31ggml_cuda_mm_fusion_args_devicePfj15HIP_vector_typeIjLj3EEjjjS8_jjjS8_jjjj
	.p2align	8
	.type	_ZL13mul_mat_vec_qIL9ggml_type41ELi3ELb0ELb0EEvPKvS2_PKi31ggml_cuda_mm_fusion_args_devicePfj15HIP_vector_typeIjLj3EEjjjS8_jjjS8_jjjj,@function
_ZL13mul_mat_vec_qIL9ggml_type41ELi3ELb0ELb0EEvPKvS2_PKi31ggml_cuda_mm_fusion_args_devicePfj15HIP_vector_typeIjLj3EEjjjS8_jjjS8_jjjj: ; @_ZL13mul_mat_vec_qIL9ggml_type41ELi3ELb0ELb0EEvPKvS2_PKi31ggml_cuda_mm_fusion_args_devicePfj15HIP_vector_typeIjLj3EEjjjS8_jjjS8_jjjj
; %bb.0:
	s_clause 0x5
	s_load_b96 s[16:18], s[0:1], 0x80
	s_load_b32 s2, s[0:1], 0x40
	s_load_b128 s[4:7], s[0:1], 0x50
	s_load_b32 s23, s[0:1], 0x60
	s_load_b128 s[8:11], s[0:1], 0x68
	s_load_b32 s24, s[0:1], 0x78
	v_bfe_u32 v6, v0, 10, 10
	v_dual_mov_b32 v5, 0 :: v_dual_and_b32 v4, 0x3ff, v0
	v_mov_b32_e32 v7, 0
	v_mov_b32_e32 v9, 0
	s_and_b32 s19, ttmp7, 0xffff
	s_delay_alu instid0(VALU_DEP_3) | instskip(SKIP_2) | instid1(VALU_DEP_1)
	v_lshl_or_b32 v0, v6, 5, v4
	s_lshr_b32 s20, ttmp7, 16
	s_mov_b32 s21, exec_lo
	v_lshrrev_b32_e32 v8, 2, v0
	s_wait_kmcnt 0x0
	s_lshr_b32 s22, s2, 7
	s_delay_alu instid0(VALU_DEP_1) | instid1(SALU_CYCLE_1)
	v_cmpx_gt_u32_e64 s22, v8
	s_cbranch_execz .LBB6_4
; %bb.1:
	v_lshl_add_u32 v0, v6, 5, v4
	s_mov_b32 s3, 0
	s_mul_i32 s12, s9, s19
	s_mov_b32 s13, s3
	s_mul_i32 s2, s17, s20
	v_lshrrev_b32_e32 v0, 2, v0
	s_mul_u64 s[26:27], s[12:13], 36
	s_load_b128 s[12:15], s[0:1], 0x0
	v_dual_mov_b32 v5, 0 :: v_dual_and_b32 v2, 3, v4
	s_delay_alu instid0(VALU_DEP_2)
	v_mad_co_u64_u32 v[0:1], null, 0x90, v0, s[26:27]
	v_dual_mov_b32 v14, 0xff000000 :: v_dual_lshlrev_b32 v3, 2, v8
	s_mul_i32 s9, s4, ttmp9
	s_mul_hi_u32 s4, s7, s19
	s_mul_u64 s[28:29], s[2:3], 36
	s_add_co_i32 s4, s19, s4
	s_delay_alu instid0(VALU_DEP_2)
	v_mad_co_u64_u32 v[0:1], null, s2, 36, v[0:1]
	s_lshr_b32 s2, s4, s23
	v_add_nc_u32_e32 v11, s5, v3
	v_lshl_add_u32 v12, s5, 1, v3
	s_mul_hi_u32 s7, s11, s20
	v_dual_mov_b32 v13, 0xff0000 :: v_dual_lshlrev_b32 v10, 2, v2
	v_mad_co_u64_u32 v[0:1], null, v2, 36, v[0:1]
	s_wait_kmcnt 0x0
	s_add_nc_u64 s[4:5], s[14:15], s[28:29]
	s_add_co_i32 s7, s20, s7
	s_wait_alu 0xfffe
	s_add_nc_u64 s[4:5], s[4:5], s[26:27]
	s_lshr_b32 s7, s7, s24
	s_mul_i32 s2, s2, s8
	v_mov_b32_e32 v9, 0
	v_add_co_u32 v3, vcc_lo, s14, v0
	s_delay_alu instid0(VALU_DEP_1) | instskip(SKIP_2) | instid1(VALU_DEP_3)
	v_add_co_ci_u32_e64 v7, null, s15, v1, vcc_lo
	s_wait_alu 0xfffe
	v_mad_co_u64_u32 v[0:1], null, v2, 36, s[4:5]
	v_add_co_u32 v2, vcc_lo, v3, 16
	s_wait_alu 0xfffd
	v_add_co_ci_u32_e64 v3, null, 0, v7, vcc_lo
	v_mov_b32_e32 v7, 0
	s_mul_i32 s7, s7, s16
	s_add_co_i32 s2, s2, s9
	s_wait_alu 0xfffe
	s_add_co_i32 s4, s7, s2
.LBB6_2:                                ; =>This Inner Loop Header: Depth=1
	s_wait_alu 0xfffe
	v_add_nc_u32_e32 v19, s4, v8
	global_load_b128 v[15:18], v[2:3], off offset:-16
	v_mad_co_u64_u32 v[31:32], null, v11, 36, v[0:1]
	v_mad_co_u64_u32 v[39:40], null, v12, 36, v[0:1]
	v_mad_co_i64_i32 v[23:24], null, v19, 18, s[12:13]
	v_add_nc_u32_e32 v11, 32, v11
	global_load_b128 v[19:22], v[31:32], off
	v_add_co_u32 v25, vcc_lo, v23, v10
	s_wait_alu 0xfffd
	v_add_co_ci_u32_e64 v26, null, 0, v24, vcc_lo
	s_clause 0x1
	global_load_u16 v41, v[23:24], off
	global_load_b32 v42, v[25:26], off offset:2
	s_clause 0x1
	global_load_b128 v[23:26], v[39:40], off
	global_load_b32 v43, v[31:32], off offset:32
	global_load_b128 v[27:30], v[2:3], off
	s_clause 0x2
	global_load_b128 v[31:34], v[31:32], off offset:16
	global_load_b128 v[35:38], v[39:40], off offset:16
	global_load_b32 v39, v[39:40], off offset:32
	global_load_b32 v40, v[2:3], off offset:16
	v_add_co_u32 v2, vcc_lo, 0x480, v2
	s_wait_alu 0xfffd
	v_add_co_ci_u32_e64 v3, null, 0, v3, vcc_lo
	s_wait_loadcnt 0xa
	v_cvt_f32_f16_e32 v15, v15
	s_wait_loadcnt 0x9
	v_cvt_f32_f16_e32 v19, v19
	;; [unrolled: 2-line block ×3, first 2 shown]
	v_add_nc_u32_e32 v8, 8, v8
	s_wait_loadcnt 0x7
	v_and_b32_e32 v45, 4, v42
	v_add_nc_u32_e32 v12, 32, v12
	v_dual_mul_f32 v15, v41, v15 :: v_dual_and_b32 v48, 16, v42
	v_dual_mul_f32 v19, v41, v19 :: v_dual_and_b32 v44, 1, v42
	v_and_b32_e32 v46, 8, v42
	v_and_b32_e32 v49, 64, v42
	;; [unrolled: 1-line block ×3, first 2 shown]
	s_delay_alu instid0(VALU_DEP_4)
	v_cmp_eq_u32_e64 s2, 0, v44
	v_and_b32_e32 v52, 0x100, v42
	v_and_b32_e32 v53, 0x400, v42
	;; [unrolled: 1-line block ×4, first 2 shown]
	s_wait_alu 0xf1ff
	v_cndmask_b32_e64 v44, 1, 0xff, s2
	v_cmp_eq_u32_e64 s2, 0, v45
	v_and_b32_e32 v56, 0x4000, v42
	v_and_b32_e32 v57, 0x8000, v42
	v_and_b32_e32 v59, 0x10000, v42
	v_and_b32_e32 v60, 0x40000, v42
	s_wait_alu 0xf1ff
	v_cndmask_b32_e64 v45, 0x10000, v13, s2
	v_cmp_eq_u32_e64 s2, 0, v46
	v_lshlrev_b32_e32 v47, 8, v42
	v_and_b32_e32 v61, 0x80000, v42
	v_lshlrev_b32_e32 v51, 4, v42
	v_and_b32_e32 v63, 0x100000, v42
	s_wait_alu 0xf1ff
	v_cndmask_b32_e64 v46, 0x1000000, v14, s2
	v_cmp_eq_u32_e64 s2, 0, v48
	v_and_or_b32 v44, 0x200, v47, v44
	v_and_b32_e32 v64, 0x400000, v42
	v_lshrrev_b32_e32 v58, 4, v42
	v_lshrrev_b32_e32 v62, 8, v42
	s_wait_alu 0xf1ff
	v_cndmask_b32_e64 v48, 1, 0xff, s2
	v_cmp_eq_u32_e64 s2, 0, v49
	v_add_nc_u32_e32 v44, 0xff00, v44
	v_and_b32_e32 v65, 0x800000, v42
	v_lshrrev_b32_e32 v66, 12, v42
	v_and_or_b32 v47, 0x200, v51, v48
	s_wait_alu 0xf1ff
	v_cndmask_b32_e64 v49, 0x10000, v13, s2
	v_cmp_eq_u32_e64 s2, 0, v50
	v_and_b32_e32 v67, 0x1000000, v42
	v_and_b32_e32 v68, 0x4000000, v42
	;; [unrolled: 1-line block ×3, first 2 shown]
	v_lshrrev_b32_e32 v70, 16, v42
	s_wait_alu 0xf1ff
	v_cndmask_b32_e64 v50, 0x1000000, v14, s2
	v_cmp_eq_u32_e64 s2, 0, v52
	v_ashrrev_i32_e32 v71, 28, v42
	v_and_b32_e32 v72, 0x10000000, v42
	v_and_b32_e32 v73, 2.0, v42
	v_add_nc_u32_e32 v47, 0xff00, v47
	s_wait_alu 0xf1ff
	v_cndmask_b32_e64 v52, 1, 0xff, s2
	v_cmp_eq_u32_e64 s2, 0, v53
	v_or3_b32 v44, v46, v45, v44
	s_wait_loadcnt 0x6
	v_cvt_f32_f16_e32 v23, v23
	v_or3_b32 v45, v50, v49, v47
	v_and_or_b32 v42, 0x200, v42, v52
	s_wait_alu 0xf1ff
	v_cndmask_b32_e64 v53, 0x10000, v13, s2
	v_cmp_eq_u32_e64 s2, 0, v54
	v_dot4_i32_iu8 v16, v44, v16, 0 neg_lo:[1,1,0]
	v_dot4_i32_iu8 v20, v44, v20, 0 neg_lo:[1,1,0]
	v_add_nc_u32_e32 v42, 0xff00, v42
	v_dot4_i32_iu8 v24, v44, v24, 0 neg_lo:[1,1,0]
	s_wait_alu 0xf1ff
	v_cndmask_b32_e64 v54, 0x1000000, v14, s2
	v_cmp_eq_u32_e64 s2, 0, v55
	v_dot4_i32_iu8 v16, v45, v17, v16 neg_lo:[1,1,0]
	v_dot4_i32_iu8 v17, v45, v21, v20 neg_lo:[1,1,0]
	;; [unrolled: 1-line block ×3, first 2 shown]
	v_or3_b32 v42, v54, v53, v42
	s_wait_alu 0xf1ff
	v_cndmask_b32_e64 v55, 1, 0xff, s2
	v_cmp_eq_u32_e64 s2, 0, v56
	v_cmp_le_u32_e32 vcc_lo, s22, v8
	v_dot4_i32_iu8 v16, v42, v18, v16 neg_lo:[1,1,0]
	s_delay_alu instid0(VALU_DEP_4)
	v_and_or_b32 v48, 0x200, v58, v55
	s_wait_alu 0xf1ff
	v_cndmask_b32_e64 v56, 0x10000, v13, s2
	v_cmp_eq_u32_e64 s2, 0, v57
	v_dot4_i32_iu8 v17, v42, v22, v17 neg_lo:[1,1,0]
	v_dot4_i32_iu8 v18, v42, v26, v20 neg_lo:[1,1,0]
	v_add_nc_u32_e32 v48, 0xff00, v48
	s_or_b32 s3, vcc_lo, s3
	v_cndmask_b32_e64 v57, 0x1000000, v14, s2
	v_cmp_eq_u32_e64 s2, 0, v59
	s_delay_alu instid0(VALU_DEP_2) | instskip(SKIP_1) | instid1(VALU_DEP_2)
	v_or3_b32 v21, v57, v56, v48
	s_wait_alu 0xf1ff
	v_cndmask_b32_e64 v59, 1, 0xff, s2
	v_cmp_eq_u32_e64 s2, 0, v60
	s_wait_loadcnt 0x4
	v_dot4_i32_iu8 v16, v21, v27, v16 neg_lo:[1,1,0]
	s_delay_alu instid0(VALU_DEP_3)
	v_and_or_b32 v51, 0x200, v62, v59
	s_wait_alu 0xf1ff
	v_cndmask_b32_e64 v60, 0x10000, v13, s2
	v_cmp_eq_u32_e64 s2, 0, v61
	s_wait_loadcnt 0x3
	v_dot4_i32_iu8 v17, v21, v31, v17 neg_lo:[1,1,0]
	s_wait_loadcnt 0x2
	v_dot4_i32_iu8 v18, v21, v35, v18 neg_lo:[1,1,0]
	v_add_nc_u32_e32 v51, 0xff00, v51
	s_wait_alu 0xf1ff
	v_cndmask_b32_e64 v61, 0x1000000, v14, s2
	v_cmp_eq_u32_e64 s2, 0, v63
	s_delay_alu instid0(VALU_DEP_2) | instskip(SKIP_1) | instid1(VALU_DEP_2)
	v_or3_b32 v20, v61, v60, v51
	s_wait_alu 0xf1ff
	v_cndmask_b32_e64 v63, 1, 0xff, s2
	v_cmp_eq_u32_e64 s2, 0, v64
	s_delay_alu instid0(VALU_DEP_3) | instskip(NEXT) | instid1(VALU_DEP_3)
	v_dot4_i32_iu8 v16, v20, v28, v16 neg_lo:[1,1,0]
	v_and_or_b32 v52, 0x200, v66, v63
	s_wait_alu 0xf1ff
	s_delay_alu instid0(VALU_DEP_3)
	v_cndmask_b32_e64 v64, 0x10000, v13, s2
	v_cmp_eq_u32_e64 s2, 0, v65
	v_dot4_i32_iu8 v17, v20, v32, v17 neg_lo:[1,1,0]
	v_dot4_i32_iu8 v18, v20, v36, v18 neg_lo:[1,1,0]
	v_add_nc_u32_e32 v52, 0xff00, v52
	s_wait_alu 0xf1ff
	v_cndmask_b32_e64 v65, 0x1000000, v14, s2
	v_cmp_eq_u32_e64 s2, 0, v67
	s_delay_alu instid0(VALU_DEP_2) | instskip(SKIP_1) | instid1(VALU_DEP_2)
	v_or3_b32 v21, v65, v64, v52
	s_wait_alu 0xf1ff
	v_cndmask_b32_e64 v67, 1, 0xff, s2
	v_cmp_eq_u32_e64 s2, 0, v68
	s_delay_alu instid0(VALU_DEP_3) | instskip(NEXT) | instid1(VALU_DEP_3)
	v_dot4_i32_iu8 v16, v21, v29, v16 neg_lo:[1,1,0]
	v_and_or_b32 v55, 0x200, v70, v67
	s_wait_alu 0xf1ff
	s_delay_alu instid0(VALU_DEP_3)
	v_cndmask_b32_e64 v68, 0x10000, v13, s2
	v_cmp_eq_u32_e64 s2, 0, v69
	v_dot4_i32_iu8 v17, v21, v33, v17 neg_lo:[1,1,0]
	v_dot4_i32_iu8 v18, v21, v37, v18 neg_lo:[1,1,0]
	v_add_nc_u32_e32 v55, 0xff00, v55
	s_wait_alu 0xf1ff
	v_cndmask_b32_e64 v69, 0x1000000, v14, s2
	v_cmp_eq_u32_e64 s2, 0, v72
	s_delay_alu instid0(VALU_DEP_2) | instskip(SKIP_1) | instid1(VALU_DEP_2)
	v_or3_b32 v20, v69, v68, v55
	s_wait_alu 0xf1ff
	v_cndmask_b32_e64 v72, 1, 0xff, s2
	v_cmp_eq_u32_e64 s2, 0, v73
	s_delay_alu instid0(VALU_DEP_3)
	v_dot4_i32_iu8 v16, v20, v30, v16 neg_lo:[1,1,0]
	v_dot4_i32_iu8 v17, v20, v34, v17 neg_lo:[1,1,0]
	v_dot4_i32_iu8 v18, v20, v38, v18 neg_lo:[1,1,0]
	v_mul_f32_e32 v20, v41, v23
	v_and_b32_e32 v74, 8, v71
	v_lshlrev_b32_e32 v71, 8, v71
	s_wait_alu 0xf1ff
	v_cndmask_b32_e64 v73, 0x10000, v13, s2
	s_delay_alu instid0(VALU_DEP_3) | instskip(NEXT) | instid1(VALU_DEP_3)
	v_cmp_eq_u32_e64 s2, 0, v74
	v_and_or_b32 v59, 0x200, v71, v72
	s_wait_alu 0xf1ff
	s_delay_alu instid0(VALU_DEP_2) | instskip(NEXT) | instid1(VALU_DEP_2)
	v_cndmask_b32_e64 v58, 0x1000000, v14, s2
	v_add_nc_u32_e32 v59, 0xff00, v59
	s_delay_alu instid0(VALU_DEP_1) | instskip(SKIP_1) | instid1(VALU_DEP_1)
	v_or3_b32 v21, v58, v73, v59
	s_wait_loadcnt 0x0
	v_dot4_i32_iu8 v16, v21, v40, v16 neg_lo:[1,1,0]
	v_dot4_i32_iu8 v17, v21, v43, v17 neg_lo:[1,1,0]
	;; [unrolled: 1-line block ×3, first 2 shown]
	s_delay_alu instid0(VALU_DEP_3) | instskip(NEXT) | instid1(VALU_DEP_3)
	v_cvt_f32_i32_e32 v16, v16
	v_cvt_f32_i32_e32 v17, v17
	s_delay_alu instid0(VALU_DEP_3) | instskip(NEXT) | instid1(VALU_DEP_3)
	v_cvt_f32_i32_e32 v18, v18
	v_fmac_f32_e32 v9, v15, v16
	s_delay_alu instid0(VALU_DEP_3) | instskip(NEXT) | instid1(VALU_DEP_3)
	v_fmac_f32_e32 v7, v19, v17
	v_fmac_f32_e32 v5, v20, v18
	s_wait_alu 0xfffe
	s_and_not1_b32 exec_lo, exec_lo, s3
	s_cbranch_execnz .LBB6_2
; %bb.3:
	s_or_b32 exec_lo, exec_lo, s3
.LBB6_4:
	s_delay_alu instid0(SALU_CYCLE_1)
	s_or_b32 exec_lo, exec_lo, s21
	s_mov_b32 s3, 0
	; wave barrier
	global_inv scope:SCOPE_SE
	s_mov_b32 s2, exec_lo
	v_cmpx_eq_u32_e32 0, v6
	s_cbranch_execz .LBB6_11
; %bb.5:
	v_mbcnt_lo_u32_b32 v6, -1, 0
	s_load_b64 s[0:1], s[0:1], 0x38
	s_mul_i32 s2, s10, s19
	s_mul_i32 s4, s18, s20
	s_wait_alu 0xfffe
	s_add_co_i32 s2, s2, ttmp9
	v_xor_b32_e32 v0, 16, v6
	v_xor_b32_e32 v1, 8, v6
	;; [unrolled: 1-line block ×3, first 2 shown]
	s_wait_alu 0xfffe
	s_add_co_i32 s2, s2, s4
	s_wait_alu 0xfffe
	s_lshl_b64 s[2:3], s[2:3], 2
	v_cmp_gt_i32_e32 vcc_lo, 32, v0
	s_wait_alu 0xfffd
	v_cndmask_b32_e32 v0, v6, v0, vcc_lo
	v_cmp_gt_i32_e32 vcc_lo, 32, v1
	s_wait_kmcnt 0x0
	s_wait_alu 0xfffe
	s_add_nc_u64 s[0:1], s[0:1], s[2:3]
	s_wait_alu 0xfffd
	v_cndmask_b32_e32 v1, v6, v1, vcc_lo
	s_delay_alu instid0(VALU_DEP_1)
	v_lshlrev_b32_e32 v1, 2, v1
	v_lshlrev_b32_e32 v0, 2, v0
	ds_bpermute_b32 v2, v0, v9
	s_wait_dscnt 0x0
	v_add_f32_e32 v3, v9, v2
	v_xor_b32_e32 v2, 4, v6
	ds_bpermute_b32 v8, v1, v3
	v_cmp_gt_i32_e32 vcc_lo, 32, v2
	s_wait_alu 0xfffd
	v_cndmask_b32_e32 v2, v6, v2, vcc_lo
	s_wait_dscnt 0x0
	v_add_f32_e32 v8, v3, v8
	v_xor_b32_e32 v3, 2, v6
	s_delay_alu instid0(VALU_DEP_1) | instskip(SKIP_3) | instid1(VALU_DEP_2)
	v_cmp_gt_i32_e32 vcc_lo, 32, v3
	s_wait_alu 0xfffd
	v_cndmask_b32_e32 v3, v6, v3, vcc_lo
	v_cmp_gt_i32_e32 vcc_lo, 32, v10
	v_lshlrev_b32_e32 v3, 2, v3
	v_lshlrev_b32_e32 v2, 2, v2
	s_wait_alu 0xfffd
	v_cndmask_b32_e32 v6, v6, v10, vcc_lo
	v_cmp_eq_u32_e32 vcc_lo, 0, v4
	ds_bpermute_b32 v9, v2, v8
	v_lshlrev_b32_e32 v6, 2, v6
	s_wait_dscnt 0x0
	v_add_f32_e32 v8, v8, v9
	ds_bpermute_b32 v9, v3, v8
	s_wait_dscnt 0x0
	v_add_f32_e32 v8, v8, v9
	ds_bpermute_b32 v9, v6, v8
	s_and_saveexec_b32 s2, vcc_lo
	s_cbranch_execz .LBB6_7
; %bb.6:
	s_wait_dscnt 0x0
	v_add_f32_e32 v4, v8, v9
	v_mov_b32_e32 v8, 0
	global_store_b32 v8, v4, s[0:1]
.LBB6_7:
	s_wait_alu 0xfffe
	s_or_b32 exec_lo, exec_lo, s2
	ds_bpermute_b32 v4, v0, v7
	s_wait_dscnt 0x0
	v_add_f32_e32 v4, v7, v4
	ds_bpermute_b32 v7, v1, v4
	s_wait_dscnt 0x0
	v_add_f32_e32 v4, v4, v7
	;; [unrolled: 3-line block ×4, first 2 shown]
	ds_bpermute_b32 v7, v6, v4
	s_and_saveexec_b32 s2, vcc_lo
	s_cbranch_execz .LBB6_9
; %bb.8:
	s_mov_b32 s7, 0
	s_wait_dscnt 0x0
	v_dual_add_f32 v4, v4, v7 :: v_dual_mov_b32 v7, 0
	s_lshl_b64 s[4:5], s[6:7], 2
	s_wait_alu 0xfffe
	s_add_nc_u64 s[4:5], s[0:1], s[4:5]
	global_store_b32 v7, v4, s[4:5]
.LBB6_9:
	s_wait_alu 0xfffe
	s_or_b32 exec_lo, exec_lo, s2
	ds_bpermute_b32 v0, v0, v5
	s_wait_dscnt 0x0
	v_add_f32_e32 v0, v5, v0
	ds_bpermute_b32 v1, v1, v0
	s_wait_dscnt 0x0
	v_add_f32_e32 v0, v0, v1
	;; [unrolled: 3-line block ×4, first 2 shown]
	ds_bpermute_b32 v1, v6, v0
	s_and_b32 exec_lo, exec_lo, vcc_lo
	s_cbranch_execz .LBB6_11
; %bb.10:
	s_lshl_b32 s2, s6, 1
	s_mov_b32 s3, 0
	s_wait_dscnt 0x0
	v_dual_add_f32 v0, v0, v1 :: v_dual_mov_b32 v1, 0
	s_wait_alu 0xfffe
	s_lshl_b64 s[2:3], s[2:3], 2
	s_wait_alu 0xfffe
	s_add_nc_u64 s[0:1], s[0:1], s[2:3]
	global_store_b32 v1, v0, s[0:1]
.LBB6_11:
	s_endpgm
	.section	.rodata,"a",@progbits
	.p2align	6, 0x0
	.amdhsa_kernel _ZL13mul_mat_vec_qIL9ggml_type41ELi3ELb0ELb0EEvPKvS2_PKi31ggml_cuda_mm_fusion_args_devicePfj15HIP_vector_typeIjLj3EEjjjS8_jjjS8_jjjj
		.amdhsa_group_segment_fixed_size 0
		.amdhsa_private_segment_fixed_size 0
		.amdhsa_kernarg_size 144
		.amdhsa_user_sgpr_count 2
		.amdhsa_user_sgpr_dispatch_ptr 0
		.amdhsa_user_sgpr_queue_ptr 0
		.amdhsa_user_sgpr_kernarg_segment_ptr 1
		.amdhsa_user_sgpr_dispatch_id 0
		.amdhsa_user_sgpr_private_segment_size 0
		.amdhsa_wavefront_size32 1
		.amdhsa_uses_dynamic_stack 0
		.amdhsa_enable_private_segment 0
		.amdhsa_system_sgpr_workgroup_id_x 1
		.amdhsa_system_sgpr_workgroup_id_y 1
		.amdhsa_system_sgpr_workgroup_id_z 1
		.amdhsa_system_sgpr_workgroup_info 0
		.amdhsa_system_vgpr_workitem_id 1
		.amdhsa_next_free_vgpr 75
		.amdhsa_next_free_sgpr 30
		.amdhsa_reserve_vcc 1
		.amdhsa_float_round_mode_32 0
		.amdhsa_float_round_mode_16_64 0
		.amdhsa_float_denorm_mode_32 3
		.amdhsa_float_denorm_mode_16_64 3
		.amdhsa_fp16_overflow 0
		.amdhsa_workgroup_processor_mode 1
		.amdhsa_memory_ordered 1
		.amdhsa_forward_progress 1
		.amdhsa_inst_pref_size 21
		.amdhsa_round_robin_scheduling 0
		.amdhsa_exception_fp_ieee_invalid_op 0
		.amdhsa_exception_fp_denorm_src 0
		.amdhsa_exception_fp_ieee_div_zero 0
		.amdhsa_exception_fp_ieee_overflow 0
		.amdhsa_exception_fp_ieee_underflow 0
		.amdhsa_exception_fp_ieee_inexact 0
		.amdhsa_exception_int_div_zero 0
	.end_amdhsa_kernel
	.section	.text._ZL13mul_mat_vec_qIL9ggml_type41ELi3ELb0ELb0EEvPKvS2_PKi31ggml_cuda_mm_fusion_args_devicePfj15HIP_vector_typeIjLj3EEjjjS8_jjjS8_jjjj,"axG",@progbits,_ZL13mul_mat_vec_qIL9ggml_type41ELi3ELb0ELb0EEvPKvS2_PKi31ggml_cuda_mm_fusion_args_devicePfj15HIP_vector_typeIjLj3EEjjjS8_jjjS8_jjjj,comdat
.Lfunc_end6:
	.size	_ZL13mul_mat_vec_qIL9ggml_type41ELi3ELb0ELb0EEvPKvS2_PKi31ggml_cuda_mm_fusion_args_devicePfj15HIP_vector_typeIjLj3EEjjjS8_jjjS8_jjjj, .Lfunc_end6-_ZL13mul_mat_vec_qIL9ggml_type41ELi3ELb0ELb0EEvPKvS2_PKi31ggml_cuda_mm_fusion_args_devicePfj15HIP_vector_typeIjLj3EEjjjS8_jjjS8_jjjj
                                        ; -- End function
	.set _ZL13mul_mat_vec_qIL9ggml_type41ELi3ELb0ELb0EEvPKvS2_PKi31ggml_cuda_mm_fusion_args_devicePfj15HIP_vector_typeIjLj3EEjjjS8_jjjS8_jjjj.num_vgpr, 75
	.set _ZL13mul_mat_vec_qIL9ggml_type41ELi3ELb0ELb0EEvPKvS2_PKi31ggml_cuda_mm_fusion_args_devicePfj15HIP_vector_typeIjLj3EEjjjS8_jjjS8_jjjj.num_agpr, 0
	.set _ZL13mul_mat_vec_qIL9ggml_type41ELi3ELb0ELb0EEvPKvS2_PKi31ggml_cuda_mm_fusion_args_devicePfj15HIP_vector_typeIjLj3EEjjjS8_jjjS8_jjjj.numbered_sgpr, 30
	.set _ZL13mul_mat_vec_qIL9ggml_type41ELi3ELb0ELb0EEvPKvS2_PKi31ggml_cuda_mm_fusion_args_devicePfj15HIP_vector_typeIjLj3EEjjjS8_jjjS8_jjjj.num_named_barrier, 0
	.set _ZL13mul_mat_vec_qIL9ggml_type41ELi3ELb0ELb0EEvPKvS2_PKi31ggml_cuda_mm_fusion_args_devicePfj15HIP_vector_typeIjLj3EEjjjS8_jjjS8_jjjj.private_seg_size, 0
	.set _ZL13mul_mat_vec_qIL9ggml_type41ELi3ELb0ELb0EEvPKvS2_PKi31ggml_cuda_mm_fusion_args_devicePfj15HIP_vector_typeIjLj3EEjjjS8_jjjS8_jjjj.uses_vcc, 1
	.set _ZL13mul_mat_vec_qIL9ggml_type41ELi3ELb0ELb0EEvPKvS2_PKi31ggml_cuda_mm_fusion_args_devicePfj15HIP_vector_typeIjLj3EEjjjS8_jjjS8_jjjj.uses_flat_scratch, 0
	.set _ZL13mul_mat_vec_qIL9ggml_type41ELi3ELb0ELb0EEvPKvS2_PKi31ggml_cuda_mm_fusion_args_devicePfj15HIP_vector_typeIjLj3EEjjjS8_jjjS8_jjjj.has_dyn_sized_stack, 0
	.set _ZL13mul_mat_vec_qIL9ggml_type41ELi3ELb0ELb0EEvPKvS2_PKi31ggml_cuda_mm_fusion_args_devicePfj15HIP_vector_typeIjLj3EEjjjS8_jjjS8_jjjj.has_recursion, 0
	.set _ZL13mul_mat_vec_qIL9ggml_type41ELi3ELb0ELb0EEvPKvS2_PKi31ggml_cuda_mm_fusion_args_devicePfj15HIP_vector_typeIjLj3EEjjjS8_jjjS8_jjjj.has_indirect_call, 0
	.section	.AMDGPU.csdata,"",@progbits
; Kernel info:
; codeLenInByte = 2564
; TotalNumSgprs: 32
; NumVgprs: 75
; ScratchSize: 0
; MemoryBound: 0
; FloatMode: 240
; IeeeMode: 1
; LDSByteSize: 0 bytes/workgroup (compile time only)
; SGPRBlocks: 0
; VGPRBlocks: 9
; NumSGPRsForWavesPerEU: 32
; NumVGPRsForWavesPerEU: 75
; Occupancy: 16
; WaveLimiterHint : 0
; COMPUTE_PGM_RSRC2:SCRATCH_EN: 0
; COMPUTE_PGM_RSRC2:USER_SGPR: 2
; COMPUTE_PGM_RSRC2:TRAP_HANDLER: 0
; COMPUTE_PGM_RSRC2:TGID_X_EN: 1
; COMPUTE_PGM_RSRC2:TGID_Y_EN: 1
; COMPUTE_PGM_RSRC2:TGID_Z_EN: 1
; COMPUTE_PGM_RSRC2:TIDIG_COMP_CNT: 1
	.section	.text._ZL13mul_mat_vec_qIL9ggml_type41ELi4ELb0ELb0EEvPKvS2_PKi31ggml_cuda_mm_fusion_args_devicePfj15HIP_vector_typeIjLj3EEjjjS8_jjjS8_jjjj,"axG",@progbits,_ZL13mul_mat_vec_qIL9ggml_type41ELi4ELb0ELb0EEvPKvS2_PKi31ggml_cuda_mm_fusion_args_devicePfj15HIP_vector_typeIjLj3EEjjjS8_jjjS8_jjjj,comdat
	.globl	_ZL13mul_mat_vec_qIL9ggml_type41ELi4ELb0ELb0EEvPKvS2_PKi31ggml_cuda_mm_fusion_args_devicePfj15HIP_vector_typeIjLj3EEjjjS8_jjjS8_jjjj ; -- Begin function _ZL13mul_mat_vec_qIL9ggml_type41ELi4ELb0ELb0EEvPKvS2_PKi31ggml_cuda_mm_fusion_args_devicePfj15HIP_vector_typeIjLj3EEjjjS8_jjjS8_jjjj
	.p2align	8
	.type	_ZL13mul_mat_vec_qIL9ggml_type41ELi4ELb0ELb0EEvPKvS2_PKi31ggml_cuda_mm_fusion_args_devicePfj15HIP_vector_typeIjLj3EEjjjS8_jjjS8_jjjj,@function
_ZL13mul_mat_vec_qIL9ggml_type41ELi4ELb0ELb0EEvPKvS2_PKi31ggml_cuda_mm_fusion_args_devicePfj15HIP_vector_typeIjLj3EEjjjS8_jjjS8_jjjj: ; @_ZL13mul_mat_vec_qIL9ggml_type41ELi4ELb0ELb0EEvPKvS2_PKi31ggml_cuda_mm_fusion_args_devicePfj15HIP_vector_typeIjLj3EEjjjS8_jjjS8_jjjj
; %bb.0:
	s_clause 0x5
	s_load_b96 s[16:18], s[0:1], 0x80
	s_load_b32 s3, s[0:1], 0x40
	s_load_b128 s[4:7], s[0:1], 0x50
	s_load_b32 s2, s[0:1], 0x60
	s_load_b128 s[8:11], s[0:1], 0x68
	s_load_b32 s23, s[0:1], 0x78
	v_bfe_u32 v8, v0, 10, 10
	v_dual_mov_b32 v6, 0 :: v_dual_and_b32 v5, 0x3ff, v0
	v_mov_b32_e32 v7, 0
	v_mov_b32_e32 v9, 0
	;; [unrolled: 1-line block ×3, first 2 shown]
	s_delay_alu instid0(VALU_DEP_4) | instskip(SKIP_3) | instid1(VALU_DEP_1)
	v_lshl_or_b32 v0, v8, 5, v5
	s_and_b32 s19, ttmp7, 0xffff
	s_lshr_b32 s20, ttmp7, 16
	s_mov_b32 s21, exec_lo
	v_lshrrev_b32_e32 v10, 2, v0
	s_wait_kmcnt 0x0
	s_lshr_b32 s22, s3, 7
	s_delay_alu instid0(VALU_DEP_1) | instid1(SALU_CYCLE_1)
	v_cmpx_gt_u32_e64 s22, v10
	s_cbranch_execz .LBB7_4
; %bb.1:
	v_lshl_add_u32 v0, v8, 5, v5
	s_mov_b32 s3, 0
	s_mul_i32 s24, s9, s19
	s_mov_b32 s25, s3
	s_load_b128 s[12:15], s[0:1], 0x0
	v_lshrrev_b32_e32 v0, 2, v0
	s_mul_u64 s[24:25], s[24:25], 36
	s_mul_hi_u32 s7, s7, s19
	v_and_b32_e32 v2, 3, v5
	s_add_co_i32 s7, s19, s7
	v_mad_co_u64_u32 v[0:1], null, 0x90, v0, s[24:25]
	s_lshr_b32 s2, s7, s2
	v_dual_mov_b32 v9, 0 :: v_dual_lshlrev_b32 v4, 2, v10
	s_mul_i32 s7, s2, s8
	s_mul_i32 s2, s17, s20
	s_mul_hi_u32 s8, s11, s20
	v_mad_co_u64_u32 v[0:1], null, s2, 36, v[0:1]
	s_add_co_i32 s11, s20, s8
	s_mul_u64 s[8:9], s[2:3], 36
	v_lshlrev_b32_e32 v12, 2, v2
	s_mul_i32 s4, s4, ttmp9
	s_wait_kmcnt 0x0
	s_add_nc_u64 s[8:9], s[14:15], s[8:9]
	s_lshr_b32 s2, s11, s23
	v_mad_co_u64_u32 v[14:15], null, v2, 36, v[0:1]
	s_add_nc_u64 s[8:9], s[8:9], s[24:25]
	v_dual_mov_b32 v6, 0 :: v_dual_add_nc_u32 v13, s5, v4
	v_mad_co_u64_u32 v[0:1], null, v2, 36, s[8:9]
	v_mad_co_u64_u32 v[2:3], null, s5, 3, v[4:5]
	v_add_co_u32 v3, vcc_lo, s14, v14
	s_delay_alu instid0(VALU_DEP_1) | instskip(SKIP_1) | instid1(VALU_DEP_3)
	v_add_co_ci_u32_e64 v7, null, s15, v15, vcc_lo
	v_lshl_add_u32 v14, s5, 1, v4
	v_add_co_u32 v3, vcc_lo, v3, 16
	s_wait_alu 0xfffd
	s_delay_alu instid0(VALU_DEP_3)
	v_add_co_ci_u32_e64 v4, null, 0, v7, vcc_lo
	v_mov_b32_e32 v15, 0xff0000
	v_dual_mov_b32 v16, 0xff000000 :: v_dual_mov_b32 v11, 0
	v_mov_b32_e32 v7, 0
	s_wait_alu 0xfffe
	s_mul_i32 s2, s2, s16
	s_add_co_i32 s7, s7, s4
	s_wait_alu 0xfffe
	s_add_co_i32 s2, s2, s7
.LBB7_2:                                ; =>This Inner Loop Header: Depth=1
	s_wait_alu 0xfffe
	v_add_nc_u32_e32 v21, s2, v10
	v_mad_co_u64_u32 v[37:38], null, v13, 36, v[0:1]
	v_mad_co_u64_u32 v[49:50], null, v14, 36, v[0:1]
	s_delay_alu instid0(VALU_DEP_3)
	v_mad_co_i64_i32 v[29:30], null, v21, 18, s[12:13]
	v_mad_co_u64_u32 v[51:52], null, v2, 36, v[0:1]
	global_load_b128 v[17:20], v[3:4], off offset:-16
	s_clause 0x1
	global_load_b128 v[21:24], v[37:38], off
	global_load_b128 v[25:28], v[49:50], off
	v_add_co_u32 v31, vcc_lo, v29, v12
	s_wait_alu 0xfffd
	v_add_co_ci_u32_e64 v32, null, 0, v30, vcc_lo
	s_clause 0x1
	global_load_u16 v53, v[29:30], off
	global_load_b32 v54, v[31:32], off offset:2
	s_clause 0x1
	global_load_b128 v[29:32], v[51:52], off
	global_load_b32 v55, v[37:38], off offset:32
	global_load_b128 v[33:36], v[3:4], off
	s_clause 0x3
	global_load_b128 v[37:40], v[37:38], off offset:16
	global_load_b128 v[41:44], v[49:50], off offset:16
	;; [unrolled: 1-line block ×3, first 2 shown]
	global_load_b32 v49, v[49:50], off offset:32
	global_load_b32 v50, v[3:4], off offset:16
	;; [unrolled: 1-line block ×3, first 2 shown]
	v_add_co_u32 v3, vcc_lo, 0x480, v3
	s_wait_alu 0xfffd
	v_add_co_ci_u32_e64 v4, null, 0, v4, vcc_lo
	s_wait_loadcnt 0xd
	v_cvt_f32_f16_e32 v17, v17
	s_wait_loadcnt 0xa
	v_cvt_f32_f16_e32 v52, v53
	s_wait_loadcnt 0x9
	v_and_b32_e32 v53, 1, v54
	v_and_b32_e32 v56, 4, v54
	;; [unrolled: 1-line block ×5, first 2 shown]
	v_cmp_eq_u32_e32 vcc_lo, 0, v53
	v_and_b32_e32 v61, 0x80, v54
	v_and_b32_e32 v63, 0x100, v54
	v_cvt_f32_f16_e32 v25, v25
	v_and_b32_e32 v64, 0x400, v54
	s_wait_alu 0xfffd
	v_cndmask_b32_e64 v53, 1, 0xff, vcc_lo
	v_cmp_eq_u32_e32 vcc_lo, 0, v56
	v_add_nc_u32_e32 v13, 32, v13
	v_cvt_f32_f16_e32 v21, v21
	v_and_b32_e32 v65, 0x800, v54
	v_add_nc_u32_e32 v2, 32, v2
	s_wait_alu 0xfffd
	v_cndmask_b32_e32 v56, 0x10000, v15, vcc_lo
	v_cmp_eq_u32_e32 vcc_lo, 0, v57
	v_dual_mul_f32 v21, v52, v21 :: v_dual_add_nc_u32 v14, 32, v14
	v_and_b32_e32 v66, 0x1000, v54
	v_and_b32_e32 v67, 0x4000, v54
	s_wait_alu 0xfffd
	v_cndmask_b32_e32 v57, 0x1000000, v16, vcc_lo
	v_cmp_eq_u32_e32 vcc_lo, 0, v59
	v_and_b32_e32 v68, 0x8000, v54
	v_and_b32_e32 v70, 0x10000, v54
	;; [unrolled: 1-line block ×4, first 2 shown]
	s_wait_alu 0xfffd
	v_cndmask_b32_e64 v59, 1, 0xff, vcc_lo
	v_cmp_eq_u32_e32 vcc_lo, 0, v60
	v_and_b32_e32 v74, 0x100000, v54
	v_and_b32_e32 v75, 0x400000, v54
	v_ashrrev_i32_e32 v82, 28, v54
	v_and_b32_e32 v76, 0x800000, v54
	s_wait_alu 0xfffd
	v_cndmask_b32_e32 v60, 0x10000, v15, vcc_lo
	v_cmp_eq_u32_e32 vcc_lo, 0, v61
	v_and_b32_e32 v78, 0x1000000, v54
	v_dual_mul_f32 v17, v52, v17 :: v_dual_add_nc_u32 v10, 8, v10
	v_and_b32_e32 v79, 0x4000000, v54
	s_wait_alu 0xfffd
	v_cndmask_b32_e32 v61, 0x1000000, v16, vcc_lo
	v_cmp_eq_u32_e32 vcc_lo, 0, v63
	v_lshrrev_b32_e32 v69, 4, v54
	v_lshrrev_b32_e32 v73, 8, v54
	;; [unrolled: 1-line block ×3, first 2 shown]
	v_and_b32_e32 v80, 0x8000000, v54
	s_wait_alu 0xfffd
	v_cndmask_b32_e64 v63, 1, 0xff, vcc_lo
	v_cmp_eq_u32_e32 vcc_lo, 0, v64
	v_lshrrev_b32_e32 v81, 16, v54
	v_and_b32_e32 v83, 0x10000000, v54
	s_wait_loadcnt 0x8
	v_cvt_f32_f16_e32 v29, v29
	s_wait_alu 0xfffd
	v_dual_cndmask_b32 v64, 0x10000, v15 :: v_dual_and_b32 v85, 8, v82
	v_cmp_eq_u32_e32 vcc_lo, 0, v65
	v_lshlrev_b32_e32 v58, 8, v54
	s_wait_alu 0xfffd
	v_dual_cndmask_b32 v65, 0x1000000, v16 :: v_dual_lshlrev_b32 v82, 8, v82
	v_cmp_eq_u32_e32 vcc_lo, 0, v66
	s_delay_alu instid0(VALU_DEP_3) | instskip(SKIP_3) | instid1(VALU_DEP_3)
	v_and_or_b32 v53, 0x200, v58, v53
	s_wait_alu 0xfffd
	v_cndmask_b32_e64 v66, 1, 0xff, vcc_lo
	v_cmp_eq_u32_e32 vcc_lo, 0, v67
	v_add_nc_u32_e32 v53, 0xff00, v53
	s_wait_alu 0xfffd
	v_cndmask_b32_e32 v67, 0x10000, v15, vcc_lo
	v_cmp_eq_u32_e32 vcc_lo, 0, v68
	s_delay_alu instid0(VALU_DEP_3) | instskip(SKIP_3) | instid1(VALU_DEP_3)
	v_or3_b32 v53, v57, v56, v53
	s_wait_alu 0xfffd
	v_cndmask_b32_e32 v68, 0x1000000, v16, vcc_lo
	v_cmp_eq_u32_e32 vcc_lo, 0, v70
	v_dot4_i32_iu8 v18, v53, v18, 0 neg_lo:[1,1,0]
	v_dot4_i32_iu8 v22, v53, v22, 0 neg_lo:[1,1,0]
	;; [unrolled: 1-line block ×4, first 2 shown]
	s_wait_alu 0xfffd
	v_cndmask_b32_e64 v70, 1, 0xff, vcc_lo
	v_cmp_eq_u32_e32 vcc_lo, 0, v71
	s_wait_alu 0xfffd
	v_dual_cndmask_b32 v71, 0x10000, v15 :: v_dual_lshlrev_b32 v62, 4, v54
	v_cmp_eq_u32_e32 vcc_lo, 0, v72
	s_delay_alu instid0(VALU_DEP_2)
	v_and_or_b32 v58, 0x200, v62, v59
	v_and_or_b32 v59, 0x200, v69, v66
	;; [unrolled: 1-line block ×3, first 2 shown]
	s_wait_alu 0xfffd
	v_cndmask_b32_e32 v72, 0x1000000, v16, vcc_lo
	v_cmp_eq_u32_e32 vcc_lo, 0, v74
	v_add_nc_u32_e32 v58, 0xff00, v58
	v_add_nc_u32_e32 v59, 0xff00, v59
	;; [unrolled: 1-line block ×3, first 2 shown]
	s_wait_alu 0xfffd
	v_cndmask_b32_e64 v74, 1, 0xff, vcc_lo
	v_cmp_eq_u32_e32 vcc_lo, 0, v75
	v_or3_b32 v56, v61, v60, v58
	s_wait_alu 0xfffd
	v_cndmask_b32_e32 v75, 0x10000, v15, vcc_lo
	v_cmp_eq_u32_e32 vcc_lo, 0, v76
	s_delay_alu instid0(VALU_DEP_3)
	v_dot4_i32_iu8 v18, v56, v19, v18 neg_lo:[1,1,0]
	v_dot4_i32_iu8 v19, v56, v23, v22 neg_lo:[1,1,0]
	;; [unrolled: 1-line block ×4, first 2 shown]
	s_wait_alu 0xfffd
	v_cndmask_b32_e32 v76, 0x1000000, v16, vcc_lo
	v_cmp_eq_u32_e32 vcc_lo, 0, v78
	v_or3_b32 v26, v68, v67, v59
	s_wait_alu 0xfffd
	v_cndmask_b32_e64 v78, 1, 0xff, vcc_lo
	v_cmp_eq_u32_e32 vcc_lo, 0, v79
	v_and_b32_e32 v84, 2.0, v54
	v_and_or_b32 v54, 0x200, v54, v63
	v_and_or_b32 v63, 0x200, v77, v74
	v_and_or_b32 v66, 0x200, v81, v78
	s_wait_alu 0xfffd
	v_cndmask_b32_e32 v79, 0x10000, v15, vcc_lo
	v_cmp_eq_u32_e32 vcc_lo, 0, v80
	v_add_nc_u32_e32 v54, 0xff00, v54
	v_add_nc_u32_e32 v63, 0xff00, v63
	;; [unrolled: 1-line block ×3, first 2 shown]
	s_wait_alu 0xfffd
	v_cndmask_b32_e32 v80, 0x1000000, v16, vcc_lo
	v_or3_b32 v53, v65, v64, v54
	v_cmp_eq_u32_e32 vcc_lo, 0, v83
	s_delay_alu instid0(VALU_DEP_2)
	v_dot4_i32_iu8 v18, v53, v20, v18 neg_lo:[1,1,0]
	v_dot4_i32_iu8 v19, v53, v24, v19 neg_lo:[1,1,0]
	;; [unrolled: 1-line block ×4, first 2 shown]
	s_wait_alu 0xfffd
	v_cndmask_b32_e64 v83, 1, 0xff, vcc_lo
	v_cmp_eq_u32_e32 vcc_lo, 0, v84
	v_or3_b32 v23, v72, v71, v62
	s_wait_loadcnt 0x6
	v_dot4_i32_iu8 v18, v26, v33, v18 neg_lo:[1,1,0]
	s_wait_loadcnt 0x5
	v_dot4_i32_iu8 v19, v26, v37, v19 neg_lo:[1,1,0]
	;; [unrolled: 2-line block ×4, first 2 shown]
	s_wait_alu 0xfffd
	v_cndmask_b32_e32 v84, 0x10000, v15, vcc_lo
	v_cmp_eq_u32_e32 vcc_lo, 0, v85
	v_and_or_b32 v70, 0x200, v82, v83
	v_or3_b32 v24, v76, v75, v63
	v_dot4_i32_iu8 v18, v23, v34, v18 neg_lo:[1,1,0]
	v_dot4_i32_iu8 v19, v23, v38, v19 neg_lo:[1,1,0]
	;; [unrolled: 1-line block ×4, first 2 shown]
	s_wait_alu 0xfffd
	v_cndmask_b32_e32 v69, 0x1000000, v16, vcc_lo
	v_add_nc_u32_e32 v70, 0xff00, v70
	v_or3_b32 v23, v80, v79, v66
	v_dot4_i32_iu8 v18, v24, v35, v18 neg_lo:[1,1,0]
	v_dot4_i32_iu8 v19, v24, v39, v19 neg_lo:[1,1,0]
	;; [unrolled: 1-line block ×4, first 2 shown]
	v_or3_b32 v24, v69, v84, v70
	v_dot4_i32_iu8 v18, v23, v36, v18 neg_lo:[1,1,0]
	v_dot4_i32_iu8 v19, v23, v40, v19 neg_lo:[1,1,0]
	;; [unrolled: 1-line block ×4, first 2 shown]
	v_mul_f32_e32 v23, v52, v25
	s_wait_loadcnt 0x1
	v_dot4_i32_iu8 v18, v24, v50, v18 neg_lo:[1,1,0]
	v_dot4_i32_iu8 v19, v24, v55, v19 neg_lo:[1,1,0]
	;; [unrolled: 1-line block ×3, first 2 shown]
	s_wait_loadcnt 0x0
	v_dot4_i32_iu8 v22, v24, v51, v22 neg_lo:[1,1,0]
	v_mul_f32_e32 v24, v52, v29
	v_cvt_f32_i32_e32 v18, v18
	v_cvt_f32_i32_e32 v19, v19
	;; [unrolled: 1-line block ×4, first 2 shown]
	v_cmp_le_u32_e32 vcc_lo, s22, v10
	v_fmac_f32_e32 v11, v17, v18
	v_fmac_f32_e32 v9, v21, v19
	s_delay_alu instid0(VALU_DEP_4)
	v_dual_fmac_f32 v7, v23, v20 :: v_dual_fmac_f32 v6, v24, v22
	s_or_b32 s3, vcc_lo, s3
	s_wait_alu 0xfffe
	s_and_not1_b32 exec_lo, exec_lo, s3
	s_cbranch_execnz .LBB7_2
; %bb.3:
	s_or_b32 exec_lo, exec_lo, s3
.LBB7_4:
	s_delay_alu instid0(SALU_CYCLE_1)
	s_or_b32 exec_lo, exec_lo, s21
	s_mov_b32 s3, 0
	; wave barrier
	global_inv scope:SCOPE_SE
	s_mov_b32 s2, exec_lo
	v_cmpx_eq_u32_e32 0, v8
	s_cbranch_execz .LBB7_13
; %bb.5:
	v_mbcnt_lo_u32_b32 v4, -1, 0
	s_load_b64 s[0:1], s[0:1], 0x38
	s_mul_i32 s2, s10, s19
	s_mul_i32 s4, s18, s20
	s_wait_alu 0xfffe
	s_add_co_i32 s2, s2, ttmp9
	v_xor_b32_e32 v0, 16, v4
	v_xor_b32_e32 v1, 8, v4
	s_wait_alu 0xfffe
	s_add_co_i32 s2, s2, s4
	s_wait_alu 0xfffe
	s_lshl_b64 s[2:3], s[2:3], 2
	v_cmp_gt_i32_e32 vcc_lo, 32, v0
	s_wait_alu 0xfffd
	v_cndmask_b32_e32 v0, v4, v0, vcc_lo
	v_cmp_gt_i32_e32 vcc_lo, 32, v1
	s_wait_alu 0xfffd
	v_cndmask_b32_e32 v1, v4, v1, vcc_lo
	s_wait_kmcnt 0x0
	s_wait_alu 0xfffe
	s_add_nc_u64 s[0:1], s[0:1], s[2:3]
	s_delay_alu instid0(VALU_DEP_1)
	v_lshlrev_b32_e32 v1, 2, v1
	v_lshlrev_b32_e32 v0, 2, v0
	ds_bpermute_b32 v2, v0, v11
	s_wait_dscnt 0x0
	v_add_f32_e32 v3, v11, v2
	v_xor_b32_e32 v2, 4, v4
	v_xor_b32_e32 v11, 1, v4
	ds_bpermute_b32 v8, v1, v3
	v_cmp_gt_i32_e32 vcc_lo, 32, v2
	s_wait_alu 0xfffd
	v_cndmask_b32_e32 v2, v4, v2, vcc_lo
	s_wait_dscnt 0x0
	v_add_f32_e32 v8, v3, v8
	v_xor_b32_e32 v3, 2, v4
	s_delay_alu instid0(VALU_DEP_1) | instskip(SKIP_3) | instid1(VALU_DEP_2)
	v_cmp_gt_i32_e32 vcc_lo, 32, v3
	s_wait_alu 0xfffd
	v_cndmask_b32_e32 v3, v4, v3, vcc_lo
	v_cmp_gt_i32_e32 vcc_lo, 32, v11
	v_lshlrev_b32_e32 v3, 2, v3
	v_lshlrev_b32_e32 v2, 2, v2
	s_wait_alu 0xfffd
	v_cndmask_b32_e32 v4, v4, v11, vcc_lo
	v_cmp_eq_u32_e32 vcc_lo, 0, v5
	ds_bpermute_b32 v10, v2, v8
	v_lshlrev_b32_e32 v4, 2, v4
	s_wait_dscnt 0x0
	v_add_f32_e32 v8, v8, v10
	ds_bpermute_b32 v10, v3, v8
	s_wait_dscnt 0x0
	v_add_f32_e32 v8, v8, v10
	ds_bpermute_b32 v10, v4, v8
	s_and_saveexec_b32 s2, vcc_lo
	s_cbranch_execz .LBB7_7
; %bb.6:
	s_wait_dscnt 0x0
	v_dual_add_f32 v5, v8, v10 :: v_dual_mov_b32 v8, 0
	global_store_b32 v8, v5, s[0:1]
.LBB7_7:
	s_wait_alu 0xfffe
	s_or_b32 exec_lo, exec_lo, s2
	ds_bpermute_b32 v5, v0, v9
	s_wait_dscnt 0x0
	v_add_f32_e32 v5, v9, v5
	ds_bpermute_b32 v8, v1, v5
	s_wait_dscnt 0x0
	v_add_f32_e32 v5, v5, v8
	ds_bpermute_b32 v8, v2, v5
	s_wait_dscnt 0x0
	v_add_f32_e32 v5, v5, v8
	ds_bpermute_b32 v8, v3, v5
	s_wait_dscnt 0x0
	v_add_f32_e32 v5, v5, v8
	ds_bpermute_b32 v8, v4, v5
	s_and_saveexec_b32 s2, vcc_lo
	s_cbranch_execz .LBB7_9
; %bb.8:
	s_mov_b32 s7, 0
	s_wait_dscnt 0x0
	v_dual_add_f32 v5, v5, v8 :: v_dual_mov_b32 v8, 0
	s_lshl_b64 s[4:5], s[6:7], 2
	s_wait_alu 0xfffe
	s_add_nc_u64 s[4:5], s[0:1], s[4:5]
	global_store_b32 v8, v5, s[4:5]
.LBB7_9:
	s_wait_alu 0xfffe
	s_or_b32 exec_lo, exec_lo, s2
	ds_bpermute_b32 v5, v0, v7
	s_wait_dscnt 0x0
	v_add_f32_e32 v5, v7, v5
	ds_bpermute_b32 v7, v1, v5
	s_wait_dscnt 0x0
	v_add_f32_e32 v5, v5, v7
	;; [unrolled: 3-line block ×4, first 2 shown]
	ds_bpermute_b32 v7, v4, v5
	s_and_saveexec_b32 s2, vcc_lo
	s_cbranch_execz .LBB7_11
; %bb.10:
	s_lshl_b32 s4, s6, 1
	s_mov_b32 s5, 0
	s_wait_dscnt 0x0
	v_add_f32_e32 v5, v5, v7
	v_mov_b32_e32 v7, 0
	s_wait_alu 0xfffe
	s_lshl_b64 s[4:5], s[4:5], 2
	s_wait_alu 0xfffe
	s_add_nc_u64 s[4:5], s[0:1], s[4:5]
	global_store_b32 v7, v5, s[4:5]
.LBB7_11:
	s_wait_alu 0xfffe
	s_or_b32 exec_lo, exec_lo, s2
	ds_bpermute_b32 v0, v0, v6
	s_wait_dscnt 0x0
	v_add_f32_e32 v0, v6, v0
	ds_bpermute_b32 v1, v1, v0
	s_wait_dscnt 0x0
	v_add_f32_e32 v0, v0, v1
	ds_bpermute_b32 v1, v2, v0
	s_wait_dscnt 0x0
	v_add_f32_e32 v0, v0, v1
	ds_bpermute_b32 v1, v3, v0
	s_wait_dscnt 0x0
	v_add_f32_e32 v0, v0, v1
	ds_bpermute_b32 v1, v4, v0
	s_and_b32 exec_lo, exec_lo, vcc_lo
	s_cbranch_execz .LBB7_13
; %bb.12:
	s_mul_i32 s2, s6, 3
	s_mov_b32 s3, 0
	s_wait_dscnt 0x0
	v_dual_add_f32 v0, v0, v1 :: v_dual_mov_b32 v1, 0
	s_wait_alu 0xfffe
	s_lshl_b64 s[2:3], s[2:3], 2
	s_wait_alu 0xfffe
	s_add_nc_u64 s[0:1], s[0:1], s[2:3]
	global_store_b32 v1, v0, s[0:1]
.LBB7_13:
	s_endpgm
	.section	.rodata,"a",@progbits
	.p2align	6, 0x0
	.amdhsa_kernel _ZL13mul_mat_vec_qIL9ggml_type41ELi4ELb0ELb0EEvPKvS2_PKi31ggml_cuda_mm_fusion_args_devicePfj15HIP_vector_typeIjLj3EEjjjS8_jjjS8_jjjj
		.amdhsa_group_segment_fixed_size 0
		.amdhsa_private_segment_fixed_size 0
		.amdhsa_kernarg_size 144
		.amdhsa_user_sgpr_count 2
		.amdhsa_user_sgpr_dispatch_ptr 0
		.amdhsa_user_sgpr_queue_ptr 0
		.amdhsa_user_sgpr_kernarg_segment_ptr 1
		.amdhsa_user_sgpr_dispatch_id 0
		.amdhsa_user_sgpr_private_segment_size 0
		.amdhsa_wavefront_size32 1
		.amdhsa_uses_dynamic_stack 0
		.amdhsa_enable_private_segment 0
		.amdhsa_system_sgpr_workgroup_id_x 1
		.amdhsa_system_sgpr_workgroup_id_y 1
		.amdhsa_system_sgpr_workgroup_id_z 1
		.amdhsa_system_sgpr_workgroup_info 0
		.amdhsa_system_vgpr_workitem_id 1
		.amdhsa_next_free_vgpr 86
		.amdhsa_next_free_sgpr 26
		.amdhsa_reserve_vcc 1
		.amdhsa_float_round_mode_32 0
		.amdhsa_float_round_mode_16_64 0
		.amdhsa_float_denorm_mode_32 3
		.amdhsa_float_denorm_mode_16_64 3
		.amdhsa_fp16_overflow 0
		.amdhsa_workgroup_processor_mode 1
		.amdhsa_memory_ordered 1
		.amdhsa_forward_progress 1
		.amdhsa_inst_pref_size 21
		.amdhsa_round_robin_scheduling 0
		.amdhsa_exception_fp_ieee_invalid_op 0
		.amdhsa_exception_fp_denorm_src 0
		.amdhsa_exception_fp_ieee_div_zero 0
		.amdhsa_exception_fp_ieee_overflow 0
		.amdhsa_exception_fp_ieee_underflow 0
		.amdhsa_exception_fp_ieee_inexact 0
		.amdhsa_exception_int_div_zero 0
	.end_amdhsa_kernel
	.section	.text._ZL13mul_mat_vec_qIL9ggml_type41ELi4ELb0ELb0EEvPKvS2_PKi31ggml_cuda_mm_fusion_args_devicePfj15HIP_vector_typeIjLj3EEjjjS8_jjjS8_jjjj,"axG",@progbits,_ZL13mul_mat_vec_qIL9ggml_type41ELi4ELb0ELb0EEvPKvS2_PKi31ggml_cuda_mm_fusion_args_devicePfj15HIP_vector_typeIjLj3EEjjjS8_jjjS8_jjjj,comdat
.Lfunc_end7:
	.size	_ZL13mul_mat_vec_qIL9ggml_type41ELi4ELb0ELb0EEvPKvS2_PKi31ggml_cuda_mm_fusion_args_devicePfj15HIP_vector_typeIjLj3EEjjjS8_jjjS8_jjjj, .Lfunc_end7-_ZL13mul_mat_vec_qIL9ggml_type41ELi4ELb0ELb0EEvPKvS2_PKi31ggml_cuda_mm_fusion_args_devicePfj15HIP_vector_typeIjLj3EEjjjS8_jjjS8_jjjj
                                        ; -- End function
	.set _ZL13mul_mat_vec_qIL9ggml_type41ELi4ELb0ELb0EEvPKvS2_PKi31ggml_cuda_mm_fusion_args_devicePfj15HIP_vector_typeIjLj3EEjjjS8_jjjS8_jjjj.num_vgpr, 86
	.set _ZL13mul_mat_vec_qIL9ggml_type41ELi4ELb0ELb0EEvPKvS2_PKi31ggml_cuda_mm_fusion_args_devicePfj15HIP_vector_typeIjLj3EEjjjS8_jjjS8_jjjj.num_agpr, 0
	.set _ZL13mul_mat_vec_qIL9ggml_type41ELi4ELb0ELb0EEvPKvS2_PKi31ggml_cuda_mm_fusion_args_devicePfj15HIP_vector_typeIjLj3EEjjjS8_jjjS8_jjjj.numbered_sgpr, 26
	.set _ZL13mul_mat_vec_qIL9ggml_type41ELi4ELb0ELb0EEvPKvS2_PKi31ggml_cuda_mm_fusion_args_devicePfj15HIP_vector_typeIjLj3EEjjjS8_jjjS8_jjjj.num_named_barrier, 0
	.set _ZL13mul_mat_vec_qIL9ggml_type41ELi4ELb0ELb0EEvPKvS2_PKi31ggml_cuda_mm_fusion_args_devicePfj15HIP_vector_typeIjLj3EEjjjS8_jjjS8_jjjj.private_seg_size, 0
	.set _ZL13mul_mat_vec_qIL9ggml_type41ELi4ELb0ELb0EEvPKvS2_PKi31ggml_cuda_mm_fusion_args_devicePfj15HIP_vector_typeIjLj3EEjjjS8_jjjS8_jjjj.uses_vcc, 1
	.set _ZL13mul_mat_vec_qIL9ggml_type41ELi4ELb0ELb0EEvPKvS2_PKi31ggml_cuda_mm_fusion_args_devicePfj15HIP_vector_typeIjLj3EEjjjS8_jjjS8_jjjj.uses_flat_scratch, 0
	.set _ZL13mul_mat_vec_qIL9ggml_type41ELi4ELb0ELb0EEvPKvS2_PKi31ggml_cuda_mm_fusion_args_devicePfj15HIP_vector_typeIjLj3EEjjjS8_jjjS8_jjjj.has_dyn_sized_stack, 0
	.set _ZL13mul_mat_vec_qIL9ggml_type41ELi4ELb0ELb0EEvPKvS2_PKi31ggml_cuda_mm_fusion_args_devicePfj15HIP_vector_typeIjLj3EEjjjS8_jjjS8_jjjj.has_recursion, 0
	.set _ZL13mul_mat_vec_qIL9ggml_type41ELi4ELb0ELb0EEvPKvS2_PKi31ggml_cuda_mm_fusion_args_devicePfj15HIP_vector_typeIjLj3EEjjjS8_jjjS8_jjjj.has_indirect_call, 0
	.section	.AMDGPU.csdata,"",@progbits
; Kernel info:
; codeLenInByte = 2644
; TotalNumSgprs: 28
; NumVgprs: 86
; ScratchSize: 0
; MemoryBound: 0
; FloatMode: 240
; IeeeMode: 1
; LDSByteSize: 0 bytes/workgroup (compile time only)
; SGPRBlocks: 0
; VGPRBlocks: 10
; NumSGPRsForWavesPerEU: 28
; NumVGPRsForWavesPerEU: 86
; Occupancy: 16
; WaveLimiterHint : 0
; COMPUTE_PGM_RSRC2:SCRATCH_EN: 0
; COMPUTE_PGM_RSRC2:USER_SGPR: 2
; COMPUTE_PGM_RSRC2:TRAP_HANDLER: 0
; COMPUTE_PGM_RSRC2:TGID_X_EN: 1
; COMPUTE_PGM_RSRC2:TGID_Y_EN: 1
; COMPUTE_PGM_RSRC2:TGID_Z_EN: 1
; COMPUTE_PGM_RSRC2:TIDIG_COMP_CNT: 1
	.section	.text._ZL13mul_mat_vec_qIL9ggml_type41ELi5ELb0ELb0EEvPKvS2_PKi31ggml_cuda_mm_fusion_args_devicePfj15HIP_vector_typeIjLj3EEjjjS8_jjjS8_jjjj,"axG",@progbits,_ZL13mul_mat_vec_qIL9ggml_type41ELi5ELb0ELb0EEvPKvS2_PKi31ggml_cuda_mm_fusion_args_devicePfj15HIP_vector_typeIjLj3EEjjjS8_jjjS8_jjjj,comdat
	.globl	_ZL13mul_mat_vec_qIL9ggml_type41ELi5ELb0ELb0EEvPKvS2_PKi31ggml_cuda_mm_fusion_args_devicePfj15HIP_vector_typeIjLj3EEjjjS8_jjjS8_jjjj ; -- Begin function _ZL13mul_mat_vec_qIL9ggml_type41ELi5ELb0ELb0EEvPKvS2_PKi31ggml_cuda_mm_fusion_args_devicePfj15HIP_vector_typeIjLj3EEjjjS8_jjjS8_jjjj
	.p2align	8
	.type	_ZL13mul_mat_vec_qIL9ggml_type41ELi5ELb0ELb0EEvPKvS2_PKi31ggml_cuda_mm_fusion_args_devicePfj15HIP_vector_typeIjLj3EEjjjS8_jjjS8_jjjj,@function
_ZL13mul_mat_vec_qIL9ggml_type41ELi5ELb0ELb0EEvPKvS2_PKi31ggml_cuda_mm_fusion_args_devicePfj15HIP_vector_typeIjLj3EEjjjS8_jjjS8_jjjj: ; @_ZL13mul_mat_vec_qIL9ggml_type41ELi5ELb0ELb0EEvPKvS2_PKi31ggml_cuda_mm_fusion_args_devicePfj15HIP_vector_typeIjLj3EEjjjS8_jjjS8_jjjj
; %bb.0:
	s_clause 0x5
	s_load_b96 s[20:22], s[0:1], 0x80
	s_load_b32 s4, s[0:1], 0x40
	s_load_b128 s[8:11], s[0:1], 0x50
	s_load_b32 s3, s[0:1], 0x60
	s_load_b128 s[12:15], s[0:1], 0x68
	s_load_b32 s2, s[0:1], 0x78
	v_bfe_u32 v9, v0, 10, 10
	v_dual_mov_b32 v5, 0 :: v_dual_and_b32 v6, 0x3ff, v0
	v_dual_mov_b32 v7, 0 :: v_dual_mov_b32 v8, 0
	v_mov_b32_e32 v10, 0
	s_delay_alu instid0(VALU_DEP_3)
	v_lshl_or_b32 v0, v9, 5, v6
	v_mov_b32_e32 v12, 0
	s_and_b32 s23, ttmp7, 0xffff
	s_lshr_b32 s26, ttmp7, 16
	s_mov_b32 s27, exec_lo
	v_lshrrev_b32_e32 v11, 2, v0
	s_wait_kmcnt 0x0
	s_lshr_b32 s28, s4, 7
	s_delay_alu instid0(VALU_DEP_1) | instid1(SALU_CYCLE_1)
	v_cmpx_gt_u32_e64 s28, v11
	s_cbranch_execz .LBB8_4
; %bb.1:
	v_lshl_add_u32 v0, v9, 5, v6
	s_mov_b32 s25, 0
	s_mul_i32 s4, s13, s23
	s_mov_b32 s5, s25
	s_load_b128 s[16:19], s[0:1], 0x0
	v_lshrrev_b32_e32 v0, 2, v0
	s_mul_u64 s[4:5], s[4:5], 36
	s_mul_i32 s24, s21, s26
	s_mul_hi_u32 s6, s11, s23
	v_dual_mov_b32 v5, 0 :: v_dual_and_b32 v2, 3, v6
	v_mad_co_u64_u32 v[0:1], null, 0x90, v0, s[4:5]
	s_add_co_i32 s6, s23, s6
	v_dual_mov_b32 v17, 0xff0000 :: v_dual_lshlrev_b32 v4, 2, v11
	s_lshr_b32 s3, s6, s3
	s_mul_u64 s[6:7], s[24:25], 36
	s_mul_i32 s11, s3, s12
	v_mad_co_u64_u32 v[0:1], null, s24, 36, v[0:1]
	s_mul_hi_u32 s3, s15, s26
	v_dual_mov_b32 v18, 0xff000000 :: v_dual_lshlrev_b32 v13, 2, v2
	s_add_co_i32 s3, s26, s3
	s_mul_i32 s8, s8, ttmp9
	s_lshr_b32 s12, s3, s2
	v_mad_co_u64_u32 v[7:8], null, v2, 36, v[0:1]
	s_wait_kmcnt 0x0
	s_add_nc_u64 s[2:3], s[18:19], s[6:7]
	v_add_lshl_u32 v14, s9, v11, 2
	s_add_nc_u64 s[2:3], s[2:3], s[4:5]
	v_add_nc_u32_e32 v15, s9, v4
	v_mad_co_u64_u32 v[0:1], null, v2, 36, s[2:3]
	v_mad_co_u64_u32 v[2:3], null, s9, 3, v[4:5]
	v_add_co_u32 v3, vcc_lo, s18, v7
	s_delay_alu instid0(VALU_DEP_1) | instskip(SKIP_1) | instid1(VALU_DEP_3)
	v_add_co_ci_u32_e64 v7, null, s19, v8, vcc_lo
	v_lshl_add_u32 v16, s9, 1, v4
	v_add_co_u32 v3, vcc_lo, v3, 16
	s_wait_alu 0xfffd
	s_delay_alu instid0(VALU_DEP_3)
	v_add_co_ci_u32_e64 v4, null, 0, v7, vcc_lo
	v_dual_mov_b32 v7, 0 :: v_dual_mov_b32 v10, 0
	v_mov_b32_e32 v8, 0
	v_mov_b32_e32 v12, 0
	s_mul_i32 s6, s12, s20
	s_add_co_i32 s11, s11, s8
	s_delay_alu instid0(SALU_CYCLE_1)
	s_add_co_i32 s11, s6, s11
.LBB8_2:                                ; =>This Inner Loop Header: Depth=1
	s_delay_alu instid0(SALU_CYCLE_1) | instskip(SKIP_2) | instid1(VALU_DEP_3)
	v_add_nc_u32_e32 v23, s11, v11
	v_mad_co_u64_u32 v[43:44], null, v15, 36, v[0:1]
	v_mad_co_u64_u32 v[59:60], null, v16, 36, v[0:1]
	v_mad_co_i64_i32 v[35:36], null, v23, 18, s[16:17]
	v_mad_co_u64_u32 v[51:52], null, v2, 36, v[0:1]
	v_mad_co_u64_u32 v[61:62], null, v14, 36, v[0:1]
	global_load_b128 v[19:22], v[3:4], off offset:-16
	s_clause 0x2
	global_load_b128 v[23:26], v[43:44], off
	global_load_b128 v[27:30], v[59:60], off
	;; [unrolled: 1-line block ×3, first 2 shown]
	v_add_co_u32 v37, vcc_lo, v35, v13
	s_wait_alu 0xfffd
	v_add_co_ci_u32_e64 v38, null, 0, v36, vcc_lo
	s_clause 0x1
	global_load_u16 v63, v[35:36], off
	global_load_b32 v64, v[37:38], off offset:2
	s_clause 0x2
	global_load_b128 v[35:38], v[61:62], off
	global_load_b32 v65, v[43:44], off offset:32
	global_load_b32 v66, v[51:52], off offset:32
	global_load_b128 v[39:42], v[3:4], off
	s_clause 0x5
	global_load_b128 v[43:46], v[43:44], off offset:16
	global_load_b128 v[47:50], v[59:60], off offset:16
	;; [unrolled: 1-line block ×4, first 2 shown]
	global_load_b32 v59, v[59:60], off offset:32
	global_load_b32 v60, v[61:62], off offset:32
	;; [unrolled: 1-line block ×3, first 2 shown]
	v_add_co_u32 v3, vcc_lo, 0x480, v3
	s_wait_alu 0xfffd
	v_add_co_ci_u32_e64 v4, null, 0, v4, vcc_lo
	s_wait_loadcnt 0xc
	v_cvt_f32_f16_e32 v62, v63
	s_wait_loadcnt 0xb
	v_and_b32_e32 v63, 1, v64
	v_and_b32_e32 v67, 4, v64
	s_wait_loadcnt 0xa
	v_cvt_f32_f16_e32 v35, v35
	v_and_b32_e32 v70, 16, v64
	v_cvt_f32_f16_e32 v31, v31
	v_cmp_eq_u32_e64 s9, 0, v63
	v_and_b32_e32 v68, 8, v64
	v_and_b32_e32 v71, 64, v64
	v_mul_f32_e32 v35, v62, v35
	v_mul_f32_e32 v31, v62, v31
	s_wait_alu 0xf1ff
	v_cndmask_b32_e64 v63, 1, 0xff, s9
	v_cmp_eq_u32_e64 s9, 0, v67
	v_and_b32_e32 v72, 0x80, v64
	v_and_b32_e32 v74, 0x100, v64
	;; [unrolled: 1-line block ×4, first 2 shown]
	s_wait_alu 0xf1ff
	v_cndmask_b32_e64 v67, 0x10000, v17, s9
	v_cmp_eq_u32_e64 s9, 0, v68
	v_and_b32_e32 v77, 0x1000, v64
	v_and_b32_e32 v78, 0x4000, v64
	;; [unrolled: 1-line block ×3, first 2 shown]
	v_cvt_f32_f16_e32 v19, v19
	s_wait_alu 0xf1ff
	v_cndmask_b32_e64 v68, 0x1000000, v18, s9
	v_cmp_eq_u32_e64 s9, 0, v70
	v_cvt_f32_f16_e32 v23, v23
	v_cvt_f32_f16_e32 v27, v27
	v_lshlrev_b32_e32 v69, 8, v64
	v_and_b32_e32 v81, 0x10000, v64
	s_wait_alu 0xf1ff
	v_cndmask_b32_e64 v70, 1, 0xff, s9
	v_cmp_eq_u32_e64 s9, 0, v71
	v_and_b32_e32 v86, 0x400000, v64
	v_dual_mul_f32 v19, v62, v19 :: v_dual_add_nc_u32 v14, 32, v14
	v_dual_mul_f32 v23, v62, v23 :: v_dual_add_nc_u32 v2, 32, v2
	s_wait_alu 0xf1ff
	v_cndmask_b32_e64 v71, 0x10000, v17, s9
	v_cmp_eq_u32_e64 s9, 0, v72
	v_dual_mul_f32 v27, v62, v27 :: v_dual_add_nc_u32 v16, 32, v16
	v_lshlrev_b32_e32 v73, 4, v64
	v_and_b32_e32 v82, 0x40000, v64
	s_wait_alu 0xf1ff
	v_cndmask_b32_e64 v72, 0x1000000, v18, s9
	v_cmp_eq_u32_e64 s9, 0, v74
	v_and_b32_e32 v87, 0x800000, v64
	v_and_b32_e32 v62, 0x1000000, v64
	v_cmp_eq_u32_e64 s2, 0, v86
	v_and_b32_e32 v86, 0x4000000, v64
	s_wait_alu 0xf1ff
	v_cndmask_b32_e64 v74, 1, 0xff, s9
	v_cmp_eq_u32_e64 s9, 0, v75
	v_and_or_b32 v63, 0x200, v69, v63
	v_and_b32_e32 v83, 0x80000, v64
	v_cmp_eq_u32_e64 s3, 0, v87
	v_and_b32_e32 v87, 0x8000000, v64
	s_wait_alu 0xf1ff
	v_cndmask_b32_e64 v75, 0x10000, v17, s9
	v_cmp_eq_u32_e64 s9, 0, v76
	v_cmp_eq_u32_e64 s4, 0, v62
	v_and_b32_e32 v62, 0x10000000, v64
	v_cmp_eq_u32_e64 s5, 0, v86
	v_and_b32_e32 v86, 2.0, v64
	s_wait_alu 0xf1ff
	v_cndmask_b32_e64 v76, 0x1000000, v18, s9
	v_cmp_eq_u32_e64 s9, 0, v77
	v_and_or_b32 v70, 0x200, v73, v70
	v_add_nc_u32_e32 v63, 0xff00, v63
	v_lshrrev_b32_e32 v80, 4, v64
	v_lshrrev_b32_e32 v84, 8, v64
	s_wait_alu 0xf1ff
	v_cndmask_b32_e64 v77, 1, 0xff, s9
	v_cmp_eq_u32_e64 s9, 0, v78
	v_and_b32_e32 v85, 0x100000, v64
	v_cmp_eq_u32_e64 s6, 0, v87
	v_lshrrev_b32_e32 v87, 12, v64
	v_cmp_eq_u32_e64 s7, 0, v62
	s_wait_alu 0xf1ff
	v_cndmask_b32_e64 v78, 0x10000, v17, s9
	v_cmp_eq_u32_e64 s9, 0, v79
	v_lshrrev_b32_e32 v62, 16, v64
	v_cmp_eq_u32_e64 s8, 0, v86
	v_ashrrev_i32_e32 v86, 28, v64
	v_and_or_b32 v64, 0x200, v64, v74
	s_wait_alu 0xf1ff
	v_cndmask_b32_e64 v79, 0x1000000, v18, s9
	v_cmp_eq_u32_e64 s9, 0, v81
	v_add_nc_u32_e32 v70, 0xff00, v70
	v_or3_b32 v63, v68, v67, v63
	v_and_or_b32 v77, 0x200, v80, v77
	v_add_nc_u32_e32 v64, 0xff00, v64
	s_wait_alu 0xf1ff
	v_cndmask_b32_e64 v81, 1, 0xff, s9
	v_cmp_eq_u32_e64 s9, 0, v82
	v_or3_b32 v67, v72, v71, v70
	v_dot4_i32_iu8 v20, v63, v20, 0 neg_lo:[1,1,0]
	v_dot4_i32_iu8 v24, v63, v24, 0 neg_lo:[1,1,0]
	;; [unrolled: 1-line block ×3, first 2 shown]
	s_wait_alu 0xf1ff
	v_cndmask_b32_e64 v82, 0x10000, v17, s9
	v_cmp_eq_u32_e64 s9, 0, v83
	v_dot4_i32_iu8 v32, v63, v32, 0 neg_lo:[1,1,0]
	v_dot4_i32_iu8 v36, v63, v36, 0 neg_lo:[1,1,0]
	v_and_or_b32 v81, 0x200, v84, v81
	v_add_nc_u32_e32 v77, 0xff00, v77
	s_wait_alu 0xf1ff
	v_cndmask_b32_e64 v83, 0x1000000, v18, s9
	v_cmp_eq_u32_e64 s9, 0, v85
	v_or3_b32 v64, v76, v75, v64
	v_dot4_i32_iu8 v20, v67, v21, v20 neg_lo:[1,1,0]
	v_dot4_i32_iu8 v21, v67, v25, v24 neg_lo:[1,1,0]
	;; [unrolled: 1-line block ×3, first 2 shown]
	s_wait_alu 0xf1ff
	v_cndmask_b32_e64 v85, 1, 0xff, s9
	v_dot4_i32_iu8 v25, v67, v33, v32 neg_lo:[1,1,0]
	v_dot4_i32_iu8 v28, v67, v37, v36 neg_lo:[1,1,0]
	v_cndmask_b32_e64 v74, 1, 0xff, s4
	v_add_nc_u32_e32 v81, 0xff00, v81
	v_and_or_b32 v85, 0x200, v87, v85
	v_or3_b32 v68, v79, v78, v77
	v_dot4_i32_iu8 v21, v64, v26, v21 neg_lo:[1,1,0]
	v_dot4_i32_iu8 v20, v64, v22, v20 neg_lo:[1,1,0]
	;; [unrolled: 1-line block ×5, first 2 shown]
	v_cndmask_b32_e64 v69, 0x10000, v17, s2
	v_cndmask_b32_e64 v73, 0x1000000, v18, s3
	;; [unrolled: 1-line block ×3, first 2 shown]
	v_lshlrev_b32_e32 v84, 8, v86
	v_and_b32_e32 v86, 8, v86
	v_and_or_b32 v62, 0x200, v62, v74
	v_add_nc_u32_e32 v85, 0xff00, v85
	v_or3_b32 v70, v83, v82, v81
	s_wait_loadcnt 0x6
	v_dot4_i32_iu8 v21, v68, v43, v21 neg_lo:[1,1,0]
	v_dot4_i32_iu8 v20, v68, v39, v20 neg_lo:[1,1,0]
	s_wait_loadcnt 0x5
	v_dot4_i32_iu8 v22, v68, v47, v22 neg_lo:[1,1,0]
	s_wait_loadcnt 0x4
	v_dot4_i32_iu8 v24, v68, v51, v24 neg_lo:[1,1,0]
	s_wait_loadcnt 0x3
	v_dot4_i32_iu8 v25, v68, v55, v25 neg_lo:[1,1,0]
	v_cndmask_b32_e64 v87, 0x10000, v17, s5
	v_cndmask_b32_e64 v74, 0x1000000, v18, s6
	v_and_or_b32 v80, 0x200, v84, v80
	v_cmp_eq_u32_e64 s2, 0, v86
	v_add_nc_u32_e32 v62, 0xff00, v62
	v_or3_b32 v69, v73, v69, v85
	v_dot4_i32_iu8 v21, v70, v44, v21 neg_lo:[1,1,0]
	v_dot4_i32_iu8 v20, v70, v40, v20 neg_lo:[1,1,0]
	;; [unrolled: 1-line block ×5, first 2 shown]
	v_cndmask_b32_e64 v84, 0x10000, v17, s8
	s_wait_alu 0xf1ff
	v_cndmask_b32_e64 v86, 0x1000000, v18, s2
	v_add_nc_u32_e32 v80, 0xff00, v80
	v_or3_b32 v62, v74, v87, v62
	v_dot4_i32_iu8 v21, v69, v45, v21 neg_lo:[1,1,0]
	v_dot4_i32_iu8 v20, v69, v41, v20 neg_lo:[1,1,0]
	;; [unrolled: 1-line block ×5, first 2 shown]
	v_or3_b32 v71, v86, v84, v80
	v_dot4_i32_iu8 v21, v62, v46, v21 neg_lo:[1,1,0]
	v_dot4_i32_iu8 v20, v62, v42, v20 neg_lo:[1,1,0]
	;; [unrolled: 1-line block ×6, first 2 shown]
	s_wait_loadcnt 0x0
	v_dot4_i32_iu8 v20, v71, v61, v20 neg_lo:[1,1,0]
	v_dot4_i32_iu8 v22, v71, v59, v22 neg_lo:[1,1,0]
	;; [unrolled: 1-line block ×4, first 2 shown]
	v_cvt_f32_i32_e32 v21, v21
	v_add_nc_u32_e32 v11, 8, v11
	v_cvt_f32_i32_e32 v20, v20
	v_cvt_f32_i32_e32 v22, v22
	;; [unrolled: 1-line block ×4, first 2 shown]
	v_fmac_f32_e32 v10, v23, v21
	v_cmp_le_u32_e32 vcc_lo, s28, v11
	v_dual_fmac_f32 v8, v27, v22 :: v_dual_add_nc_u32 v15, 32, v15
	v_fmac_f32_e32 v12, v19, v20
	v_fmac_f32_e32 v7, v31, v24
	;; [unrolled: 1-line block ×3, first 2 shown]
	s_or_b32 s25, vcc_lo, s25
	s_wait_alu 0xfffe
	s_and_not1_b32 exec_lo, exec_lo, s25
	s_cbranch_execnz .LBB8_2
; %bb.3:
	s_or_b32 exec_lo, exec_lo, s25
.LBB8_4:
	s_delay_alu instid0(SALU_CYCLE_1)
	s_or_b32 exec_lo, exec_lo, s27
	s_mov_b32 s3, 0
	; wave barrier
	global_inv scope:SCOPE_SE
	s_mov_b32 s2, exec_lo
	v_cmpx_eq_u32_e32 0, v9
	s_cbranch_execz .LBB8_15
; %bb.5:
	v_mbcnt_lo_u32_b32 v4, -1, 0
	s_load_b64 s[0:1], s[0:1], 0x38
	s_mul_i32 s2, s14, s23
	s_mul_i32 s4, s22, s26
	s_wait_alu 0xfffe
	s_add_co_i32 s2, s2, ttmp9
	v_xor_b32_e32 v0, 16, v4
	v_xor_b32_e32 v1, 8, v4
	s_wait_alu 0xfffe
	s_add_co_i32 s2, s2, s4
	s_wait_alu 0xfffe
	s_lshl_b64 s[2:3], s[2:3], 2
	v_cmp_gt_i32_e32 vcc_lo, 32, v0
	s_wait_alu 0xfffd
	v_cndmask_b32_e32 v0, v4, v0, vcc_lo
	v_cmp_gt_i32_e32 vcc_lo, 32, v1
	s_wait_alu 0xfffd
	v_cndmask_b32_e32 v1, v4, v1, vcc_lo
	s_wait_kmcnt 0x0
	s_wait_alu 0xfffe
	s_add_nc_u64 s[0:1], s[0:1], s[2:3]
	s_delay_alu instid0(VALU_DEP_1)
	v_lshlrev_b32_e32 v1, 2, v1
	v_lshlrev_b32_e32 v0, 2, v0
	ds_bpermute_b32 v2, v0, v12
	s_wait_dscnt 0x0
	v_add_f32_e32 v3, v12, v2
	v_xor_b32_e32 v2, 4, v4
	v_xor_b32_e32 v12, 1, v4
	ds_bpermute_b32 v9, v1, v3
	v_cmp_gt_i32_e32 vcc_lo, 32, v2
	s_wait_dscnt 0x0
	s_wait_alu 0xfffd
	v_dual_cndmask_b32 v2, v4, v2 :: v_dual_add_f32 v9, v3, v9
	s_delay_alu instid0(VALU_DEP_1)
	v_lshlrev_b32_e32 v2, 2, v2
	v_xor_b32_e32 v3, 2, v4
	ds_bpermute_b32 v11, v2, v9
	v_cmp_gt_i32_e32 vcc_lo, 32, v3
	s_wait_alu 0xfffd
	v_cndmask_b32_e32 v3, v4, v3, vcc_lo
	v_cmp_gt_i32_e32 vcc_lo, 32, v12
	s_wait_alu 0xfffd
	v_cndmask_b32_e32 v4, v4, v12, vcc_lo
	v_cmp_eq_u32_e32 vcc_lo, 0, v6
	s_delay_alu instid0(VALU_DEP_2)
	v_lshlrev_b32_e32 v4, 2, v4
	v_lshlrev_b32_e32 v3, 2, v3
	s_wait_dscnt 0x0
	v_add_f32_e32 v9, v9, v11
	ds_bpermute_b32 v11, v3, v9
	s_wait_dscnt 0x0
	v_add_f32_e32 v9, v9, v11
	ds_bpermute_b32 v11, v4, v9
	s_and_saveexec_b32 s2, vcc_lo
	s_cbranch_execz .LBB8_7
; %bb.6:
	s_wait_dscnt 0x0
	v_dual_add_f32 v6, v9, v11 :: v_dual_mov_b32 v9, 0
	global_store_b32 v9, v6, s[0:1]
.LBB8_7:
	s_wait_alu 0xfffe
	s_or_b32 exec_lo, exec_lo, s2
	ds_bpermute_b32 v6, v0, v10
	s_wait_dscnt 0x0
	v_add_f32_e32 v6, v10, v6
	ds_bpermute_b32 v9, v1, v6
	s_wait_dscnt 0x0
	v_add_f32_e32 v6, v6, v9
	;; [unrolled: 3-line block ×4, first 2 shown]
	ds_bpermute_b32 v9, v4, v6
	s_and_saveexec_b32 s2, vcc_lo
	s_cbranch_execz .LBB8_9
; %bb.8:
	s_mov_b32 s11, 0
	s_wait_dscnt 0x0
	v_dual_add_f32 v6, v6, v9 :: v_dual_mov_b32 v9, 0
	s_wait_alu 0xfffe
	s_lshl_b64 s[4:5], s[10:11], 2
	s_wait_alu 0xfffe
	s_add_nc_u64 s[4:5], s[0:1], s[4:5]
	global_store_b32 v9, v6, s[4:5]
.LBB8_9:
	s_wait_alu 0xfffe
	s_or_b32 exec_lo, exec_lo, s2
	ds_bpermute_b32 v6, v0, v8
	s_wait_dscnt 0x0
	v_add_f32_e32 v6, v8, v6
	ds_bpermute_b32 v8, v1, v6
	s_wait_dscnt 0x0
	v_add_f32_e32 v6, v6, v8
	;; [unrolled: 3-line block ×4, first 2 shown]
	ds_bpermute_b32 v8, v4, v6
	s_and_saveexec_b32 s2, vcc_lo
	s_cbranch_execz .LBB8_11
; %bb.10:
	s_lshl_b32 s4, s10, 1
	s_mov_b32 s5, 0
	s_wait_dscnt 0x0
	v_add_f32_e32 v6, v6, v8
	v_mov_b32_e32 v8, 0
	s_wait_alu 0xfffe
	s_lshl_b64 s[4:5], s[4:5], 2
	s_wait_alu 0xfffe
	s_add_nc_u64 s[4:5], s[0:1], s[4:5]
	global_store_b32 v8, v6, s[4:5]
.LBB8_11:
	s_wait_alu 0xfffe
	s_or_b32 exec_lo, exec_lo, s2
	ds_bpermute_b32 v6, v0, v7
	s_wait_dscnt 0x0
	v_add_f32_e32 v6, v7, v6
	ds_bpermute_b32 v7, v1, v6
	s_wait_dscnt 0x0
	v_add_f32_e32 v6, v6, v7
	;; [unrolled: 3-line block ×4, first 2 shown]
	ds_bpermute_b32 v7, v4, v6
	s_and_saveexec_b32 s2, vcc_lo
	s_cbranch_execz .LBB8_13
; %bb.12:
	s_mul_i32 s4, s10, 3
	s_mov_b32 s5, 0
	s_wait_dscnt 0x0
	v_dual_add_f32 v6, v6, v7 :: v_dual_mov_b32 v7, 0
	s_wait_alu 0xfffe
	s_lshl_b64 s[4:5], s[4:5], 2
	s_wait_alu 0xfffe
	s_add_nc_u64 s[4:5], s[0:1], s[4:5]
	global_store_b32 v7, v6, s[4:5]
.LBB8_13:
	s_wait_alu 0xfffe
	s_or_b32 exec_lo, exec_lo, s2
	ds_bpermute_b32 v0, v0, v5
	s_wait_dscnt 0x0
	v_add_f32_e32 v0, v5, v0
	ds_bpermute_b32 v1, v1, v0
	s_wait_dscnt 0x0
	v_add_f32_e32 v0, v0, v1
	;; [unrolled: 3-line block ×4, first 2 shown]
	ds_bpermute_b32 v1, v4, v0
	s_and_b32 exec_lo, exec_lo, vcc_lo
	s_cbranch_execz .LBB8_15
; %bb.14:
	s_lshl_b32 s2, s10, 2
	s_mov_b32 s3, 0
	s_wait_dscnt 0x0
	v_dual_add_f32 v0, v0, v1 :: v_dual_mov_b32 v1, 0
	s_wait_alu 0xfffe
	s_lshl_b64 s[2:3], s[2:3], 2
	s_wait_alu 0xfffe
	s_add_nc_u64 s[0:1], s[0:1], s[2:3]
	global_store_b32 v1, v0, s[0:1]
.LBB8_15:
	s_endpgm
	.section	.rodata,"a",@progbits
	.p2align	6, 0x0
	.amdhsa_kernel _ZL13mul_mat_vec_qIL9ggml_type41ELi5ELb0ELb0EEvPKvS2_PKi31ggml_cuda_mm_fusion_args_devicePfj15HIP_vector_typeIjLj3EEjjjS8_jjjS8_jjjj
		.amdhsa_group_segment_fixed_size 0
		.amdhsa_private_segment_fixed_size 0
		.amdhsa_kernarg_size 144
		.amdhsa_user_sgpr_count 2
		.amdhsa_user_sgpr_dispatch_ptr 0
		.amdhsa_user_sgpr_queue_ptr 0
		.amdhsa_user_sgpr_kernarg_segment_ptr 1
		.amdhsa_user_sgpr_dispatch_id 0
		.amdhsa_user_sgpr_private_segment_size 0
		.amdhsa_wavefront_size32 1
		.amdhsa_uses_dynamic_stack 0
		.amdhsa_enable_private_segment 0
		.amdhsa_system_sgpr_workgroup_id_x 1
		.amdhsa_system_sgpr_workgroup_id_y 1
		.amdhsa_system_sgpr_workgroup_id_z 1
		.amdhsa_system_sgpr_workgroup_info 0
		.amdhsa_system_vgpr_workitem_id 1
		.amdhsa_next_free_vgpr 88
		.amdhsa_next_free_sgpr 29
		.amdhsa_reserve_vcc 1
		.amdhsa_float_round_mode_32 0
		.amdhsa_float_round_mode_16_64 0
		.amdhsa_float_denorm_mode_32 3
		.amdhsa_float_denorm_mode_16_64 3
		.amdhsa_fp16_overflow 0
		.amdhsa_workgroup_processor_mode 1
		.amdhsa_memory_ordered 1
		.amdhsa_forward_progress 1
		.amdhsa_inst_pref_size 24
		.amdhsa_round_robin_scheduling 0
		.amdhsa_exception_fp_ieee_invalid_op 0
		.amdhsa_exception_fp_denorm_src 0
		.amdhsa_exception_fp_ieee_div_zero 0
		.amdhsa_exception_fp_ieee_overflow 0
		.amdhsa_exception_fp_ieee_underflow 0
		.amdhsa_exception_fp_ieee_inexact 0
		.amdhsa_exception_int_div_zero 0
	.end_amdhsa_kernel
	.section	.text._ZL13mul_mat_vec_qIL9ggml_type41ELi5ELb0ELb0EEvPKvS2_PKi31ggml_cuda_mm_fusion_args_devicePfj15HIP_vector_typeIjLj3EEjjjS8_jjjS8_jjjj,"axG",@progbits,_ZL13mul_mat_vec_qIL9ggml_type41ELi5ELb0ELb0EEvPKvS2_PKi31ggml_cuda_mm_fusion_args_devicePfj15HIP_vector_typeIjLj3EEjjjS8_jjjS8_jjjj,comdat
.Lfunc_end8:
	.size	_ZL13mul_mat_vec_qIL9ggml_type41ELi5ELb0ELb0EEvPKvS2_PKi31ggml_cuda_mm_fusion_args_devicePfj15HIP_vector_typeIjLj3EEjjjS8_jjjS8_jjjj, .Lfunc_end8-_ZL13mul_mat_vec_qIL9ggml_type41ELi5ELb0ELb0EEvPKvS2_PKi31ggml_cuda_mm_fusion_args_devicePfj15HIP_vector_typeIjLj3EEjjjS8_jjjS8_jjjj
                                        ; -- End function
	.set _ZL13mul_mat_vec_qIL9ggml_type41ELi5ELb0ELb0EEvPKvS2_PKi31ggml_cuda_mm_fusion_args_devicePfj15HIP_vector_typeIjLj3EEjjjS8_jjjS8_jjjj.num_vgpr, 88
	.set _ZL13mul_mat_vec_qIL9ggml_type41ELi5ELb0ELb0EEvPKvS2_PKi31ggml_cuda_mm_fusion_args_devicePfj15HIP_vector_typeIjLj3EEjjjS8_jjjS8_jjjj.num_agpr, 0
	.set _ZL13mul_mat_vec_qIL9ggml_type41ELi5ELb0ELb0EEvPKvS2_PKi31ggml_cuda_mm_fusion_args_devicePfj15HIP_vector_typeIjLj3EEjjjS8_jjjS8_jjjj.numbered_sgpr, 29
	.set _ZL13mul_mat_vec_qIL9ggml_type41ELi5ELb0ELb0EEvPKvS2_PKi31ggml_cuda_mm_fusion_args_devicePfj15HIP_vector_typeIjLj3EEjjjS8_jjjS8_jjjj.num_named_barrier, 0
	.set _ZL13mul_mat_vec_qIL9ggml_type41ELi5ELb0ELb0EEvPKvS2_PKi31ggml_cuda_mm_fusion_args_devicePfj15HIP_vector_typeIjLj3EEjjjS8_jjjS8_jjjj.private_seg_size, 0
	.set _ZL13mul_mat_vec_qIL9ggml_type41ELi5ELb0ELb0EEvPKvS2_PKi31ggml_cuda_mm_fusion_args_devicePfj15HIP_vector_typeIjLj3EEjjjS8_jjjS8_jjjj.uses_vcc, 1
	.set _ZL13mul_mat_vec_qIL9ggml_type41ELi5ELb0ELb0EEvPKvS2_PKi31ggml_cuda_mm_fusion_args_devicePfj15HIP_vector_typeIjLj3EEjjjS8_jjjS8_jjjj.uses_flat_scratch, 0
	.set _ZL13mul_mat_vec_qIL9ggml_type41ELi5ELb0ELb0EEvPKvS2_PKi31ggml_cuda_mm_fusion_args_devicePfj15HIP_vector_typeIjLj3EEjjjS8_jjjS8_jjjj.has_dyn_sized_stack, 0
	.set _ZL13mul_mat_vec_qIL9ggml_type41ELi5ELb0ELb0EEvPKvS2_PKi31ggml_cuda_mm_fusion_args_devicePfj15HIP_vector_typeIjLj3EEjjjS8_jjjS8_jjjj.has_recursion, 0
	.set _ZL13mul_mat_vec_qIL9ggml_type41ELi5ELb0ELb0EEvPKvS2_PKi31ggml_cuda_mm_fusion_args_devicePfj15HIP_vector_typeIjLj3EEjjjS8_jjjS8_jjjj.has_indirect_call, 0
	.section	.AMDGPU.csdata,"",@progbits
; Kernel info:
; codeLenInByte = 3024
; TotalNumSgprs: 31
; NumVgprs: 88
; ScratchSize: 0
; MemoryBound: 0
; FloatMode: 240
; IeeeMode: 1
; LDSByteSize: 0 bytes/workgroup (compile time only)
; SGPRBlocks: 0
; VGPRBlocks: 10
; NumSGPRsForWavesPerEU: 31
; NumVGPRsForWavesPerEU: 88
; Occupancy: 16
; WaveLimiterHint : 0
; COMPUTE_PGM_RSRC2:SCRATCH_EN: 0
; COMPUTE_PGM_RSRC2:USER_SGPR: 2
; COMPUTE_PGM_RSRC2:TRAP_HANDLER: 0
; COMPUTE_PGM_RSRC2:TGID_X_EN: 1
; COMPUTE_PGM_RSRC2:TGID_Y_EN: 1
; COMPUTE_PGM_RSRC2:TGID_Z_EN: 1
; COMPUTE_PGM_RSRC2:TIDIG_COMP_CNT: 1
	.section	.text._ZL13mul_mat_vec_qIL9ggml_type41ELi6ELb0ELb0EEvPKvS2_PKi31ggml_cuda_mm_fusion_args_devicePfj15HIP_vector_typeIjLj3EEjjjS8_jjjS8_jjjj,"axG",@progbits,_ZL13mul_mat_vec_qIL9ggml_type41ELi6ELb0ELb0EEvPKvS2_PKi31ggml_cuda_mm_fusion_args_devicePfj15HIP_vector_typeIjLj3EEjjjS8_jjjS8_jjjj,comdat
	.globl	_ZL13mul_mat_vec_qIL9ggml_type41ELi6ELb0ELb0EEvPKvS2_PKi31ggml_cuda_mm_fusion_args_devicePfj15HIP_vector_typeIjLj3EEjjjS8_jjjS8_jjjj ; -- Begin function _ZL13mul_mat_vec_qIL9ggml_type41ELi6ELb0ELb0EEvPKvS2_PKi31ggml_cuda_mm_fusion_args_devicePfj15HIP_vector_typeIjLj3EEjjjS8_jjjS8_jjjj
	.p2align	8
	.type	_ZL13mul_mat_vec_qIL9ggml_type41ELi6ELb0ELb0EEvPKvS2_PKi31ggml_cuda_mm_fusion_args_devicePfj15HIP_vector_typeIjLj3EEjjjS8_jjjS8_jjjj,@function
_ZL13mul_mat_vec_qIL9ggml_type41ELi6ELb0ELb0EEvPKvS2_PKi31ggml_cuda_mm_fusion_args_devicePfj15HIP_vector_typeIjLj3EEjjjS8_jjjS8_jjjj: ; @_ZL13mul_mat_vec_qIL9ggml_type41ELi6ELb0ELb0EEvPKvS2_PKi31ggml_cuda_mm_fusion_args_devicePfj15HIP_vector_typeIjLj3EEjjjS8_jjjS8_jjjj
; %bb.0:
	s_clause 0x5
	s_load_b96 s[16:18], s[0:1], 0x80
	s_load_b32 s12, s[0:1], 0x40
	s_load_b128 s[4:7], s[0:1], 0x50
	s_load_b32 s3, s[0:1], 0x60
	s_load_b128 s[8:11], s[0:1], 0x68
	s_load_b32 s2, s[0:1], 0x78
	v_bfe_u32 v11, v0, 10, 10
	v_dual_mov_b32 v7, 0 :: v_dual_and_b32 v8, 0x3ff, v0
	v_dual_mov_b32 v6, 0 :: v_dual_mov_b32 v9, 0
	v_mov_b32_e32 v10, 0
	s_delay_alu instid0(VALU_DEP_3)
	v_lshl_or_b32 v0, v11, 5, v8
	v_mov_b32_e32 v12, 0
	v_mov_b32_e32 v14, 0
	s_and_b32 s19, ttmp7, 0xffff
	s_lshr_b32 s22, ttmp7, 16
	v_lshrrev_b32_e32 v13, 2, v0
	s_mov_b32 s23, exec_lo
	s_wait_kmcnt 0x0
	s_lshr_b32 s24, s12, 7
	s_delay_alu instid0(VALU_DEP_1) | instid1(SALU_CYCLE_1)
	v_cmpx_gt_u32_e64 s24, v13
	s_cbranch_execz .LBB9_4
; %bb.1:
	v_lshl_add_u32 v0, v11, 5, v8
	s_mov_b32 s21, 0
	s_mul_i32 s26, s9, s19
	s_mov_b32 s27, s21
	s_load_b128 s[12:15], s[0:1], 0x0
	v_lshrrev_b32_e32 v0, 2, v0
	s_mul_u64 s[26:27], s[26:27], 36
	s_mul_i32 s20, s17, s22
	s_mul_hi_u32 s7, s7, s19
	v_dual_mov_b32 v19, 0xff0000 :: v_dual_and_b32 v4, 3, v8
	v_mad_co_u64_u32 v[0:1], null, 0x90, v0, s[26:27]
	s_add_co_i32 s7, s19, s7
	s_mul_hi_u32 s9, s11, s22
	s_lshr_b32 s3, s7, s3
	s_add_co_i32 s7, s22, s9
	s_mul_u64 s[28:29], s[20:21], 36
	s_lshr_b32 s2, s7, s2
	v_mad_co_u64_u32 v[2:3], null, s20, 36, v[0:1]
	v_dual_mov_b32 v6, 0 :: v_dual_lshlrev_b32 v15, 2, v4
	v_dual_mov_b32 v20, 0xff000000 :: v_dual_lshlrev_b32 v5, 2, v13
	s_mul_i32 s7, s3, s8
	s_mul_i32 s8, s2, s16
	s_delay_alu instid0(VALU_DEP_3)
	v_mad_co_u64_u32 v[9:10], null, v4, 36, v[2:3]
	s_wait_kmcnt 0x0
	s_add_nc_u64 s[2:3], s[14:15], s[28:29]
	v_mad_co_u64_u32 v[2:3], null, s5, 5, v[5:6]
	s_add_nc_u64 s[2:3], s[2:3], s[26:27]
	s_mul_i32 s4, s4, ttmp9
	v_mad_co_u64_u32 v[0:1], null, v4, 36, s[2:3]
	v_mad_co_u64_u32 v[3:4], null, s5, 3, v[5:6]
	v_add_co_u32 v4, vcc_lo, s14, v9
	s_delay_alu instid0(VALU_DEP_1) | instskip(SKIP_1) | instid1(VALU_DEP_3)
	v_add_co_ci_u32_e64 v7, null, s15, v10, vcc_lo
	v_add_lshl_u32 v16, s5, v13, 2
	v_add_co_u32 v4, vcc_lo, v4, 16
	v_dual_mov_b32 v10, 0 :: v_dual_add_nc_u32 v17, s5, v5
	v_lshl_add_u32 v18, s5, 1, v5
	s_wait_alu 0xfffd
	v_add_co_ci_u32_e64 v5, null, 0, v7, vcc_lo
	v_dual_mov_b32 v7, 0 :: v_dual_mov_b32 v12, 0
	v_dual_mov_b32 v9, 0 :: v_dual_mov_b32 v14, 0
	s_wait_alu 0xfffe
	s_add_co_i32 s7, s7, s4
	s_delay_alu instid0(SALU_CYCLE_1)
	s_add_co_i32 s7, s8, s7
.LBB9_2:                                ; =>This Inner Loop Header: Depth=1
	v_mad_co_u64_u32 v[49:50], null, v17, 36, v[0:1]
	v_add_nc_u32_e32 v25, s7, v13
	v_mad_co_u64_u32 v[69:70], null, v18, 36, v[0:1]
	v_mad_co_u64_u32 v[57:58], null, v3, 36, v[0:1]
	;; [unrolled: 1-line block ×3, first 2 shown]
	s_delay_alu instid0(VALU_DEP_4)
	v_mad_co_i64_i32 v[41:42], null, v25, 18, s[12:13]
	global_load_b128 v[21:24], v[4:5], off offset:-16
	s_clause 0x3
	global_load_b128 v[25:28], v[49:50], off
	global_load_b128 v[29:32], v[69:70], off
	;; [unrolled: 1-line block ×4, first 2 shown]
	v_mad_co_u64_u32 v[73:74], null, v2, 36, v[0:1]
	v_add_co_u32 v43, vcc_lo, v41, v15
	s_wait_alu 0xfffd
	v_add_co_ci_u32_e64 v44, null, 0, v42, vcc_lo
	s_clause 0x1
	global_load_u16 v75, v[41:42], off
	global_load_b32 v76, v[43:44], off offset:2
	s_clause 0x2
	global_load_b128 v[41:44], v[73:74], off
	global_load_b32 v77, v[49:50], off offset:32
	global_load_b32 v78, v[57:58], off offset:32
	global_load_b128 v[45:48], v[4:5], off
	s_clause 0x6
	global_load_b128 v[49:52], v[49:50], off offset:16
	global_load_b128 v[53:56], v[69:70], off offset:16
	;; [unrolled: 1-line block ×5, first 2 shown]
	global_load_b32 v69, v[69:70], off offset:32
	global_load_b32 v70, v[71:72], off offset:32
	;; [unrolled: 1-line block ×4, first 2 shown]
	v_add_co_u32 v4, vcc_lo, 0x480, v4
	s_wait_alu 0xfffd
	v_add_co_ci_u32_e64 v5, null, 0, v5, vcc_lo
	s_wait_loadcnt 0xe
	v_cvt_f32_f16_e32 v73, v75
	s_wait_loadcnt 0xd
	v_and_b32_e32 v75, 4, v76
	v_cvt_f32_f16_e32 v33, v33
	v_and_b32_e32 v74, 1, v76
	v_and_b32_e32 v79, 8, v76
	;; [unrolled: 1-line block ×3, first 2 shown]
	v_cvt_f32_f16_e32 v37, v37
	v_mul_f32_e32 v33, v73, v33
	v_cmp_eq_u32_e64 s3, 0, v74
	v_lshlrev_b32_e32 v80, 8, v76
	v_and_b32_e32 v83, 0x80, v76
	v_cmp_eq_u32_e64 s2, 0, v79
	v_lshlrev_b32_e32 v84, 4, v76
	s_wait_alu 0xf1ff
	v_cndmask_b32_e64 v74, 1, 0xff, s3
	v_cmp_eq_u32_e64 s3, 0, v75
	v_and_b32_e32 v85, 0x100, v76
	v_mul_f32_e32 v37, v73, v37
	s_wait_loadcnt 0xc
	v_cvt_f32_f16_e32 v41, v41
	v_and_or_b32 v74, 0x200, v80, v74
	s_wait_alu 0xf1ff
	v_cndmask_b32_e64 v75, 0x10000, v19, s3
	v_cmp_eq_u32_e64 s3, 0, v81
	v_cndmask_b32_e64 v80, 0x1000000, v20, s2
	v_cmp_eq_u32_e64 s2, 0, v83
	v_dual_mul_f32 v41, v73, v41 :: v_dual_and_b32 v82, 64, v76
	s_wait_alu 0xf1ff
	v_cndmask_b32_e64 v81, 1, 0xff, s3
	v_and_b32_e32 v79, 0x400, v76
	v_add_nc_u32_e32 v74, 0xff00, v74
	v_cmp_eq_u32_e64 s3, 0, v82
	v_and_b32_e32 v83, 0x4000, v76
	v_and_or_b32 v81, 0x200, v84, v81
	v_cndmask_b32_e64 v84, 0x1000000, v20, s2
	v_cmp_eq_u32_e64 s2, 0, v85
	v_or3_b32 v74, v80, v75, v74
	v_and_b32_e32 v75, 0x800, v76
	v_and_b32_e32 v80, 0x1000, v76
	s_wait_alu 0xf1ff
	v_cndmask_b32_e64 v82, 0x10000, v19, s3
	v_cndmask_b32_e64 v85, 1, 0xff, s2
	v_cmp_eq_u32_e64 s2, 0, v79
	v_add_nc_u32_e32 v81, 0xff00, v81
	v_cmp_eq_u32_e64 s3, 0, v80
	v_dot4_i32_iu8 v22, v74, v22, 0 neg_lo:[1,1,0]
	v_and_or_b32 v85, 0x200, v76, v85
	s_wait_alu 0xf1ff
	v_cndmask_b32_e64 v79, 0x10000, v19, s2
	v_cmp_eq_u32_e64 s2, 0, v75
	v_or3_b32 v81, v84, v82, v81
	v_and_b32_e32 v82, 0x8000, v76
	v_lshrrev_b32_e32 v84, 4, v76
	v_add_nc_u32_e32 v85, 0xff00, v85
	s_wait_alu 0xf1ff
	v_cndmask_b32_e64 v75, 0x1000000, v20, s2
	v_cndmask_b32_e64 v80, 1, 0xff, s3
	v_cmp_eq_u32_e64 s2, 0, v82
	v_cmp_eq_u32_e64 s3, 0, v83
	v_and_b32_e32 v82, 0x80000, v76
	v_or3_b32 v75, v75, v79, v85
	v_and_b32_e32 v79, 0x10000, v76
	v_and_or_b32 v80, 0x200, v84, v80
	s_wait_alu 0xf1ff
	v_cndmask_b32_e64 v83, 0x10000, v19, s3
	v_cndmask_b32_e64 v84, 0x1000000, v20, s2
	v_and_b32_e32 v85, 0x40000, v76
	v_cmp_eq_u32_e64 s3, 0, v79
	v_add_nc_u32_e32 v80, 0xff00, v80
	v_cmp_eq_u32_e64 s2, 0, v82
	v_and_b32_e32 v82, 0x800000, v76
	v_dot4_i32_iu8 v22, v81, v23, v22 neg_lo:[1,1,0]
	s_wait_alu 0xf1ff
	v_cndmask_b32_e64 v79, 1, 0xff, s3
	v_or3_b32 v80, v84, v83, v80
	v_lshrrev_b32_e32 v83, 8, v76
	v_and_b32_e32 v84, 0x100000, v76
	v_cmp_eq_u32_e64 s3, 0, v85
	v_cvt_f32_f16_e32 v21, v21
	v_cvt_f32_f16_e32 v25, v25
	v_and_or_b32 v79, 0x200, v83, v79
	v_cndmask_b32_e64 v83, 0x1000000, v20, s2
	s_wait_alu 0xf1ff
	v_cndmask_b32_e64 v85, 0x10000, v19, s3
	v_cmp_eq_u32_e64 s3, 0, v84
	v_cmp_eq_u32_e64 s2, 0, v82
	v_add_nc_u32_e32 v79, 0xff00, v79
	v_cvt_f32_f16_e32 v29, v29
	v_and_b32_e32 v82, 0x1000000, v76
	s_wait_alu 0xf1ff
	v_cndmask_b32_e64 v84, 1, 0xff, s3
	v_dot4_i32_iu8 v26, v74, v26, 0 neg_lo:[1,1,0]
	v_or3_b32 v79, v83, v85, v79
	v_and_b32_e32 v83, 0x400000, v76
	v_lshrrev_b32_e32 v85, 12, v76
	v_dot4_i32_iu8 v30, v74, v30, 0 neg_lo:[1,1,0]
	v_dot4_i32_iu8 v22, v75, v24, v22 neg_lo:[1,1,0]
	;; [unrolled: 1-line block ×3, first 2 shown]
	v_cmp_eq_u32_e64 s3, 0, v83
	v_and_or_b32 v84, 0x200, v85, v84
	v_cndmask_b32_e64 v85, 0x1000000, v20, s2
	v_dot4_i32_iu8 v24, v74, v38, 0 neg_lo:[1,1,0]
	v_dot4_i32_iu8 v34, v74, v42, 0 neg_lo:[1,1,0]
	s_wait_alu 0xf1ff
	v_cndmask_b32_e64 v83, 0x10000, v19, s3
	v_add_nc_u32_e32 v84, 0xff00, v84
	v_dual_mul_f32 v21, v73, v21 :: v_dual_add_nc_u32 v16, 32, v16
	v_dual_mul_f32 v25, v73, v25 :: v_dual_add_nc_u32 v2, 32, v2
	s_delay_alu instid0(VALU_DEP_3) | instskip(SKIP_4) | instid1(VALU_DEP_4)
	v_or3_b32 v83, v85, v83, v84
	v_and_b32_e32 v84, 0x4000000, v76
	v_and_b32_e32 v85, 0x8000000, v76
	v_dual_mul_f32 v29, v73, v29 :: v_dual_add_nc_u32 v18, 32, v18
	v_lshrrev_b32_e32 v73, 16, v76
	v_cmp_eq_u32_e64 s2, 0, v84
	v_and_b32_e32 v84, 2.0, v76
	v_cmp_eq_u32_e64 s3, 0, v85
	v_ashrrev_i32_e32 v85, 28, v76
	v_and_b32_e32 v76, 0x10000000, v76
	v_cmp_eq_u32_e64 s4, 0, v82
	v_dot4_i32_iu8 v26, v81, v27, v26 neg_lo:[1,1,0]
	v_dot4_i32_iu8 v27, v81, v31, v30 neg_lo:[1,1,0]
	;; [unrolled: 1-line block ×5, first 2 shown]
	s_wait_alu 0xf1ff
	v_cndmask_b32_e64 v82, 1, 0xff, s4
	v_cmp_eq_u32_e64 s5, 0, v76
	v_dot4_i32_iu8 v26, v75, v28, v26 neg_lo:[1,1,0]
	v_dot4_i32_iu8 v27, v75, v32, v27 neg_lo:[1,1,0]
	;; [unrolled: 1-line block ×5, first 2 shown]
	v_cmp_eq_u32_e64 s4, 0, v84
	v_and_b32_e32 v84, 8, v85
	s_wait_alu 0xf1ff
	v_cndmask_b32_e64 v76, 1, 0xff, s5
	v_lshlrev_b32_e32 v85, 8, v85
	v_and_or_b32 v73, 0x200, v73, v82
	s_wait_loadcnt 0x8
	v_dot4_i32_iu8 v26, v80, v49, v26 neg_lo:[1,1,0]
	v_dot4_i32_iu8 v22, v80, v45, v22 neg_lo:[1,1,0]
	s_wait_loadcnt 0x7
	v_dot4_i32_iu8 v27, v80, v53, v27 neg_lo:[1,1,0]
	s_wait_loadcnt 0x6
	;; [unrolled: 2-line block ×4, first 2 shown]
	v_dot4_i32_iu8 v28, v80, v65, v28 neg_lo:[1,1,0]
	v_cndmask_b32_e64 v82, 0x10000, v19, s2
	v_cmp_eq_u32_e64 s2, 0, v84
	v_cndmask_b32_e64 v84, 0x1000000, v20, s3
	v_and_or_b32 v76, 0x200, v85, v76
	v_add_nc_u32_e32 v73, 0xff00, v73
	v_dot4_i32_iu8 v26, v79, v50, v26 neg_lo:[1,1,0]
	v_dot4_i32_iu8 v22, v79, v46, v22 neg_lo:[1,1,0]
	;; [unrolled: 1-line block ×6, first 2 shown]
	v_cndmask_b32_e64 v85, 0x10000, v19, s4
	v_or3_b32 v73, v84, v82, v73
	s_wait_alu 0xf1ff
	v_cndmask_b32_e64 v82, 0x1000000, v20, s2
	v_add_nc_u32_e32 v76, 0xff00, v76
	v_dot4_i32_iu8 v26, v83, v51, v26 neg_lo:[1,1,0]
	v_dot4_i32_iu8 v22, v83, v47, v22 neg_lo:[1,1,0]
	;; [unrolled: 1-line block ×6, first 2 shown]
	v_or3_b32 v76, v82, v85, v76
	v_dot4_i32_iu8 v26, v73, v52, v26 neg_lo:[1,1,0]
	v_dot4_i32_iu8 v22, v73, v48, v22 neg_lo:[1,1,0]
	;; [unrolled: 1-line block ×7, first 2 shown]
	s_wait_loadcnt 0x1
	v_dot4_i32_iu8 v22, v76, v71, v22 neg_lo:[1,1,0]
	v_dot4_i32_iu8 v27, v76, v69, v27 neg_lo:[1,1,0]
	;; [unrolled: 1-line block ×4, first 2 shown]
	s_wait_loadcnt 0x0
	v_dot4_i32_iu8 v28, v76, v72, v28 neg_lo:[1,1,0]
	v_cvt_f32_i32_e32 v26, v26
	v_add_nc_u32_e32 v13, 8, v13
	v_cvt_f32_i32_e32 v22, v22
	v_cvt_f32_i32_e32 v27, v27
	;; [unrolled: 1-line block ×5, first 2 shown]
	v_fmac_f32_e32 v12, v25, v26
	v_cmp_le_u32_e32 vcc_lo, s24, v13
	v_dual_fmac_f32 v10, v29, v27 :: v_dual_add_nc_u32 v17, 32, v17
	s_delay_alu instid0(VALU_DEP_4)
	v_dual_fmac_f32 v6, v41, v28 :: v_dual_add_nc_u32 v3, 32, v3
	v_fmac_f32_e32 v14, v21, v22
	v_fmac_f32_e32 v9, v33, v23
	;; [unrolled: 1-line block ×3, first 2 shown]
	s_or_b32 s21, vcc_lo, s21
	s_wait_alu 0xfffe
	s_and_not1_b32 exec_lo, exec_lo, s21
	s_cbranch_execnz .LBB9_2
; %bb.3:
	s_or_b32 exec_lo, exec_lo, s21
.LBB9_4:
	s_delay_alu instid0(SALU_CYCLE_1)
	s_or_b32 exec_lo, exec_lo, s23
	s_mov_b32 s3, 0
	; wave barrier
	global_inv scope:SCOPE_SE
	s_mov_b32 s2, exec_lo
	v_cmpx_eq_u32_e32 0, v11
	s_cbranch_execz .LBB9_17
; %bb.5:
	v_mbcnt_lo_u32_b32 v4, -1, 0
	s_load_b64 s[0:1], s[0:1], 0x38
	s_mul_i32 s2, s10, s19
	s_mul_i32 s4, s18, s22
	s_wait_alu 0xfffe
	s_add_co_i32 s2, s2, ttmp9
	v_xor_b32_e32 v0, 16, v4
	v_xor_b32_e32 v1, 8, v4
	;; [unrolled: 1-line block ×3, first 2 shown]
	s_wait_alu 0xfffe
	s_add_co_i32 s2, s2, s4
	s_wait_alu 0xfffe
	s_lshl_b64 s[2:3], s[2:3], 2
	v_cmp_gt_i32_e32 vcc_lo, 32, v0
	s_wait_alu 0xfffd
	v_cndmask_b32_e32 v0, v4, v0, vcc_lo
	v_cmp_gt_i32_e32 vcc_lo, 32, v1
	s_wait_kmcnt 0x0
	s_wait_alu 0xfffe
	s_add_nc_u64 s[0:1], s[0:1], s[2:3]
	s_wait_alu 0xfffd
	v_cndmask_b32_e32 v1, v4, v1, vcc_lo
	s_delay_alu instid0(VALU_DEP_1)
	v_lshlrev_b32_e32 v1, 2, v1
	v_lshlrev_b32_e32 v0, 2, v0
	ds_bpermute_b32 v2, v0, v14
	s_wait_dscnt 0x0
	v_add_f32_e32 v3, v14, v2
	v_xor_b32_e32 v2, 4, v4
	ds_bpermute_b32 v5, v1, v3
	v_cmp_gt_i32_e32 vcc_lo, 32, v2
	s_wait_dscnt 0x0
	s_wait_alu 0xfffd
	v_dual_cndmask_b32 v2, v4, v2 :: v_dual_add_f32 v5, v3, v5
	s_delay_alu instid0(VALU_DEP_1)
	v_lshlrev_b32_e32 v2, 2, v2
	v_xor_b32_e32 v3, 2, v4
	ds_bpermute_b32 v11, v2, v5
	v_cmp_gt_i32_e32 vcc_lo, 32, v3
	s_wait_alu 0xfffd
	v_cndmask_b32_e32 v3, v4, v3, vcc_lo
	v_cmp_gt_i32_e32 vcc_lo, 32, v13
	s_wait_alu 0xfffd
	v_cndmask_b32_e32 v4, v4, v13, vcc_lo
	v_cmp_eq_u32_e32 vcc_lo, 0, v8
	s_delay_alu instid0(VALU_DEP_2)
	v_lshlrev_b32_e32 v4, 2, v4
	v_lshlrev_b32_e32 v3, 2, v3
	s_wait_dscnt 0x0
	v_add_f32_e32 v5, v5, v11
	ds_bpermute_b32 v11, v3, v5
	s_wait_dscnt 0x0
	v_add_f32_e32 v5, v5, v11
	ds_bpermute_b32 v11, v4, v5
	s_and_saveexec_b32 s2, vcc_lo
	s_cbranch_execz .LBB9_7
; %bb.6:
	s_wait_dscnt 0x0
	v_dual_add_f32 v5, v5, v11 :: v_dual_mov_b32 v8, 0
	global_store_b32 v8, v5, s[0:1]
.LBB9_7:
	s_wait_alu 0xfffe
	s_or_b32 exec_lo, exec_lo, s2
	ds_bpermute_b32 v5, v0, v12
	s_wait_dscnt 0x0
	v_add_f32_e32 v5, v12, v5
	ds_bpermute_b32 v8, v1, v5
	s_wait_dscnt 0x0
	v_add_f32_e32 v5, v5, v8
	;; [unrolled: 3-line block ×4, first 2 shown]
	ds_bpermute_b32 v8, v4, v5
	s_and_saveexec_b32 s2, vcc_lo
	s_cbranch_execz .LBB9_9
; %bb.8:
	s_mov_b32 s7, 0
	s_wait_dscnt 0x0
	v_dual_add_f32 v5, v5, v8 :: v_dual_mov_b32 v8, 0
	s_wait_alu 0xfffe
	s_lshl_b64 s[4:5], s[6:7], 2
	s_wait_alu 0xfffe
	s_add_nc_u64 s[4:5], s[0:1], s[4:5]
	global_store_b32 v8, v5, s[4:5]
.LBB9_9:
	s_wait_alu 0xfffe
	s_or_b32 exec_lo, exec_lo, s2
	ds_bpermute_b32 v5, v0, v10
	s_wait_dscnt 0x0
	v_add_f32_e32 v5, v10, v5
	ds_bpermute_b32 v8, v1, v5
	s_wait_dscnt 0x0
	v_add_f32_e32 v5, v5, v8
	;; [unrolled: 3-line block ×4, first 2 shown]
	ds_bpermute_b32 v8, v4, v5
	s_and_saveexec_b32 s2, vcc_lo
	s_cbranch_execz .LBB9_11
; %bb.10:
	s_lshl_b32 s4, s6, 1
	s_mov_b32 s5, 0
	s_wait_dscnt 0x0
	v_dual_add_f32 v5, v5, v8 :: v_dual_mov_b32 v8, 0
	s_wait_alu 0xfffe
	s_lshl_b64 s[4:5], s[4:5], 2
	s_wait_alu 0xfffe
	s_add_nc_u64 s[4:5], s[0:1], s[4:5]
	global_store_b32 v8, v5, s[4:5]
.LBB9_11:
	s_wait_alu 0xfffe
	s_or_b32 exec_lo, exec_lo, s2
	ds_bpermute_b32 v5, v0, v9
	s_wait_dscnt 0x0
	v_add_f32_e32 v5, v9, v5
	ds_bpermute_b32 v8, v1, v5
	s_wait_dscnt 0x0
	v_add_f32_e32 v5, v5, v8
	;; [unrolled: 3-line block ×4, first 2 shown]
	ds_bpermute_b32 v8, v4, v5
	s_and_saveexec_b32 s2, vcc_lo
	s_cbranch_execz .LBB9_13
; %bb.12:
	s_mul_i32 s4, s6, 3
	s_mov_b32 s5, 0
	s_wait_dscnt 0x0
	v_dual_add_f32 v5, v5, v8 :: v_dual_mov_b32 v8, 0
	s_wait_alu 0xfffe
	s_lshl_b64 s[4:5], s[4:5], 2
	s_wait_alu 0xfffe
	s_add_nc_u64 s[4:5], s[0:1], s[4:5]
	global_store_b32 v8, v5, s[4:5]
.LBB9_13:
	s_wait_alu 0xfffe
	s_or_b32 exec_lo, exec_lo, s2
	ds_bpermute_b32 v5, v0, v7
	s_wait_dscnt 0x0
	v_add_f32_e32 v5, v7, v5
	ds_bpermute_b32 v7, v1, v5
	s_wait_dscnt 0x0
	v_add_f32_e32 v5, v5, v7
	;; [unrolled: 3-line block ×4, first 2 shown]
	ds_bpermute_b32 v7, v4, v5
	s_and_saveexec_b32 s2, vcc_lo
	s_cbranch_execz .LBB9_15
; %bb.14:
	s_lshl_b32 s4, s6, 2
	s_mov_b32 s5, 0
	s_wait_dscnt 0x0
	v_add_f32_e32 v5, v5, v7
	v_mov_b32_e32 v7, 0
	s_wait_alu 0xfffe
	s_lshl_b64 s[4:5], s[4:5], 2
	s_wait_alu 0xfffe
	s_add_nc_u64 s[4:5], s[0:1], s[4:5]
	global_store_b32 v7, v5, s[4:5]
.LBB9_15:
	s_wait_alu 0xfffe
	s_or_b32 exec_lo, exec_lo, s2
	ds_bpermute_b32 v0, v0, v6
	s_wait_dscnt 0x0
	v_add_f32_e32 v0, v6, v0
	ds_bpermute_b32 v1, v1, v0
	s_wait_dscnt 0x0
	v_add_f32_e32 v0, v0, v1
	;; [unrolled: 3-line block ×4, first 2 shown]
	ds_bpermute_b32 v1, v4, v0
	s_and_b32 exec_lo, exec_lo, vcc_lo
	s_cbranch_execz .LBB9_17
; %bb.16:
	s_mul_i32 s2, s6, 5
	s_mov_b32 s3, 0
	s_wait_dscnt 0x0
	v_dual_add_f32 v0, v0, v1 :: v_dual_mov_b32 v1, 0
	s_wait_alu 0xfffe
	s_lshl_b64 s[2:3], s[2:3], 2
	s_wait_alu 0xfffe
	s_add_nc_u64 s[0:1], s[0:1], s[2:3]
	global_store_b32 v1, v0, s[0:1]
.LBB9_17:
	s_endpgm
	.section	.rodata,"a",@progbits
	.p2align	6, 0x0
	.amdhsa_kernel _ZL13mul_mat_vec_qIL9ggml_type41ELi6ELb0ELb0EEvPKvS2_PKi31ggml_cuda_mm_fusion_args_devicePfj15HIP_vector_typeIjLj3EEjjjS8_jjjS8_jjjj
		.amdhsa_group_segment_fixed_size 0
		.amdhsa_private_segment_fixed_size 0
		.amdhsa_kernarg_size 144
		.amdhsa_user_sgpr_count 2
		.amdhsa_user_sgpr_dispatch_ptr 0
		.amdhsa_user_sgpr_queue_ptr 0
		.amdhsa_user_sgpr_kernarg_segment_ptr 1
		.amdhsa_user_sgpr_dispatch_id 0
		.amdhsa_user_sgpr_private_segment_size 0
		.amdhsa_wavefront_size32 1
		.amdhsa_uses_dynamic_stack 0
		.amdhsa_enable_private_segment 0
		.amdhsa_system_sgpr_workgroup_id_x 1
		.amdhsa_system_sgpr_workgroup_id_y 1
		.amdhsa_system_sgpr_workgroup_id_z 1
		.amdhsa_system_sgpr_workgroup_info 0
		.amdhsa_system_vgpr_workitem_id 1
		.amdhsa_next_free_vgpr 86
		.amdhsa_next_free_sgpr 30
		.amdhsa_reserve_vcc 1
		.amdhsa_float_round_mode_32 0
		.amdhsa_float_round_mode_16_64 0
		.amdhsa_float_denorm_mode_32 3
		.amdhsa_float_denorm_mode_16_64 3
		.amdhsa_fp16_overflow 0
		.amdhsa_workgroup_processor_mode 1
		.amdhsa_memory_ordered 1
		.amdhsa_forward_progress 1
		.amdhsa_inst_pref_size 26
		.amdhsa_round_robin_scheduling 0
		.amdhsa_exception_fp_ieee_invalid_op 0
		.amdhsa_exception_fp_denorm_src 0
		.amdhsa_exception_fp_ieee_div_zero 0
		.amdhsa_exception_fp_ieee_overflow 0
		.amdhsa_exception_fp_ieee_underflow 0
		.amdhsa_exception_fp_ieee_inexact 0
		.amdhsa_exception_int_div_zero 0
	.end_amdhsa_kernel
	.section	.text._ZL13mul_mat_vec_qIL9ggml_type41ELi6ELb0ELb0EEvPKvS2_PKi31ggml_cuda_mm_fusion_args_devicePfj15HIP_vector_typeIjLj3EEjjjS8_jjjS8_jjjj,"axG",@progbits,_ZL13mul_mat_vec_qIL9ggml_type41ELi6ELb0ELb0EEvPKvS2_PKi31ggml_cuda_mm_fusion_args_devicePfj15HIP_vector_typeIjLj3EEjjjS8_jjjS8_jjjj,comdat
.Lfunc_end9:
	.size	_ZL13mul_mat_vec_qIL9ggml_type41ELi6ELb0ELb0EEvPKvS2_PKi31ggml_cuda_mm_fusion_args_devicePfj15HIP_vector_typeIjLj3EEjjjS8_jjjS8_jjjj, .Lfunc_end9-_ZL13mul_mat_vec_qIL9ggml_type41ELi6ELb0ELb0EEvPKvS2_PKi31ggml_cuda_mm_fusion_args_devicePfj15HIP_vector_typeIjLj3EEjjjS8_jjjS8_jjjj
                                        ; -- End function
	.set _ZL13mul_mat_vec_qIL9ggml_type41ELi6ELb0ELb0EEvPKvS2_PKi31ggml_cuda_mm_fusion_args_devicePfj15HIP_vector_typeIjLj3EEjjjS8_jjjS8_jjjj.num_vgpr, 86
	.set _ZL13mul_mat_vec_qIL9ggml_type41ELi6ELb0ELb0EEvPKvS2_PKi31ggml_cuda_mm_fusion_args_devicePfj15HIP_vector_typeIjLj3EEjjjS8_jjjS8_jjjj.num_agpr, 0
	.set _ZL13mul_mat_vec_qIL9ggml_type41ELi6ELb0ELb0EEvPKvS2_PKi31ggml_cuda_mm_fusion_args_devicePfj15HIP_vector_typeIjLj3EEjjjS8_jjjS8_jjjj.numbered_sgpr, 30
	.set _ZL13mul_mat_vec_qIL9ggml_type41ELi6ELb0ELb0EEvPKvS2_PKi31ggml_cuda_mm_fusion_args_devicePfj15HIP_vector_typeIjLj3EEjjjS8_jjjS8_jjjj.num_named_barrier, 0
	.set _ZL13mul_mat_vec_qIL9ggml_type41ELi6ELb0ELb0EEvPKvS2_PKi31ggml_cuda_mm_fusion_args_devicePfj15HIP_vector_typeIjLj3EEjjjS8_jjjS8_jjjj.private_seg_size, 0
	.set _ZL13mul_mat_vec_qIL9ggml_type41ELi6ELb0ELb0EEvPKvS2_PKi31ggml_cuda_mm_fusion_args_devicePfj15HIP_vector_typeIjLj3EEjjjS8_jjjS8_jjjj.uses_vcc, 1
	.set _ZL13mul_mat_vec_qIL9ggml_type41ELi6ELb0ELb0EEvPKvS2_PKi31ggml_cuda_mm_fusion_args_devicePfj15HIP_vector_typeIjLj3EEjjjS8_jjjS8_jjjj.uses_flat_scratch, 0
	.set _ZL13mul_mat_vec_qIL9ggml_type41ELi6ELb0ELb0EEvPKvS2_PKi31ggml_cuda_mm_fusion_args_devicePfj15HIP_vector_typeIjLj3EEjjjS8_jjjS8_jjjj.has_dyn_sized_stack, 0
	.set _ZL13mul_mat_vec_qIL9ggml_type41ELi6ELb0ELb0EEvPKvS2_PKi31ggml_cuda_mm_fusion_args_devicePfj15HIP_vector_typeIjLj3EEjjjS8_jjjS8_jjjj.has_recursion, 0
	.set _ZL13mul_mat_vec_qIL9ggml_type41ELi6ELb0ELb0EEvPKvS2_PKi31ggml_cuda_mm_fusion_args_devicePfj15HIP_vector_typeIjLj3EEjjjS8_jjjS8_jjjj.has_indirect_call, 0
	.section	.AMDGPU.csdata,"",@progbits
; Kernel info:
; codeLenInByte = 3312
; TotalNumSgprs: 32
; NumVgprs: 86
; ScratchSize: 0
; MemoryBound: 0
; FloatMode: 240
; IeeeMode: 1
; LDSByteSize: 0 bytes/workgroup (compile time only)
; SGPRBlocks: 0
; VGPRBlocks: 10
; NumSGPRsForWavesPerEU: 32
; NumVGPRsForWavesPerEU: 86
; Occupancy: 16
; WaveLimiterHint : 0
; COMPUTE_PGM_RSRC2:SCRATCH_EN: 0
; COMPUTE_PGM_RSRC2:USER_SGPR: 2
; COMPUTE_PGM_RSRC2:TRAP_HANDLER: 0
; COMPUTE_PGM_RSRC2:TGID_X_EN: 1
; COMPUTE_PGM_RSRC2:TGID_Y_EN: 1
; COMPUTE_PGM_RSRC2:TGID_Z_EN: 1
; COMPUTE_PGM_RSRC2:TIDIG_COMP_CNT: 1
	.section	.text._ZL13mul_mat_vec_qIL9ggml_type41ELi7ELb0ELb0EEvPKvS2_PKi31ggml_cuda_mm_fusion_args_devicePfj15HIP_vector_typeIjLj3EEjjjS8_jjjS8_jjjj,"axG",@progbits,_ZL13mul_mat_vec_qIL9ggml_type41ELi7ELb0ELb0EEvPKvS2_PKi31ggml_cuda_mm_fusion_args_devicePfj15HIP_vector_typeIjLj3EEjjjS8_jjjS8_jjjj,comdat
	.globl	_ZL13mul_mat_vec_qIL9ggml_type41ELi7ELb0ELb0EEvPKvS2_PKi31ggml_cuda_mm_fusion_args_devicePfj15HIP_vector_typeIjLj3EEjjjS8_jjjS8_jjjj ; -- Begin function _ZL13mul_mat_vec_qIL9ggml_type41ELi7ELb0ELb0EEvPKvS2_PKi31ggml_cuda_mm_fusion_args_devicePfj15HIP_vector_typeIjLj3EEjjjS8_jjjS8_jjjj
	.p2align	8
	.type	_ZL13mul_mat_vec_qIL9ggml_type41ELi7ELb0ELb0EEvPKvS2_PKi31ggml_cuda_mm_fusion_args_devicePfj15HIP_vector_typeIjLj3EEjjjS8_jjjS8_jjjj,@function
_ZL13mul_mat_vec_qIL9ggml_type41ELi7ELb0ELb0EEvPKvS2_PKi31ggml_cuda_mm_fusion_args_devicePfj15HIP_vector_typeIjLj3EEjjjS8_jjjS8_jjjj: ; @_ZL13mul_mat_vec_qIL9ggml_type41ELi7ELb0ELb0EEvPKvS2_PKi31ggml_cuda_mm_fusion_args_devicePfj15HIP_vector_typeIjLj3EEjjjS8_jjjS8_jjjj
; %bb.0:
	s_clause 0x5
	s_load_b96 s[16:18], s[0:1], 0x80
	s_load_b32 s12, s[0:1], 0x40
	s_load_b128 s[4:7], s[0:1], 0x50
	s_load_b32 s2, s[0:1], 0x60
	s_load_b128 s[8:11], s[0:1], 0x68
	s_load_b32 s3, s[0:1], 0x78
	v_bfe_u32 v13, v0, 10, 10
	v_dual_mov_b32 v8, 0 :: v_dual_and_b32 v9, 0x3ff, v0
	v_dual_mov_b32 v7, 0 :: v_dual_mov_b32 v10, 0
	v_dual_mov_b32 v11, 0 :: v_dual_mov_b32 v12, 0
	s_delay_alu instid0(VALU_DEP_3)
	v_lshl_or_b32 v0, v13, 5, v9
	v_mov_b32_e32 v14, 0
	v_mov_b32_e32 v16, 0
	s_and_b32 s19, ttmp7, 0xffff
	s_lshr_b32 s22, ttmp7, 16
	v_lshrrev_b32_e32 v15, 2, v0
	s_mov_b32 s23, exec_lo
	s_wait_kmcnt 0x0
	s_lshr_b32 s24, s12, 7
	s_delay_alu instid0(VALU_DEP_1) | instid1(SALU_CYCLE_1)
	v_cmpx_gt_u32_e64 s24, v15
	s_cbranch_execz .LBB10_4
; %bb.1:
	v_lshl_add_u32 v0, v13, 5, v9
	s_mov_b32 s21, 0
	s_mul_i32 s26, s9, s19
	s_mov_b32 s27, s21
	s_load_b128 s[12:15], s[0:1], 0x0
	v_lshrrev_b32_e32 v0, 2, v0
	s_mul_u64 s[26:27], s[26:27], 36
	s_mul_i32 s20, s17, s22
	v_dual_mov_b32 v7, 0 :: v_dual_and_b32 v4, 3, v9
	s_delay_alu instid0(VALU_DEP_2)
	v_mad_co_u64_u32 v[0:1], null, 0x90, v0, s[26:27]
	s_mul_hi_u32 s7, s7, s19
	s_mul_hi_u32 s11, s11, s22
	s_add_co_i32 s7, s19, s7
	s_add_co_i32 s9, s22, s11
	s_mul_u64 s[28:29], s[20:21], 36
	s_lshr_b32 s2, s7, s2
	v_mad_co_u64_u32 v[2:3], null, s20, 36, v[0:1]
	v_dual_mov_b32 v21, 0xff0000 :: v_dual_lshlrev_b32 v6, 2, v15
	s_lshr_b32 s7, s9, s3
	s_mul_i32 s8, s2, s8
	s_wait_kmcnt 0x0
	s_add_nc_u64 s[2:3], s[14:15], s[28:29]
	v_dual_mov_b32 v22, 0xff000000 :: v_dual_lshlrev_b32 v17, 2, v4
	s_delay_alu instid0(VALU_DEP_3)
	v_mad_co_u64_u32 v[10:11], null, v4, 36, v[2:3]
	s_add_nc_u64 s[2:3], s[2:3], s[26:27]
	v_mad_co_u64_u32 v[2:3], null, s5, 6, v[6:7]
	v_mad_co_u64_u32 v[0:1], null, v4, 36, s[2:3]
	;; [unrolled: 1-line block ×4, first 2 shown]
	v_add_co_u32 v5, vcc_lo, s14, v10
	s_delay_alu instid0(VALU_DEP_1)
	v_add_co_ci_u32_e64 v8, null, s15, v11, vcc_lo
	s_mul_i32 s4, s4, ttmp9
	v_add_co_u32 v5, vcc_lo, v5, 16
	v_add_lshl_u32 v18, s5, v15, 2
	v_add_nc_u32_e32 v19, s5, v6
	v_lshl_add_u32 v20, s5, 1, v6
	s_wait_alu 0xfffd
	v_add_co_ci_u32_e64 v6, null, 0, v8, vcc_lo
	v_mov_b32_e32 v8, 0
	v_dual_mov_b32 v10, 0 :: v_dual_mov_b32 v11, 0
	v_mov_b32_e32 v12, 0
	v_mov_b32_e32 v14, 0
	;; [unrolled: 1-line block ×3, first 2 shown]
	s_mul_i32 s7, s7, s16
	s_wait_alu 0xfffe
	s_add_co_i32 s8, s8, s4
	s_delay_alu instid0(SALU_CYCLE_1)
	s_add_co_i32 s4, s7, s8
.LBB10_2:                               ; =>This Inner Loop Header: Depth=1
	s_wait_alu 0xfffe
	v_add_nc_u32_e32 v31, s4, v15
	v_mad_co_u64_u32 v[39:40], null, v19, 36, v[0:1]
	v_mad_co_u64_u32 v[43:44], null, v20, 36, v[0:1]
	s_delay_alu instid0(VALU_DEP_3) | instskip(SKIP_3) | instid1(VALU_DEP_4)
	v_mad_co_i64_i32 v[75:76], null, v31, 18, s[12:13]
	v_mad_co_u64_u32 v[55:56], null, v4, 36, v[0:1]
	v_mad_co_u64_u32 v[59:60], null, v18, 36, v[0:1]
	;; [unrolled: 1-line block ×3, first 2 shown]
	v_add_co_u32 v77, vcc_lo, v75, v17
	s_wait_alu 0xfffd
	v_add_co_ci_u32_e64 v78, null, 0, v76, vcc_lo
	s_clause 0x1
	global_load_b128 v[23:26], v[5:6], off offset:-16
	global_load_b128 v[27:30], v[5:6], off
	v_mad_co_u64_u32 v[79:80], null, v2, 36, v[0:1]
	s_clause 0xf
	global_load_b128 v[31:34], v[39:40], off
	global_load_b128 v[35:38], v[39:40], off offset:16
	global_load_b32 v81, v[39:40], off offset:32
	global_load_b128 v[39:42], v[43:44], off
	global_load_b32 v82, v[43:44], off offset:32
	global_load_b128 v[43:46], v[43:44], off offset:16
	global_load_b128 v[47:50], v[55:56], off
	global_load_b128 v[51:54], v[55:56], off offset:16
	global_load_b32 v83, v[55:56], off offset:32
	global_load_b128 v[55:58], v[59:60], off
	global_load_b32 v84, v[59:60], off offset:32
	global_load_b128 v[59:62], v[59:60], off offset:16
	global_load_b128 v[63:66], v[71:72], off
	global_load_b128 v[67:70], v[71:72], off offset:16
	global_load_b32 v85, v[71:72], off offset:32
	global_load_b128 v[71:74], v[79:80], off
	s_clause 0x1
	global_load_u16 v86, v[75:76], off
	global_load_b32 v87, v[77:78], off offset:2
	v_add_nc_u32_e32 v2, 32, v2
	v_add_nc_u32_e32 v3, 32, v3
	;; [unrolled: 1-line block ×4, first 2 shown]
	s_wait_loadcnt 0x13
	v_cvt_f32_f16_e32 v23, v23
	s_wait_loadcnt 0x0
	v_and_b32_e32 v77, 8, v87
	v_and_b32_e32 v76, 4, v87
	v_lshlrev_b32_e32 v78, 8, v87
	v_and_b32_e32 v88, 16, v87
	v_and_b32_e32 v89, 64, v87
	v_cmp_eq_u32_e32 vcc_lo, 0, v77
	v_and_b32_e32 v75, 1, v87
	v_and_b32_e32 v90, 0x80, v87
	;; [unrolled: 1-line block ×3, first 2 shown]
	s_delay_alu instid0(VALU_DEP_3) | instskip(SKIP_1) | instid1(VALU_DEP_1)
	v_cmp_eq_u32_e64 s2, 0, v75
	s_wait_alu 0xf1ff
	v_cndmask_b32_e64 v75, 1, 0xff, s2
	v_cmp_eq_u32_e64 s2, 0, v76
	s_delay_alu instid0(VALU_DEP_2) | instskip(SKIP_1) | instid1(VALU_DEP_2)
	v_and_or_b32 v75, 0x200, v78, v75
	s_wait_alu 0xf1ff
	v_cndmask_b32_e64 v76, 0x10000, v21, s2
	s_wait_alu 0xfffd
	v_cndmask_b32_e32 v78, 0x1000000, v22, vcc_lo
	v_cmp_eq_u32_e64 s2, 0, v88
	v_cmp_eq_u32_e32 vcc_lo, 0, v77
	v_add_nc_u32_e32 v75, 0xff00, v75
	v_and_b32_e32 v77, 0x400, v87
	s_delay_alu instid0(VALU_DEP_2)
	v_or3_b32 v91, v78, v76, v75
	s_wait_alu 0xf1ff
	v_cndmask_b32_e64 v78, 1, 0xff, s2
	v_cmp_eq_u32_e64 s2, 0, v89
	v_and_b32_e32 v76, 0x100, v87
	v_lshlrev_b32_e32 v75, 4, v87
	v_dot4_i32_iu8 v24, v91, v24, 0 neg_lo:[1,1,0]
	v_dot4_i32_iu8 v56, v91, v56, 0 neg_lo:[1,1,0]
	s_wait_alu 0xf1ff
	v_cndmask_b32_e64 v88, 0x10000, v21, s2
	v_cmp_eq_u32_e64 s2, 0, v90
	v_and_or_b32 v75, 0x200, v75, v78
	s_wait_alu 0xfffd
	v_cndmask_b32_e32 v78, 0x1000000, v22, vcc_lo
	s_wait_alu 0xf1ff
	v_cndmask_b32_e64 v89, 0x1000000, v22, s2
	v_cmp_eq_u32_e64 s2, 0, v76
	v_add_nc_u32_e32 v75, 0xff00, v75
	s_wait_alu 0xf1ff
	s_delay_alu instid0(VALU_DEP_2) | instskip(SKIP_1) | instid1(VALU_DEP_3)
	v_cndmask_b32_e64 v76, 1, 0xff, s2
	v_cmp_eq_u32_e64 s2, 0, v77
	v_or3_b32 v88, v89, v88, v75
	s_delay_alu instid0(VALU_DEP_3) | instskip(SKIP_1) | instid1(VALU_DEP_3)
	v_and_or_b32 v76, 0x200, v87, v76
	s_wait_alu 0xf1ff
	v_cndmask_b32_e64 v77, 0x10000, v21, s2
	s_delay_alu instid0(VALU_DEP_3) | instskip(SKIP_2) | instid1(VALU_DEP_1)
	v_dot4_i32_iu8 v24, v88, v25, v24 neg_lo:[1,1,0]
	v_dot4_i32_iu8 v56, v88, v57, v56 neg_lo:[1,1,0]
	v_add_nc_u32_e32 v76, 0xff00, v76
	v_or3_b32 v89, v78, v77, v76
	s_clause 0x1
	global_load_b128 v[75:78], v[79:80], off offset:16
	global_load_b32 v79, v[79:80], off offset:32
	global_load_b32 v25, v[5:6], off offset:16
	v_add_co_u32 v5, vcc_lo, 0x480, v5
	v_dot4_i32_iu8 v24, v89, v26, v24 neg_lo:[1,1,0]
	v_cvt_f32_f16_e32 v26, v31
	v_dot4_i32_iu8 v31, v91, v32, 0 neg_lo:[1,1,0]
	v_cvt_f32_f16_e32 v32, v39
	;; [unrolled: 2-line block ×3, first 2 shown]
	v_and_b32_e32 v63, 0x10000000, v87
	v_dot4_i32_iu8 v31, v88, v33, v31 neg_lo:[1,1,0]
	v_cvt_f32_f16_e32 v33, v47
	v_dot4_i32_iu8 v39, v88, v41, v39 neg_lo:[1,1,0]
	v_and_b32_e32 v41, 0x1000, v87
	v_dot4_i32_iu8 v47, v91, v48, 0 neg_lo:[1,1,0]
	v_and_b32_e32 v48, 0x4000, v87
	v_dot4_i32_iu8 v31, v89, v34, v31 neg_lo:[1,1,0]
	v_dot4_i32_iu8 v39, v89, v42, v39 neg_lo:[1,1,0]
	v_cmp_eq_u32_e64 s3, 0, v41
	v_and_b32_e32 v42, 0x8000, v87
	v_dot4_i32_iu8 v47, v88, v49, v47 neg_lo:[1,1,0]
	v_lshrrev_b32_e32 v49, 4, v87
	v_cvt_f32_f16_e32 v34, v55
	s_wait_alu 0xf1ff
	v_cndmask_b32_e64 v41, 1, 0xff, s3
	v_cmp_eq_u32_e64 s2, 0, v42
	v_dot4_i32_iu8 v47, v89, v50, v47 neg_lo:[1,1,0]
	v_and_b32_e32 v50, 0x10000, v87
	v_cmp_eq_u32_e64 s3, 0, v48
	v_and_or_b32 v41, 0x200, v49, v41
	s_wait_alu 0xf1ff
	v_cndmask_b32_e64 v49, 0x1000000, v22, s2
	v_and_b32_e32 v55, 0x40000, v87
	v_and_b32_e32 v42, 0x80000, v87
	v_cndmask_b32_e64 v48, 0x10000, v21, s3
	v_add_nc_u32_e32 v41, 0xff00, v41
	v_cmp_eq_u32_e64 s3, 0, v50
	v_dot4_i32_iu8 v56, v89, v58, v56 neg_lo:[1,1,0]
	v_cmp_eq_u32_e64 s2, 0, v42
	v_and_b32_e32 v42, 0x800000, v87
	v_or3_b32 v41, v49, v48, v41
	v_lshrrev_b32_e32 v48, 8, v87
	s_wait_alu 0xf1ff
	v_cndmask_b32_e64 v50, 1, 0xff, s3
	v_and_b32_e32 v49, 0x100000, v87
	v_cmp_eq_u32_e64 s3, 0, v55
	v_dot4_i32_iu8 v24, v41, v27, v24 neg_lo:[1,1,0]
	v_dot4_i32_iu8 v27, v41, v35, v31 neg_lo:[1,1,0]
	v_and_or_b32 v48, 0x200, v48, v50
	v_cndmask_b32_e64 v50, 0x1000000, v22, s2
	s_wait_alu 0xf1ff
	v_cndmask_b32_e64 v55, 0x10000, v21, s3
	v_cmp_eq_u32_e64 s3, 0, v49
	v_cmp_eq_u32_e64 s2, 0, v42
	v_add_nc_u32_e32 v48, 0xff00, v48
	v_and_b32_e32 v42, 0x8000000, v87
	v_dot4_i32_iu8 v31, v41, v43, v39 neg_lo:[1,1,0]
	s_wait_alu 0xf1ff
	v_cndmask_b32_e64 v49, 1, 0xff, s3
	v_dot4_i32_iu8 v35, v41, v51, v47 neg_lo:[1,1,0]
	v_or3_b32 v48, v50, v55, v48
	v_and_b32_e32 v50, 0x400000, v87
	v_lshrrev_b32_e32 v55, 12, v87
	v_dot4_i32_iu8 v39, v41, v59, v56 neg_lo:[1,1,0]
	s_wait_alu 0xfffd
	v_add_co_ci_u32_e64 v6, null, 0, v6, vcc_lo
	v_cmp_eq_u32_e64 s3, 0, v50
	v_and_or_b32 v49, 0x200, v55, v49
	v_cndmask_b32_e64 v55, 0x1000000, v22, s2
	v_cmp_eq_u32_e64 s2, 0, v42
	v_lshrrev_b32_e32 v42, 16, v87
	s_wait_alu 0xf1ff
	v_cndmask_b32_e64 v50, 0x10000, v21, s3
	v_add_nc_u32_e32 v49, 0xff00, v49
	v_dot4_i32_iu8 v24, v48, v28, v24 neg_lo:[1,1,0]
	v_dot4_i32_iu8 v27, v48, v36, v27 neg_lo:[1,1,0]
	;; [unrolled: 1-line block ×4, first 2 shown]
	v_or3_b32 v49, v55, v50, v49
	v_and_b32_e32 v50, 0x1000000, v87
	v_and_b32_e32 v55, 0x4000000, v87
	v_dot4_i32_iu8 v35, v48, v60, v39 neg_lo:[1,1,0]
	s_delay_alu instid0(VALU_DEP_4) | instskip(NEXT) | instid1(VALU_DEP_4)
	v_dot4_i32_iu8 v24, v49, v29, v24 neg_lo:[1,1,0]
	v_cmp_eq_u32_e64 s3, 0, v50
	v_dot4_i32_iu8 v27, v49, v37, v27 neg_lo:[1,1,0]
	v_dot4_i32_iu8 v28, v49, v45, v28 neg_lo:[1,1,0]
	;; [unrolled: 1-line block ×4, first 2 shown]
	s_wait_alu 0xf1ff
	v_cndmask_b32_e64 v50, 1, 0xff, s3
	v_cmp_eq_u32_e64 s3, 0, v55
	s_delay_alu instid0(VALU_DEP_2) | instskip(SKIP_1) | instid1(VALU_DEP_2)
	v_and_or_b32 v42, 0x200, v42, v50
	s_wait_alu 0xf1ff
	v_cndmask_b32_e64 v55, 0x10000, v21, s3
	v_cndmask_b32_e64 v50, 0x1000000, v22, s2
	v_cmp_eq_u32_e64 s2, 0, v63
	v_add_nc_u32_e32 v42, 0xff00, v42
	s_wait_alu 0xf1ff
	s_delay_alu instid0(VALU_DEP_2) | instskip(NEXT) | instid1(VALU_DEP_2)
	v_cndmask_b32_e64 v63, 1, 0xff, s2
	v_or3_b32 v42, v50, v55, v42
	v_cvt_f32_f16_e32 v50, v71
	v_cvt_f32_f16_e32 v55, v86
	v_ashrrev_i32_e32 v71, 28, v87
	s_delay_alu instid0(VALU_DEP_4) | instskip(SKIP_1) | instid1(VALU_DEP_4)
	v_dot4_i32_iu8 v24, v42, v30, v24 neg_lo:[1,1,0]
	v_dot4_i32_iu8 v27, v42, v38, v27 neg_lo:[1,1,0]
	v_mul_f32_e32 v23, v55, v23
	v_mul_f32_e32 v26, v55, v26
	;; [unrolled: 1-line block ×6, first 2 shown]
	v_dual_mul_f32 v50, v55, v50 :: v_dual_and_b32 v55, 2.0, v87
	v_dot4_i32_iu8 v28, v42, v46, v28 neg_lo:[1,1,0]
	v_dot4_i32_iu8 v29, v42, v54, v29 neg_lo:[1,1,0]
	;; [unrolled: 1-line block ×3, first 2 shown]
	s_delay_alu instid0(VALU_DEP_4) | instskip(SKIP_2) | instid1(VALU_DEP_2)
	v_cmp_eq_u32_e64 s2, 0, v55
	v_lshlrev_b32_e32 v55, 8, v71
	v_and_b32_e32 v71, 8, v71
	v_and_or_b32 v55, 0x200, v55, v63
	s_wait_alu 0xf1ff
	v_cndmask_b32_e64 v63, 0x10000, v21, s2
	s_delay_alu instid0(VALU_DEP_3) | instskip(NEXT) | instid1(VALU_DEP_3)
	v_cmp_eq_u32_e64 s2, 0, v71
	v_add_nc_u32_e32 v55, 0xff00, v55
	s_wait_alu 0xf1ff
	s_delay_alu instid0(VALU_DEP_2) | instskip(NEXT) | instid1(VALU_DEP_1)
	v_cndmask_b32_e64 v71, 0x1000000, v22, s2
	v_or3_b32 v55, v71, v63, v55
	v_dot4_i32_iu8 v63, v91, v64, 0 neg_lo:[1,1,0]
	v_dot4_i32_iu8 v64, v91, v72, 0 neg_lo:[1,1,0]
	s_delay_alu instid0(VALU_DEP_2) | instskip(NEXT) | instid1(VALU_DEP_2)
	v_dot4_i32_iu8 v57, v88, v65, v63 neg_lo:[1,1,0]
	v_dot4_i32_iu8 v63, v88, v73, v64 neg_lo:[1,1,0]
	s_delay_alu instid0(VALU_DEP_2) | instskip(NEXT) | instid1(VALU_DEP_2)
	v_dot4_i32_iu8 v57, v89, v66, v57 neg_lo:[1,1,0]
	v_dot4_i32_iu8 v58, v89, v74, v63 neg_lo:[1,1,0]
	s_delay_alu instid0(VALU_DEP_2) | instskip(NEXT) | instid1(VALU_DEP_1)
	v_dot4_i32_iu8 v43, v41, v67, v57 neg_lo:[1,1,0]
	v_dot4_i32_iu8 v36, v48, v68, v43 neg_lo:[1,1,0]
	s_delay_alu instid0(VALU_DEP_1) | instskip(NEXT) | instid1(VALU_DEP_1)
	v_dot4_i32_iu8 v35, v49, v69, v36 neg_lo:[1,1,0]
	v_dot4_i32_iu8 v31, v42, v70, v35 neg_lo:[1,1,0]
	s_wait_loadcnt 0x2
	v_dot4_i32_iu8 v41, v41, v75, v58 neg_lo:[1,1,0]
	s_wait_loadcnt 0x0
	v_dot4_i32_iu8 v24, v55, v25, v24 neg_lo:[1,1,0]
	v_dot4_i32_iu8 v25, v55, v81, v27 neg_lo:[1,1,0]
	;; [unrolled: 1-line block ×7, first 2 shown]
	v_cvt_f32_i32_e32 v24, v24
	v_dot4_i32_iu8 v36, v49, v77, v39 neg_lo:[1,1,0]
	v_cvt_f32_i32_e32 v25, v25
	v_cvt_f32_i32_e32 v29, v29
	v_add_nc_u32_e32 v15, 8, v15
	v_cvt_f32_i32_e32 v27, v27
	v_dot4_i32_iu8 v35, v42, v78, v36 neg_lo:[1,1,0]
	v_cvt_f32_i32_e32 v28, v28
	v_cvt_f32_i32_e32 v30, v30
	v_fmac_f32_e32 v10, v34, v29
	v_cmp_le_u32_e32 vcc_lo, s24, v15
	v_dot4_i32_iu8 v31, v55, v79, v35 neg_lo:[1,1,0]
	s_delay_alu instid0(VALU_DEP_4) | instskip(SKIP_2) | instid1(VALU_DEP_4)
	v_dual_fmac_f32 v8, v40, v30 :: v_dual_add_nc_u32 v19, 32, v19
	v_fmac_f32_e32 v16, v23, v24
	v_fmac_f32_e32 v14, v26, v25
	v_cvt_f32_i32_e32 v31, v31
	v_add_nc_u32_e32 v18, 32, v18
	v_dual_fmac_f32 v12, v32, v27 :: v_dual_fmac_f32 v11, v33, v28
	s_or_b32 s21, vcc_lo, s21
	s_delay_alu instid0(VALU_DEP_3)
	v_fmac_f32_e32 v7, v50, v31
	s_wait_alu 0xfffe
	s_and_not1_b32 exec_lo, exec_lo, s21
	s_cbranch_execnz .LBB10_2
; %bb.3:
	s_or_b32 exec_lo, exec_lo, s21
.LBB10_4:
	s_delay_alu instid0(SALU_CYCLE_1)
	s_or_b32 exec_lo, exec_lo, s23
	s_mov_b32 s3, 0
	; wave barrier
	global_inv scope:SCOPE_SE
	s_mov_b32 s2, exec_lo
	v_cmpx_eq_u32_e32 0, v13
	s_cbranch_execz .LBB10_19
; %bb.5:
	v_mbcnt_lo_u32_b32 v4, -1, 0
	s_load_b64 s[0:1], s[0:1], 0x38
	s_mul_i32 s2, s10, s19
	s_mul_i32 s4, s18, s22
	s_wait_alu 0xfffe
	s_add_co_i32 s2, s2, ttmp9
	v_xor_b32_e32 v0, 16, v4
	v_xor_b32_e32 v1, 8, v4
	;; [unrolled: 1-line block ×3, first 2 shown]
	s_wait_alu 0xfffe
	s_add_co_i32 s2, s2, s4
	s_wait_alu 0xfffe
	s_lshl_b64 s[2:3], s[2:3], 2
	v_cmp_gt_i32_e32 vcc_lo, 32, v0
	s_wait_alu 0xfffd
	v_cndmask_b32_e32 v0, v4, v0, vcc_lo
	v_cmp_gt_i32_e32 vcc_lo, 32, v1
	s_wait_kmcnt 0x0
	s_wait_alu 0xfffe
	s_add_nc_u64 s[0:1], s[0:1], s[2:3]
	s_wait_alu 0xfffd
	v_cndmask_b32_e32 v1, v4, v1, vcc_lo
	s_delay_alu instid0(VALU_DEP_1)
	v_lshlrev_b32_e32 v1, 2, v1
	v_lshlrev_b32_e32 v0, 2, v0
	ds_bpermute_b32 v2, v0, v16
	s_wait_dscnt 0x0
	v_add_f32_e32 v3, v16, v2
	v_xor_b32_e32 v2, 4, v4
	ds_bpermute_b32 v5, v1, v3
	v_cmp_gt_i32_e32 vcc_lo, 32, v2
	s_wait_dscnt 0x0
	s_wait_alu 0xfffd
	v_dual_cndmask_b32 v2, v4, v2 :: v_dual_add_f32 v5, v3, v5
	s_delay_alu instid0(VALU_DEP_1)
	v_lshlrev_b32_e32 v2, 2, v2
	v_xor_b32_e32 v3, 2, v4
	ds_bpermute_b32 v6, v2, v5
	v_cmp_gt_i32_e32 vcc_lo, 32, v3
	s_wait_alu 0xfffd
	v_cndmask_b32_e32 v3, v4, v3, vcc_lo
	v_cmp_gt_i32_e32 vcc_lo, 32, v13
	s_wait_alu 0xfffd
	v_cndmask_b32_e32 v4, v4, v13, vcc_lo
	v_cmp_eq_u32_e32 vcc_lo, 0, v9
	s_delay_alu instid0(VALU_DEP_2)
	v_lshlrev_b32_e32 v4, 2, v4
	v_lshlrev_b32_e32 v3, 2, v3
	s_wait_dscnt 0x0
	v_add_f32_e32 v5, v5, v6
	ds_bpermute_b32 v6, v3, v5
	s_wait_dscnt 0x0
	v_add_f32_e32 v5, v5, v6
	ds_bpermute_b32 v6, v4, v5
	s_and_saveexec_b32 s2, vcc_lo
	s_cbranch_execz .LBB10_7
; %bb.6:
	s_wait_dscnt 0x0
	v_dual_add_f32 v5, v5, v6 :: v_dual_mov_b32 v6, 0
	global_store_b32 v6, v5, s[0:1]
.LBB10_7:
	s_wait_alu 0xfffe
	s_or_b32 exec_lo, exec_lo, s2
	ds_bpermute_b32 v5, v0, v14
	s_wait_dscnt 0x0
	v_add_f32_e32 v5, v14, v5
	ds_bpermute_b32 v6, v1, v5
	s_wait_dscnt 0x0
	v_add_f32_e32 v5, v5, v6
	;; [unrolled: 3-line block ×4, first 2 shown]
	ds_bpermute_b32 v6, v4, v5
	s_and_saveexec_b32 s2, vcc_lo
	s_cbranch_execz .LBB10_9
; %bb.8:
	s_mov_b32 s7, 0
	s_wait_dscnt 0x0
	v_dual_add_f32 v5, v5, v6 :: v_dual_mov_b32 v6, 0
	s_lshl_b64 s[4:5], s[6:7], 2
	s_wait_alu 0xfffe
	s_add_nc_u64 s[4:5], s[0:1], s[4:5]
	global_store_b32 v6, v5, s[4:5]
.LBB10_9:
	s_wait_alu 0xfffe
	s_or_b32 exec_lo, exec_lo, s2
	ds_bpermute_b32 v5, v0, v12
	s_wait_dscnt 0x0
	v_add_f32_e32 v5, v12, v5
	ds_bpermute_b32 v6, v1, v5
	s_wait_dscnt 0x0
	v_add_f32_e32 v5, v5, v6
	;; [unrolled: 3-line block ×4, first 2 shown]
	ds_bpermute_b32 v6, v4, v5
	s_and_saveexec_b32 s2, vcc_lo
	s_cbranch_execz .LBB10_11
; %bb.10:
	s_lshl_b32 s4, s6, 1
	s_mov_b32 s5, 0
	s_wait_dscnt 0x0
	v_dual_add_f32 v5, v5, v6 :: v_dual_mov_b32 v6, 0
	s_wait_alu 0xfffe
	s_lshl_b64 s[4:5], s[4:5], 2
	s_wait_alu 0xfffe
	s_add_nc_u64 s[4:5], s[0:1], s[4:5]
	global_store_b32 v6, v5, s[4:5]
.LBB10_11:
	s_wait_alu 0xfffe
	s_or_b32 exec_lo, exec_lo, s2
	ds_bpermute_b32 v5, v0, v11
	s_wait_dscnt 0x0
	v_add_f32_e32 v5, v11, v5
	ds_bpermute_b32 v6, v1, v5
	s_wait_dscnt 0x0
	v_add_f32_e32 v5, v5, v6
	;; [unrolled: 3-line block ×4, first 2 shown]
	ds_bpermute_b32 v6, v4, v5
	s_and_saveexec_b32 s2, vcc_lo
	s_cbranch_execz .LBB10_13
; %bb.12:
	s_mul_i32 s4, s6, 3
	s_mov_b32 s5, 0
	s_wait_dscnt 0x0
	v_dual_add_f32 v5, v5, v6 :: v_dual_mov_b32 v6, 0
	s_wait_alu 0xfffe
	s_lshl_b64 s[4:5], s[4:5], 2
	s_wait_alu 0xfffe
	s_add_nc_u64 s[4:5], s[0:1], s[4:5]
	global_store_b32 v6, v5, s[4:5]
.LBB10_13:
	s_wait_alu 0xfffe
	s_or_b32 exec_lo, exec_lo, s2
	ds_bpermute_b32 v5, v0, v10
	s_wait_dscnt 0x0
	v_add_f32_e32 v5, v10, v5
	ds_bpermute_b32 v6, v1, v5
	s_wait_dscnt 0x0
	v_add_f32_e32 v5, v5, v6
	;; [unrolled: 3-line block ×4, first 2 shown]
	ds_bpermute_b32 v6, v4, v5
	s_and_saveexec_b32 s2, vcc_lo
	s_cbranch_execz .LBB10_15
; %bb.14:
	s_lshl_b32 s4, s6, 2
	s_mov_b32 s5, 0
	s_wait_dscnt 0x0
	v_dual_add_f32 v5, v5, v6 :: v_dual_mov_b32 v6, 0
	s_wait_alu 0xfffe
	s_lshl_b64 s[4:5], s[4:5], 2
	s_wait_alu 0xfffe
	s_add_nc_u64 s[4:5], s[0:1], s[4:5]
	global_store_b32 v6, v5, s[4:5]
.LBB10_15:
	s_wait_alu 0xfffe
	s_or_b32 exec_lo, exec_lo, s2
	ds_bpermute_b32 v5, v0, v8
	s_wait_dscnt 0x0
	v_add_f32_e32 v5, v8, v5
	ds_bpermute_b32 v6, v1, v5
	s_wait_dscnt 0x0
	v_add_f32_e32 v5, v5, v6
	;; [unrolled: 3-line block ×4, first 2 shown]
	ds_bpermute_b32 v6, v4, v5
	s_and_saveexec_b32 s2, vcc_lo
	s_cbranch_execz .LBB10_17
; %bb.16:
	s_mul_i32 s4, s6, 5
	s_mov_b32 s5, 0
	s_wait_dscnt 0x0
	v_dual_add_f32 v5, v5, v6 :: v_dual_mov_b32 v6, 0
	s_wait_alu 0xfffe
	s_lshl_b64 s[4:5], s[4:5], 2
	s_wait_alu 0xfffe
	s_add_nc_u64 s[4:5], s[0:1], s[4:5]
	global_store_b32 v6, v5, s[4:5]
.LBB10_17:
	s_wait_alu 0xfffe
	s_or_b32 exec_lo, exec_lo, s2
	ds_bpermute_b32 v0, v0, v7
	s_wait_dscnt 0x0
	v_add_f32_e32 v0, v7, v0
	ds_bpermute_b32 v1, v1, v0
	s_wait_dscnt 0x0
	v_add_f32_e32 v0, v0, v1
	;; [unrolled: 3-line block ×4, first 2 shown]
	ds_bpermute_b32 v1, v4, v0
	s_and_b32 exec_lo, exec_lo, vcc_lo
	s_cbranch_execz .LBB10_19
; %bb.18:
	s_mul_i32 s2, s6, 6
	s_mov_b32 s3, 0
	s_wait_dscnt 0x0
	v_dual_add_f32 v0, v0, v1 :: v_dual_mov_b32 v1, 0
	s_wait_alu 0xfffe
	s_lshl_b64 s[2:3], s[2:3], 2
	s_wait_alu 0xfffe
	s_add_nc_u64 s[0:1], s[0:1], s[2:3]
	global_store_b32 v1, v0, s[0:1]
.LBB10_19:
	s_endpgm
	.section	.rodata,"a",@progbits
	.p2align	6, 0x0
	.amdhsa_kernel _ZL13mul_mat_vec_qIL9ggml_type41ELi7ELb0ELb0EEvPKvS2_PKi31ggml_cuda_mm_fusion_args_devicePfj15HIP_vector_typeIjLj3EEjjjS8_jjjS8_jjjj
		.amdhsa_group_segment_fixed_size 0
		.amdhsa_private_segment_fixed_size 0
		.amdhsa_kernarg_size 144
		.amdhsa_user_sgpr_count 2
		.amdhsa_user_sgpr_dispatch_ptr 0
		.amdhsa_user_sgpr_queue_ptr 0
		.amdhsa_user_sgpr_kernarg_segment_ptr 1
		.amdhsa_user_sgpr_dispatch_id 0
		.amdhsa_user_sgpr_private_segment_size 0
		.amdhsa_wavefront_size32 1
		.amdhsa_uses_dynamic_stack 0
		.amdhsa_enable_private_segment 0
		.amdhsa_system_sgpr_workgroup_id_x 1
		.amdhsa_system_sgpr_workgroup_id_y 1
		.amdhsa_system_sgpr_workgroup_id_z 1
		.amdhsa_system_sgpr_workgroup_info 0
		.amdhsa_system_vgpr_workitem_id 1
		.amdhsa_next_free_vgpr 92
		.amdhsa_next_free_sgpr 30
		.amdhsa_reserve_vcc 1
		.amdhsa_float_round_mode_32 0
		.amdhsa_float_round_mode_16_64 0
		.amdhsa_float_denorm_mode_32 3
		.amdhsa_float_denorm_mode_16_64 3
		.amdhsa_fp16_overflow 0
		.amdhsa_workgroup_processor_mode 1
		.amdhsa_memory_ordered 1
		.amdhsa_forward_progress 1
		.amdhsa_inst_pref_size 29
		.amdhsa_round_robin_scheduling 0
		.amdhsa_exception_fp_ieee_invalid_op 0
		.amdhsa_exception_fp_denorm_src 0
		.amdhsa_exception_fp_ieee_div_zero 0
		.amdhsa_exception_fp_ieee_overflow 0
		.amdhsa_exception_fp_ieee_underflow 0
		.amdhsa_exception_fp_ieee_inexact 0
		.amdhsa_exception_int_div_zero 0
	.end_amdhsa_kernel
	.section	.text._ZL13mul_mat_vec_qIL9ggml_type41ELi7ELb0ELb0EEvPKvS2_PKi31ggml_cuda_mm_fusion_args_devicePfj15HIP_vector_typeIjLj3EEjjjS8_jjjS8_jjjj,"axG",@progbits,_ZL13mul_mat_vec_qIL9ggml_type41ELi7ELb0ELb0EEvPKvS2_PKi31ggml_cuda_mm_fusion_args_devicePfj15HIP_vector_typeIjLj3EEjjjS8_jjjS8_jjjj,comdat
.Lfunc_end10:
	.size	_ZL13mul_mat_vec_qIL9ggml_type41ELi7ELb0ELb0EEvPKvS2_PKi31ggml_cuda_mm_fusion_args_devicePfj15HIP_vector_typeIjLj3EEjjjS8_jjjS8_jjjj, .Lfunc_end10-_ZL13mul_mat_vec_qIL9ggml_type41ELi7ELb0ELb0EEvPKvS2_PKi31ggml_cuda_mm_fusion_args_devicePfj15HIP_vector_typeIjLj3EEjjjS8_jjjS8_jjjj
                                        ; -- End function
	.set _ZL13mul_mat_vec_qIL9ggml_type41ELi7ELb0ELb0EEvPKvS2_PKi31ggml_cuda_mm_fusion_args_devicePfj15HIP_vector_typeIjLj3EEjjjS8_jjjS8_jjjj.num_vgpr, 92
	.set _ZL13mul_mat_vec_qIL9ggml_type41ELi7ELb0ELb0EEvPKvS2_PKi31ggml_cuda_mm_fusion_args_devicePfj15HIP_vector_typeIjLj3EEjjjS8_jjjS8_jjjj.num_agpr, 0
	.set _ZL13mul_mat_vec_qIL9ggml_type41ELi7ELb0ELb0EEvPKvS2_PKi31ggml_cuda_mm_fusion_args_devicePfj15HIP_vector_typeIjLj3EEjjjS8_jjjS8_jjjj.numbered_sgpr, 30
	.set _ZL13mul_mat_vec_qIL9ggml_type41ELi7ELb0ELb0EEvPKvS2_PKi31ggml_cuda_mm_fusion_args_devicePfj15HIP_vector_typeIjLj3EEjjjS8_jjjS8_jjjj.num_named_barrier, 0
	.set _ZL13mul_mat_vec_qIL9ggml_type41ELi7ELb0ELb0EEvPKvS2_PKi31ggml_cuda_mm_fusion_args_devicePfj15HIP_vector_typeIjLj3EEjjjS8_jjjS8_jjjj.private_seg_size, 0
	.set _ZL13mul_mat_vec_qIL9ggml_type41ELi7ELb0ELb0EEvPKvS2_PKi31ggml_cuda_mm_fusion_args_devicePfj15HIP_vector_typeIjLj3EEjjjS8_jjjS8_jjjj.uses_vcc, 1
	.set _ZL13mul_mat_vec_qIL9ggml_type41ELi7ELb0ELb0EEvPKvS2_PKi31ggml_cuda_mm_fusion_args_devicePfj15HIP_vector_typeIjLj3EEjjjS8_jjjS8_jjjj.uses_flat_scratch, 0
	.set _ZL13mul_mat_vec_qIL9ggml_type41ELi7ELb0ELb0EEvPKvS2_PKi31ggml_cuda_mm_fusion_args_devicePfj15HIP_vector_typeIjLj3EEjjjS8_jjjS8_jjjj.has_dyn_sized_stack, 0
	.set _ZL13mul_mat_vec_qIL9ggml_type41ELi7ELb0ELb0EEvPKvS2_PKi31ggml_cuda_mm_fusion_args_devicePfj15HIP_vector_typeIjLj3EEjjjS8_jjjS8_jjjj.has_recursion, 0
	.set _ZL13mul_mat_vec_qIL9ggml_type41ELi7ELb0ELb0EEvPKvS2_PKi31ggml_cuda_mm_fusion_args_devicePfj15HIP_vector_typeIjLj3EEjjjS8_jjjS8_jjjj.has_indirect_call, 0
	.section	.AMDGPU.csdata,"",@progbits
; Kernel info:
; codeLenInByte = 3648
; TotalNumSgprs: 32
; NumVgprs: 92
; ScratchSize: 0
; MemoryBound: 0
; FloatMode: 240
; IeeeMode: 1
; LDSByteSize: 0 bytes/workgroup (compile time only)
; SGPRBlocks: 0
; VGPRBlocks: 11
; NumSGPRsForWavesPerEU: 32
; NumVGPRsForWavesPerEU: 92
; Occupancy: 16
; WaveLimiterHint : 0
; COMPUTE_PGM_RSRC2:SCRATCH_EN: 0
; COMPUTE_PGM_RSRC2:USER_SGPR: 2
; COMPUTE_PGM_RSRC2:TRAP_HANDLER: 0
; COMPUTE_PGM_RSRC2:TGID_X_EN: 1
; COMPUTE_PGM_RSRC2:TGID_Y_EN: 1
; COMPUTE_PGM_RSRC2:TGID_Z_EN: 1
; COMPUTE_PGM_RSRC2:TIDIG_COMP_CNT: 1
	.section	.text._ZL13mul_mat_vec_qIL9ggml_type41ELi8ELb0ELb0EEvPKvS2_PKi31ggml_cuda_mm_fusion_args_devicePfj15HIP_vector_typeIjLj3EEjjjS8_jjjS8_jjjj,"axG",@progbits,_ZL13mul_mat_vec_qIL9ggml_type41ELi8ELb0ELb0EEvPKvS2_PKi31ggml_cuda_mm_fusion_args_devicePfj15HIP_vector_typeIjLj3EEjjjS8_jjjS8_jjjj,comdat
	.globl	_ZL13mul_mat_vec_qIL9ggml_type41ELi8ELb0ELb0EEvPKvS2_PKi31ggml_cuda_mm_fusion_args_devicePfj15HIP_vector_typeIjLj3EEjjjS8_jjjS8_jjjj ; -- Begin function _ZL13mul_mat_vec_qIL9ggml_type41ELi8ELb0ELb0EEvPKvS2_PKi31ggml_cuda_mm_fusion_args_devicePfj15HIP_vector_typeIjLj3EEjjjS8_jjjS8_jjjj
	.p2align	8
	.type	_ZL13mul_mat_vec_qIL9ggml_type41ELi8ELb0ELb0EEvPKvS2_PKi31ggml_cuda_mm_fusion_args_devicePfj15HIP_vector_typeIjLj3EEjjjS8_jjjS8_jjjj,@function
_ZL13mul_mat_vec_qIL9ggml_type41ELi8ELb0ELb0EEvPKvS2_PKi31ggml_cuda_mm_fusion_args_devicePfj15HIP_vector_typeIjLj3EEjjjS8_jjjS8_jjjj: ; @_ZL13mul_mat_vec_qIL9ggml_type41ELi8ELb0ELb0EEvPKvS2_PKi31ggml_cuda_mm_fusion_args_devicePfj15HIP_vector_typeIjLj3EEjjjS8_jjjS8_jjjj
; %bb.0:
	s_clause 0x5
	s_load_b96 s[16:18], s[0:1], 0x80
	s_load_b32 s12, s[0:1], 0x40
	s_load_b128 s[4:7], s[0:1], 0x50
	s_load_b32 s3, s[0:1], 0x60
	s_load_b128 s[8:11], s[0:1], 0x68
	s_load_b32 s2, s[0:1], 0x78
	v_bfe_u32 v11, v0, 10, 10
	v_dual_mov_b32 v4, 0 :: v_dual_and_b32 v7, 0x3ff, v0
	v_dual_mov_b32 v5, 0 :: v_dual_mov_b32 v6, 0
	v_dual_mov_b32 v8, 0 :: v_dual_mov_b32 v9, 0
	s_delay_alu instid0(VALU_DEP_3)
	v_lshl_or_b32 v0, v11, 5, v7
	v_mov_b32_e32 v10, 0
	v_mov_b32_e32 v12, 0
	;; [unrolled: 1-line block ×3, first 2 shown]
	s_and_b32 s19, ttmp7, 0xffff
	v_lshrrev_b32_e32 v13, 2, v0
	s_lshr_b32 s22, ttmp7, 16
	s_mov_b32 s23, exec_lo
	s_wait_kmcnt 0x0
	s_lshr_b32 s24, s12, 7
	s_delay_alu instid0(SALU_CYCLE_1)
	v_cmpx_gt_u32_e64 s24, v13
	s_cbranch_execz .LBB11_4
; %bb.1:
	v_lshl_add_u32 v0, v11, 5, v7
	s_mov_b32 s21, 0
	s_mul_i32 s26, s9, s19
	s_mov_b32 s27, s21
	s_load_b128 s[12:15], s[0:1], 0x0
	v_lshrrev_b32_e32 v0, 2, v0
	s_mul_u64 s[26:27], s[26:27], 36
	s_mul_i32 s20, s17, s22
	v_dual_mov_b32 v4, 0 :: v_dual_and_b32 v5, 3, v7
	s_delay_alu instid0(VALU_DEP_2)
	v_mad_co_u64_u32 v[0:1], null, 0x90, v0, s[26:27]
	s_mul_hi_u32 s7, s7, s19
	s_mul_i32 s4, s4, ttmp9
	s_add_co_i32 s7, s19, s7
	v_dual_mov_b32 v18, 0xff000000 :: v_dual_lshlrev_b32 v15, 2, v5
	s_lshr_b32 s3, s7, s3
	v_mad_co_u64_u32 v[0:1], null, s20, 36, v[0:1]
	s_mul_hi_u32 s7, s11, s22
	s_mul_i32 s8, s3, s8
	s_add_co_i32 s3, s22, s7
	v_dual_mov_b32 v17, 0xff0000 :: v_dual_lshlrev_b32 v16, 2, v13
	s_lshr_b32 s7, s3, s2
	v_mad_co_u64_u32 v[2:3], null, v5, 36, v[0:1]
	s_mul_u64 s[2:3], s[20:21], 36
	v_mov_b32_e32 v6, 0
	s_wait_kmcnt 0x0
	s_add_nc_u64 s[2:3], s[14:15], s[2:3]
	v_dual_mov_b32 v8, 0 :: v_dual_mov_b32 v9, 0
	s_add_nc_u64 s[2:3], s[2:3], s[26:27]
	v_add_co_u32 v2, vcc_lo, s14, v2
	s_delay_alu instid0(VALU_DEP_1) | instskip(SKIP_1) | instid1(VALU_DEP_3)
	v_add_co_ci_u32_e64 v3, null, s15, v3, vcc_lo
	v_mad_co_u64_u32 v[0:1], null, v5, 36, s[2:3]
	v_add_co_u32 v2, vcc_lo, v2, 16
	s_wait_alu 0xfffd
	s_delay_alu instid0(VALU_DEP_3)
	v_add_co_ci_u32_e64 v3, null, 0, v3, vcc_lo
	v_dual_mov_b32 v5, 0 :: v_dual_mov_b32 v10, 0
	v_mov_b32_e32 v12, 0
	v_mov_b32_e32 v14, 0
	s_mul_i32 s7, s7, s16
	s_add_co_i32 s8, s8, s4
	s_mul_i32 s9, s5, 7
	s_add_co_i32 s4, s7, s8
	s_lshl_b32 s7, s5, 1
	s_lshl_b32 s8, s5, 2
	s_mul_i32 s11, s5, 6
	s_mul_i32 s14, s5, 5
	;; [unrolled: 1-line block ×3, first 2 shown]
.LBB11_2:                               ; =>This Inner Loop Header: Depth=1
	v_add_nc_u32_e32 v27, s4, v13
	v_add_nc_u32_e32 v28, s5, v16
	;; [unrolled: 1-line block ×3, first 2 shown]
	s_wait_alu 0xfffe
	v_add_nc_u32_e32 v30, s15, v16
	v_add_nc_u32_e32 v32, s14, v16
	v_mad_co_i64_i32 v[75:76], null, v27, 18, s[12:13]
	v_mad_co_u64_u32 v[35:36], null, v28, 36, v[0:1]
	v_add_nc_u32_e32 v31, s8, v16
	v_add_nc_u32_e32 v33, s11, v16
	v_add_nc_u32_e32 v34, s9, v16
	v_mad_co_u64_u32 v[39:40], null, v29, 36, v[0:1]
	v_mad_co_u64_u32 v[51:52], null, v30, 36, v[0:1]
	v_add_co_u32 v83, vcc_lo, v75, v15
	v_mad_co_u64_u32 v[67:68], null, v32, 36, v[0:1]
	s_clause 0x1
	global_load_b128 v[19:22], v[2:3], off offset:-16
	global_load_b128 v[23:26], v[2:3], off
	v_mad_co_u64_u32 v[77:78], null, v31, 36, v[0:1]
	v_mad_co_u64_u32 v[79:80], null, v33, 36, v[0:1]
	;; [unrolled: 1-line block ×3, first 2 shown]
	s_wait_alu 0xfffd
	v_add_co_ci_u32_e64 v84, null, 0, v76, vcc_lo
	s_clause 0xf
	global_load_b128 v[27:30], v[35:36], off
	global_load_b128 v[31:34], v[35:36], off offset:16
	global_load_b32 v85, v[35:36], off offset:32
	global_load_b128 v[35:38], v[39:40], off
	global_load_b32 v86, v[39:40], off offset:32
	global_load_b128 v[39:42], v[39:40], off offset:16
	global_load_b128 v[43:46], v[51:52], off
	global_load_b128 v[47:50], v[51:52], off offset:16
	global_load_b32 v87, v[51:52], off offset:32
	global_load_b128 v[51:54], v[77:78], off
	global_load_b128 v[55:58], v[77:78], off offset:16
	global_load_b128 v[59:62], v[67:68], off
	global_load_b128 v[63:66], v[67:68], off offset:16
	global_load_b32 v88, v[67:68], off offset:32
	global_load_b128 v[67:70], v[79:80], off
	global_load_b128 v[71:74], v[81:82], off
	s_clause 0x1
	global_load_u16 v75, v[75:76], off
	global_load_b32 v76, v[83:84], off offset:2
	v_add_nc_u32_e32 v13, 8, v13
	s_add_co_i32 s8, s8, 32
	s_add_co_i32 s5, s5, 32
	;; [unrolled: 1-line block ×7, first 2 shown]
	s_wait_loadcnt 0xe
	v_cvt_f32_f16_e32 v35, v35
	v_cvt_f32_f16_e32 v83, v19
	s_wait_loadcnt 0x1
	v_cvt_f32_f16_e32 v75, v75
	s_wait_loadcnt 0x0
	v_and_b32_e32 v84, 8, v76
	v_and_b32_e32 v91, 16, v76
	v_lshlrev_b32_e32 v90, 8, v76
	v_dual_mul_f32 v35, v75, v35 :: v_dual_and_b32 v92, 0x400, v76
	s_delay_alu instid0(VALU_DEP_4) | instskip(SKIP_3) | instid1(VALU_DEP_3)
	v_cmp_eq_u32_e32 vcc_lo, 0, v84
	v_and_b32_e32 v19, 1, v76
	v_cmp_eq_u32_e64 s3, 0, v91
	v_and_b32_e32 v84, 0x800, v76
	v_cmp_eq_u32_e64 s2, 0, v19
	s_wait_alu 0xf1ff
	s_delay_alu instid0(VALU_DEP_3) | instskip(NEXT) | instid1(VALU_DEP_2)
	v_cndmask_b32_e64 v91, 1, 0xff, s3
	v_cndmask_b32_e64 v19, 1, 0xff, s2
	s_delay_alu instid0(VALU_DEP_1)
	v_and_or_b32 v19, 0x200, v90, v19
	s_wait_alu 0xfffd
	v_cndmask_b32_e32 v90, 0x1000000, v18, vcc_lo
	v_cmp_eq_u32_e32 vcc_lo, 0, v92
	v_and_b32_e32 v89, 4, v76
	v_lshlrev_b32_e32 v92, 4, v76
	v_add_nc_u32_e32 v19, 0xff00, v19
	s_delay_alu instid0(VALU_DEP_2) | instskip(SKIP_3) | instid1(VALU_DEP_3)
	v_and_or_b32 v91, 0x200, v92, v91
	s_wait_alu 0xfffd
	v_cndmask_b32_e32 v92, 0x10000, v17, vcc_lo
	v_cmp_eq_u32_e64 s2, 0, v89
	v_add_nc_u32_e32 v91, 0xff00, v91
	s_wait_alu 0xf1ff
	s_delay_alu instid0(VALU_DEP_2) | instskip(SKIP_2) | instid1(VALU_DEP_3)
	v_cndmask_b32_e64 v89, 0x10000, v17, s2
	v_cmp_eq_u32_e64 s2, 0, v84
	v_and_b32_e32 v84, 0x100, v76
	v_or3_b32 v89, v90, v89, v19
	v_and_b32_e32 v19, 64, v76
	v_and_b32_e32 v90, 0x80, v76
	s_delay_alu instid0(VALU_DEP_3) | instskip(NEXT) | instid1(VALU_DEP_3)
	v_dot4_i32_iu8 v44, v89, v44, 0 neg_lo:[1,1,0]
	v_cmp_eq_u32_e64 s3, 0, v19
	v_dot4_i32_iu8 v36, v89, v36, 0 neg_lo:[1,1,0]
	v_dot4_i32_iu8 v52, v89, v52, 0 neg_lo:[1,1,0]
	;; [unrolled: 1-line block ×4, first 2 shown]
	s_wait_alu 0xf1ff
	v_cndmask_b32_e64 v19, 0x10000, v17, s3
	v_cmp_eq_u32_e64 s3, 0, v90
	v_dot4_i32_iu8 v72, v89, v72, 0 neg_lo:[1,1,0]
	s_wait_alu 0xf1ff
	s_delay_alu instid0(VALU_DEP_2) | instskip(SKIP_1) | instid1(VALU_DEP_2)
	v_cndmask_b32_e64 v90, 0x1000000, v18, s3
	v_cmp_eq_u32_e64 s3, 0, v84
	v_or3_b32 v90, v90, v19, v91
	s_wait_alu 0xf1ff
	s_delay_alu instid0(VALU_DEP_2) | instskip(SKIP_1) | instid1(VALU_DEP_3)
	v_cndmask_b32_e64 v84, 1, 0xff, s3
	v_cndmask_b32_e64 v19, 0x1000000, v18, s2
	v_dot4_i32_iu8 v44, v90, v45, v44 neg_lo:[1,1,0]
	s_delay_alu instid0(VALU_DEP_3)
	v_and_or_b32 v84, 0x200, v76, v84
	v_dot4_i32_iu8 v36, v90, v37, v36 neg_lo:[1,1,0]
	v_dot4_i32_iu8 v52, v90, v53, v52 neg_lo:[1,1,0]
	v_and_b32_e32 v53, 0x4000, v76
	v_cvt_f32_f16_e32 v37, v43
	v_add_nc_u32_e32 v84, 0xff00, v84
	v_cvt_f32_f16_e32 v43, v59
	v_and_b32_e32 v59, 0x10000, v76
	v_cvt_f32_f16_e32 v45, v67
	v_and_b32_e32 v67, 0x40000, v76
	v_or3_b32 v84, v19, v92, v84
	v_dot4_i32_iu8 v19, v89, v20, 0 neg_lo:[1,1,0]
	v_cvt_f32_f16_e32 v92, v27
	v_dot4_i32_iu8 v27, v89, v28, 0 neg_lo:[1,1,0]
	v_mul_f32_e32 v37, v75, v37
	v_dot4_i32_iu8 v44, v84, v46, v44 neg_lo:[1,1,0]
	v_dot4_i32_iu8 v19, v90, v21, v19 neg_lo:[1,1,0]
	v_and_b32_e32 v46, 0x1000, v76
	v_dot4_i32_iu8 v27, v90, v29, v27 neg_lo:[1,1,0]
	v_dot4_i32_iu8 v36, v84, v38, v36 neg_lo:[1,1,0]
	v_cvt_f32_f16_e32 v38, v51
	v_dot4_i32_iu8 v91, v84, v22, v19 neg_lo:[1,1,0]
	global_load_b128 v[19:22], v[79:80], off offset:16
	v_dot4_i32_iu8 v93, v84, v30, v27 neg_lo:[1,1,0]
	s_clause 0x2
	global_load_b128 v[27:30], v[81:82], off offset:16
	global_load_b32 v77, v[77:78], off offset:32
	global_load_b32 v78, v[79:80], off offset:32
	;; [unrolled: 1-line block ×4, first 2 shown]
	v_cmp_eq_u32_e64 s3, 0, v46
	v_and_b32_e32 v51, 0x8000, v76
	v_dot4_i32_iu8 v52, v84, v54, v52 neg_lo:[1,1,0]
	v_lshrrev_b32_e32 v54, 4, v76
	v_mul_f32_e32 v81, v75, v92
	s_wait_alu 0xf1ff
	v_cndmask_b32_e64 v46, 1, 0xff, s3
	v_cmp_eq_u32_e64 s2, 0, v51
	v_cmp_eq_u32_e64 s3, 0, v53
	v_and_b32_e32 v51, 0x80000, v76
	v_dot4_i32_iu8 v60, v90, v61, v60 neg_lo:[1,1,0]
	v_and_or_b32 v46, 0x200, v54, v46
	s_wait_alu 0xf1ff
	v_cndmask_b32_e64 v54, 0x1000000, v18, s2
	v_cndmask_b32_e64 v53, 0x10000, v17, s3
	v_cmp_eq_u32_e64 s3, 0, v59
	v_cmp_eq_u32_e64 s2, 0, v51
	v_add_nc_u32_e32 v46, 0xff00, v46
	v_and_b32_e32 v51, 0x800000, v76
	v_dot4_i32_iu8 v61, v90, v69, v68 neg_lo:[1,1,0]
	s_wait_alu 0xf1ff
	v_cndmask_b32_e64 v59, 1, 0xff, s3
	v_cmp_eq_u32_e64 s3, 0, v67
	v_or3_b32 v46, v54, v53, v46
	v_lshrrev_b32_e32 v53, 8, v76
	v_and_b32_e32 v54, 0x100000, v76
	v_dot4_i32_iu8 v68, v90, v73, v72 neg_lo:[1,1,0]
	s_wait_alu 0xf1ff
	v_cndmask_b32_e64 v67, 0x10000, v17, s3
	v_mul_f32_e32 v38, v75, v38
	v_and_or_b32 v53, 0x200, v53, v59
	v_cndmask_b32_e64 v59, 0x1000000, v18, s2
	v_cmp_eq_u32_e64 s3, 0, v54
	v_cmp_eq_u32_e64 s2, 0, v51
	v_and_b32_e32 v51, 0x8000000, v76
	v_add_nc_u32_e32 v53, 0xff00, v53
	v_mul_f32_e32 v43, v75, v43
	s_wait_alu 0xf1ff
	v_cndmask_b32_e64 v54, 1, 0xff, s3
	v_mul_f32_e32 v45, v75, v45
	v_dot4_i32_iu8 v60, v84, v62, v60 neg_lo:[1,1,0]
	v_or3_b32 v53, v59, v67, v53
	v_and_b32_e32 v59, 0x400000, v76
	v_lshrrev_b32_e32 v67, 12, v76
	v_dot4_i32_iu8 v61, v84, v70, v61 neg_lo:[1,1,0]
	v_dot4_i32_iu8 v62, v84, v74, v68 neg_lo:[1,1,0]
	;; [unrolled: 1-line block ×3, first 2 shown]
	v_cmp_eq_u32_e64 s3, 0, v59
	v_and_or_b32 v54, 0x200, v67, v54
	v_cndmask_b32_e64 v67, 0x1000000, v18, s2
	v_cmp_eq_u32_e64 s2, 0, v51
	v_lshrrev_b32_e32 v51, 16, v76
	s_wait_alu 0xf1ff
	v_cndmask_b32_e64 v59, 0x10000, v17, s3
	v_add_nc_u32_e32 v54, 0xff00, v54
	v_dot4_i32_iu8 v31, v46, v31, v93 neg_lo:[1,1,0]
	v_dot4_i32_iu8 v36, v46, v39, v36 neg_lo:[1,1,0]
	;; [unrolled: 1-line block ×4, first 2 shown]
	v_or3_b32 v54, v67, v59, v54
	v_and_b32_e32 v59, 0x1000000, v76
	v_and_b32_e32 v67, 0x4000000, v76
	v_dot4_i32_iu8 v47, v46, v63, v60 neg_lo:[1,1,0]
	v_dot4_i32_iu8 v23, v53, v24, v23 neg_lo:[1,1,0]
	;; [unrolled: 1-line block ×3, first 2 shown]
	v_cmp_eq_u32_e64 s3, 0, v59
	v_dot4_i32_iu8 v31, v53, v40, v36 neg_lo:[1,1,0]
	v_dot4_i32_iu8 v32, v53, v48, v39 neg_lo:[1,1,0]
	;; [unrolled: 1-line block ×4, first 2 shown]
	s_wait_alu 0xf1ff
	v_cndmask_b32_e64 v59, 1, 0xff, s3
	v_cmp_eq_u32_e64 s3, 0, v67
	v_dot4_i32_iu8 v23, v54, v25, v23 neg_lo:[1,1,0]
	v_dot4_i32_iu8 v24, v54, v33, v24 neg_lo:[1,1,0]
	;; [unrolled: 1-line block ×3, first 2 shown]
	v_and_or_b32 v51, 0x200, v51, v59
	s_wait_alu 0xf1ff
	v_cndmask_b32_e64 v67, 0x10000, v17, s3
	v_cndmask_b32_e64 v59, 0x1000000, v18, s2
	v_dot4_i32_iu8 v31, v54, v65, v39 neg_lo:[1,1,0]
	v_add_co_u32 v2, vcc_lo, 0x480, v2
	v_add_nc_u32_e32 v51, 0xff00, v51
	s_wait_alu 0xfffd
	v_add_co_ci_u32_e64 v3, null, 0, v3, vcc_lo
	v_cmp_le_u32_e32 vcc_lo, s24, v13
	s_delay_alu instid0(VALU_DEP_3) | instskip(SKIP_4) | instid1(VALU_DEP_3)
	v_or3_b32 v51, v59, v67, v51
	v_cvt_f32_f16_e32 v59, v71
	v_and_b32_e32 v67, 0x10000000, v76
	v_mul_f32_e32 v71, v75, v83
	s_or_b32 s21, vcc_lo, s21
	v_mul_f32_e32 v59, v75, v59
	v_and_b32_e32 v75, 2.0, v76
	v_ashrrev_i32_e32 v76, 28, v76
	v_cmp_eq_u32_e64 s2, 0, v67
	s_wait_alu 0xf1ff
	s_delay_alu instid0(VALU_DEP_1) | instskip(SKIP_3) | instid1(VALU_DEP_2)
	v_cndmask_b32_e64 v67, 1, 0xff, s2
	v_cmp_eq_u32_e64 s2, 0, v75
	v_lshlrev_b32_e32 v75, 8, v76
	v_and_b32_e32 v76, 8, v76
	v_and_or_b32 v67, 0x200, v75, v67
	s_wait_alu 0xf1ff
	v_cndmask_b32_e64 v75, 0x10000, v17, s2
	s_delay_alu instid0(VALU_DEP_3) | instskip(NEXT) | instid1(VALU_DEP_3)
	v_cmp_eq_u32_e64 s2, 0, v76
	v_add_nc_u32_e32 v67, 0xff00, v67
	s_wait_alu 0xf1ff
	s_delay_alu instid0(VALU_DEP_2) | instskip(NEXT) | instid1(VALU_DEP_1)
	v_cndmask_b32_e64 v76, 0x1000000, v18, s2
	v_or3_b32 v67, v76, v75, v67
	s_wait_loadcnt 0x4
	v_dot4_i32_iu8 v27, v46, v27, v62 neg_lo:[1,1,0]
	v_dot4_i32_iu8 v19, v46, v19, v61 neg_lo:[1,1,0]
	s_delay_alu instid0(VALU_DEP_1) | instskip(NEXT) | instid1(VALU_DEP_3)
	v_dot4_i32_iu8 v19, v53, v20, v19 neg_lo:[1,1,0]
	v_dot4_i32_iu8 v20, v53, v28, v27 neg_lo:[1,1,0]
	;; [unrolled: 1-line block ×4, first 2 shown]
	s_delay_alu instid0(VALU_DEP_4) | instskip(NEXT) | instid1(VALU_DEP_4)
	v_dot4_i32_iu8 v19, v54, v21, v19 neg_lo:[1,1,0]
	v_dot4_i32_iu8 v20, v54, v29, v20 neg_lo:[1,1,0]
	;; [unrolled: 1-line block ×10, first 2 shown]
	s_wait_loadcnt 0x1
	v_dot4_i32_iu8 v21, v67, v79, v21 neg_lo:[1,1,0]
	v_dot4_i32_iu8 v22, v67, v85, v23 neg_lo:[1,1,0]
	;; [unrolled: 1-line block ×7, first 2 shown]
	s_wait_loadcnt 0x0
	v_dot4_i32_iu8 v20, v67, v80, v20 neg_lo:[1,1,0]
	v_cvt_f32_i32_e32 v21, v21
	v_cvt_f32_i32_e32 v22, v22
	;; [unrolled: 1-line block ×8, first 2 shown]
	v_fmac_f32_e32 v14, v71, v21
	v_fmac_f32_e32 v12, v81, v22
	v_dual_fmac_f32 v10, v35, v23 :: v_dual_fmac_f32 v9, v37, v24
	v_fmac_f32_e32 v8, v38, v25
	v_dual_fmac_f32 v6, v43, v26 :: v_dual_fmac_f32 v5, v45, v19
	v_fmac_f32_e32 v4, v59, v20
	s_wait_alu 0xfffe
	s_and_not1_b32 exec_lo, exec_lo, s21
	s_cbranch_execnz .LBB11_2
; %bb.3:
	s_or_b32 exec_lo, exec_lo, s21
.LBB11_4:
	s_delay_alu instid0(SALU_CYCLE_1)
	s_or_b32 exec_lo, exec_lo, s23
	s_mov_b32 s3, 0
	; wave barrier
	global_inv scope:SCOPE_SE
	s_mov_b32 s2, exec_lo
	v_cmpx_eq_u32_e32 0, v11
	s_cbranch_execz .LBB11_21
; %bb.5:
	v_mbcnt_lo_u32_b32 v11, -1, 0
	s_load_b64 s[0:1], s[0:1], 0x38
	s_mul_i32 s2, s10, s19
	s_mul_i32 s4, s18, s22
	s_wait_alu 0xfffe
	s_add_co_i32 s2, s2, ttmp9
	v_xor_b32_e32 v0, 16, v11
	v_xor_b32_e32 v1, 8, v11
	;; [unrolled: 1-line block ×3, first 2 shown]
	s_wait_alu 0xfffe
	s_add_co_i32 s2, s2, s4
	s_wait_alu 0xfffe
	s_lshl_b64 s[2:3], s[2:3], 2
	v_cmp_gt_i32_e32 vcc_lo, 32, v0
	s_wait_alu 0xfffd
	v_cndmask_b32_e32 v0, v11, v0, vcc_lo
	v_cmp_gt_i32_e32 vcc_lo, 32, v1
	s_wait_kmcnt 0x0
	s_wait_alu 0xfffe
	s_add_nc_u64 s[0:1], s[0:1], s[2:3]
	s_wait_alu 0xfffd
	v_cndmask_b32_e32 v1, v11, v1, vcc_lo
	s_delay_alu instid0(VALU_DEP_1)
	v_lshlrev_b32_e32 v1, 2, v1
	v_lshlrev_b32_e32 v0, 2, v0
	ds_bpermute_b32 v2, v0, v14
	s_wait_dscnt 0x0
	v_add_f32_e32 v3, v14, v2
	v_xor_b32_e32 v2, 4, v11
	ds_bpermute_b32 v13, v1, v3
	v_cmp_gt_i32_e32 vcc_lo, 32, v2
	s_wait_alu 0xfffd
	v_cndmask_b32_e32 v2, v11, v2, vcc_lo
	s_wait_dscnt 0x0
	v_add_f32_e32 v13, v3, v13
	v_xor_b32_e32 v3, 2, v11
	s_delay_alu instid0(VALU_DEP_1) | instskip(SKIP_3) | instid1(VALU_DEP_2)
	v_cmp_gt_i32_e32 vcc_lo, 32, v3
	s_wait_alu 0xfffd
	v_cndmask_b32_e32 v3, v11, v3, vcc_lo
	v_cmp_gt_i32_e32 vcc_lo, 32, v15
	v_lshlrev_b32_e32 v3, 2, v3
	s_wait_alu 0xfffd
	v_dual_cndmask_b32 v11, v11, v15 :: v_dual_lshlrev_b32 v2, 2, v2
	v_cmp_eq_u32_e32 vcc_lo, 0, v7
	ds_bpermute_b32 v14, v2, v13
	v_lshlrev_b32_e32 v11, 2, v11
	s_wait_dscnt 0x0
	v_add_f32_e32 v13, v13, v14
	ds_bpermute_b32 v14, v3, v13
	s_wait_dscnt 0x0
	v_add_f32_e32 v13, v13, v14
	ds_bpermute_b32 v14, v11, v13
	s_and_saveexec_b32 s2, vcc_lo
	s_cbranch_execz .LBB11_7
; %bb.6:
	s_wait_dscnt 0x0
	v_add_f32_e32 v7, v13, v14
	v_mov_b32_e32 v13, 0
	global_store_b32 v13, v7, s[0:1]
.LBB11_7:
	s_wait_alu 0xfffe
	s_or_b32 exec_lo, exec_lo, s2
	ds_bpermute_b32 v7, v0, v12
	s_wait_dscnt 0x0
	v_add_f32_e32 v7, v12, v7
	ds_bpermute_b32 v12, v1, v7
	s_wait_dscnt 0x0
	v_add_f32_e32 v7, v7, v12
	;; [unrolled: 3-line block ×4, first 2 shown]
	ds_bpermute_b32 v12, v11, v7
	s_and_saveexec_b32 s2, vcc_lo
	s_cbranch_execz .LBB11_9
; %bb.8:
	s_mov_b32 s7, 0
	s_wait_dscnt 0x0
	v_dual_add_f32 v7, v7, v12 :: v_dual_mov_b32 v12, 0
	s_wait_alu 0xfffe
	s_lshl_b64 s[4:5], s[6:7], 2
	s_wait_alu 0xfffe
	s_add_nc_u64 s[4:5], s[0:1], s[4:5]
	global_store_b32 v12, v7, s[4:5]
.LBB11_9:
	s_wait_alu 0xfffe
	s_or_b32 exec_lo, exec_lo, s2
	ds_bpermute_b32 v7, v0, v10
	s_wait_dscnt 0x0
	v_add_f32_e32 v7, v10, v7
	ds_bpermute_b32 v10, v1, v7
	s_wait_dscnt 0x0
	v_add_f32_e32 v7, v7, v10
	ds_bpermute_b32 v10, v2, v7
	s_wait_dscnt 0x0
	v_add_f32_e32 v7, v7, v10
	ds_bpermute_b32 v10, v3, v7
	s_wait_dscnt 0x0
	v_add_f32_e32 v7, v7, v10
	ds_bpermute_b32 v10, v11, v7
	s_and_saveexec_b32 s2, vcc_lo
	s_cbranch_execz .LBB11_11
; %bb.10:
	s_lshl_b32 s4, s6, 1
	s_mov_b32 s5, 0
	s_wait_dscnt 0x0
	v_dual_add_f32 v7, v7, v10 :: v_dual_mov_b32 v10, 0
	s_wait_alu 0xfffe
	s_lshl_b64 s[4:5], s[4:5], 2
	s_wait_alu 0xfffe
	s_add_nc_u64 s[4:5], s[0:1], s[4:5]
	global_store_b32 v10, v7, s[4:5]
.LBB11_11:
	s_wait_alu 0xfffe
	s_or_b32 exec_lo, exec_lo, s2
	ds_bpermute_b32 v7, v0, v9
	s_wait_dscnt 0x0
	v_add_f32_e32 v7, v9, v7
	ds_bpermute_b32 v9, v1, v7
	s_wait_dscnt 0x0
	v_add_f32_e32 v7, v7, v9
	;; [unrolled: 3-line block ×4, first 2 shown]
	ds_bpermute_b32 v9, v11, v7
	s_and_saveexec_b32 s2, vcc_lo
	s_cbranch_execz .LBB11_13
; %bb.12:
	s_mul_i32 s4, s6, 3
	s_mov_b32 s5, 0
	s_wait_dscnt 0x0
	v_add_f32_e32 v7, v7, v9
	v_mov_b32_e32 v9, 0
	s_wait_alu 0xfffe
	s_lshl_b64 s[4:5], s[4:5], 2
	s_wait_alu 0xfffe
	s_add_nc_u64 s[4:5], s[0:1], s[4:5]
	global_store_b32 v9, v7, s[4:5]
.LBB11_13:
	s_wait_alu 0xfffe
	s_or_b32 exec_lo, exec_lo, s2
	ds_bpermute_b32 v7, v0, v8
	s_wait_dscnt 0x0
	v_add_f32_e32 v7, v8, v7
	ds_bpermute_b32 v8, v1, v7
	s_wait_dscnt 0x0
	v_add_f32_e32 v7, v7, v8
	;; [unrolled: 3-line block ×4, first 2 shown]
	ds_bpermute_b32 v8, v11, v7
	s_and_saveexec_b32 s2, vcc_lo
	s_cbranch_execz .LBB11_15
; %bb.14:
	s_lshl_b32 s4, s6, 2
	s_mov_b32 s5, 0
	s_wait_dscnt 0x0
	v_dual_add_f32 v7, v7, v8 :: v_dual_mov_b32 v8, 0
	s_wait_alu 0xfffe
	s_lshl_b64 s[4:5], s[4:5], 2
	s_wait_alu 0xfffe
	s_add_nc_u64 s[4:5], s[0:1], s[4:5]
	global_store_b32 v8, v7, s[4:5]
.LBB11_15:
	s_wait_alu 0xfffe
	s_or_b32 exec_lo, exec_lo, s2
	ds_bpermute_b32 v7, v0, v6
	s_wait_dscnt 0x0
	v_add_f32_e32 v6, v6, v7
	ds_bpermute_b32 v7, v1, v6
	s_wait_dscnt 0x0
	v_add_f32_e32 v6, v6, v7
	ds_bpermute_b32 v7, v2, v6
	s_wait_dscnt 0x0
	v_add_f32_e32 v6, v6, v7
	ds_bpermute_b32 v7, v3, v6
	s_wait_dscnt 0x0
	v_add_f32_e32 v6, v6, v7
	ds_bpermute_b32 v7, v11, v6
	s_and_saveexec_b32 s2, vcc_lo
	s_cbranch_execz .LBB11_17
; %bb.16:
	s_mul_i32 s4, s6, 5
	s_mov_b32 s5, 0
	s_wait_dscnt 0x0
	v_dual_add_f32 v6, v6, v7 :: v_dual_mov_b32 v7, 0
	s_wait_alu 0xfffe
	s_lshl_b64 s[4:5], s[4:5], 2
	s_wait_alu 0xfffe
	s_add_nc_u64 s[4:5], s[0:1], s[4:5]
	global_store_b32 v7, v6, s[4:5]
.LBB11_17:
	s_wait_alu 0xfffe
	s_or_b32 exec_lo, exec_lo, s2
	ds_bpermute_b32 v6, v0, v5
	s_wait_dscnt 0x0
	v_add_f32_e32 v5, v5, v6
	ds_bpermute_b32 v6, v1, v5
	s_wait_dscnt 0x0
	v_add_f32_e32 v5, v5, v6
	;; [unrolled: 3-line block ×4, first 2 shown]
	ds_bpermute_b32 v6, v11, v5
	s_and_saveexec_b32 s2, vcc_lo
	s_cbranch_execz .LBB11_19
; %bb.18:
	s_mul_i32 s4, s6, 6
	s_mov_b32 s5, 0
	s_wait_dscnt 0x0
	v_dual_add_f32 v5, v5, v6 :: v_dual_mov_b32 v6, 0
	s_wait_alu 0xfffe
	s_lshl_b64 s[4:5], s[4:5], 2
	s_wait_alu 0xfffe
	s_add_nc_u64 s[4:5], s[0:1], s[4:5]
	global_store_b32 v6, v5, s[4:5]
.LBB11_19:
	s_wait_alu 0xfffe
	s_or_b32 exec_lo, exec_lo, s2
	ds_bpermute_b32 v0, v0, v4
	s_wait_dscnt 0x0
	v_add_f32_e32 v0, v4, v0
	ds_bpermute_b32 v1, v1, v0
	s_wait_dscnt 0x0
	v_add_f32_e32 v0, v0, v1
	;; [unrolled: 3-line block ×4, first 2 shown]
	ds_bpermute_b32 v1, v11, v0
	s_and_b32 exec_lo, exec_lo, vcc_lo
	s_cbranch_execz .LBB11_21
; %bb.20:
	s_mul_i32 s2, s6, 7
	s_mov_b32 s3, 0
	s_wait_dscnt 0x0
	v_dual_add_f32 v0, v0, v1 :: v_dual_mov_b32 v1, 0
	s_wait_alu 0xfffe
	s_lshl_b64 s[2:3], s[2:3], 2
	s_wait_alu 0xfffe
	s_add_nc_u64 s[0:1], s[0:1], s[2:3]
	global_store_b32 v1, v0, s[0:1]
.LBB11_21:
	s_endpgm
	.section	.rodata,"a",@progbits
	.p2align	6, 0x0
	.amdhsa_kernel _ZL13mul_mat_vec_qIL9ggml_type41ELi8ELb0ELb0EEvPKvS2_PKi31ggml_cuda_mm_fusion_args_devicePfj15HIP_vector_typeIjLj3EEjjjS8_jjjS8_jjjj
		.amdhsa_group_segment_fixed_size 0
		.amdhsa_private_segment_fixed_size 0
		.amdhsa_kernarg_size 144
		.amdhsa_user_sgpr_count 2
		.amdhsa_user_sgpr_dispatch_ptr 0
		.amdhsa_user_sgpr_queue_ptr 0
		.amdhsa_user_sgpr_kernarg_segment_ptr 1
		.amdhsa_user_sgpr_dispatch_id 0
		.amdhsa_user_sgpr_private_segment_size 0
		.amdhsa_wavefront_size32 1
		.amdhsa_uses_dynamic_stack 0
		.amdhsa_enable_private_segment 0
		.amdhsa_system_sgpr_workgroup_id_x 1
		.amdhsa_system_sgpr_workgroup_id_y 1
		.amdhsa_system_sgpr_workgroup_id_z 1
		.amdhsa_system_sgpr_workgroup_info 0
		.amdhsa_system_vgpr_workitem_id 1
		.amdhsa_next_free_vgpr 94
		.amdhsa_next_free_sgpr 28
		.amdhsa_reserve_vcc 1
		.amdhsa_float_round_mode_32 0
		.amdhsa_float_round_mode_16_64 0
		.amdhsa_float_denorm_mode_32 3
		.amdhsa_float_denorm_mode_16_64 3
		.amdhsa_fp16_overflow 0
		.amdhsa_workgroup_processor_mode 1
		.amdhsa_memory_ordered 1
		.amdhsa_forward_progress 1
		.amdhsa_inst_pref_size 31
		.amdhsa_round_robin_scheduling 0
		.amdhsa_exception_fp_ieee_invalid_op 0
		.amdhsa_exception_fp_denorm_src 0
		.amdhsa_exception_fp_ieee_div_zero 0
		.amdhsa_exception_fp_ieee_overflow 0
		.amdhsa_exception_fp_ieee_underflow 0
		.amdhsa_exception_fp_ieee_inexact 0
		.amdhsa_exception_int_div_zero 0
	.end_amdhsa_kernel
	.section	.text._ZL13mul_mat_vec_qIL9ggml_type41ELi8ELb0ELb0EEvPKvS2_PKi31ggml_cuda_mm_fusion_args_devicePfj15HIP_vector_typeIjLj3EEjjjS8_jjjS8_jjjj,"axG",@progbits,_ZL13mul_mat_vec_qIL9ggml_type41ELi8ELb0ELb0EEvPKvS2_PKi31ggml_cuda_mm_fusion_args_devicePfj15HIP_vector_typeIjLj3EEjjjS8_jjjS8_jjjj,comdat
.Lfunc_end11:
	.size	_ZL13mul_mat_vec_qIL9ggml_type41ELi8ELb0ELb0EEvPKvS2_PKi31ggml_cuda_mm_fusion_args_devicePfj15HIP_vector_typeIjLj3EEjjjS8_jjjS8_jjjj, .Lfunc_end11-_ZL13mul_mat_vec_qIL9ggml_type41ELi8ELb0ELb0EEvPKvS2_PKi31ggml_cuda_mm_fusion_args_devicePfj15HIP_vector_typeIjLj3EEjjjS8_jjjS8_jjjj
                                        ; -- End function
	.set _ZL13mul_mat_vec_qIL9ggml_type41ELi8ELb0ELb0EEvPKvS2_PKi31ggml_cuda_mm_fusion_args_devicePfj15HIP_vector_typeIjLj3EEjjjS8_jjjS8_jjjj.num_vgpr, 94
	.set _ZL13mul_mat_vec_qIL9ggml_type41ELi8ELb0ELb0EEvPKvS2_PKi31ggml_cuda_mm_fusion_args_devicePfj15HIP_vector_typeIjLj3EEjjjS8_jjjS8_jjjj.num_agpr, 0
	.set _ZL13mul_mat_vec_qIL9ggml_type41ELi8ELb0ELb0EEvPKvS2_PKi31ggml_cuda_mm_fusion_args_devicePfj15HIP_vector_typeIjLj3EEjjjS8_jjjS8_jjjj.numbered_sgpr, 28
	.set _ZL13mul_mat_vec_qIL9ggml_type41ELi8ELb0ELb0EEvPKvS2_PKi31ggml_cuda_mm_fusion_args_devicePfj15HIP_vector_typeIjLj3EEjjjS8_jjjS8_jjjj.num_named_barrier, 0
	.set _ZL13mul_mat_vec_qIL9ggml_type41ELi8ELb0ELb0EEvPKvS2_PKi31ggml_cuda_mm_fusion_args_devicePfj15HIP_vector_typeIjLj3EEjjjS8_jjjS8_jjjj.private_seg_size, 0
	.set _ZL13mul_mat_vec_qIL9ggml_type41ELi8ELb0ELb0EEvPKvS2_PKi31ggml_cuda_mm_fusion_args_devicePfj15HIP_vector_typeIjLj3EEjjjS8_jjjS8_jjjj.uses_vcc, 1
	.set _ZL13mul_mat_vec_qIL9ggml_type41ELi8ELb0ELb0EEvPKvS2_PKi31ggml_cuda_mm_fusion_args_devicePfj15HIP_vector_typeIjLj3EEjjjS8_jjjS8_jjjj.uses_flat_scratch, 0
	.set _ZL13mul_mat_vec_qIL9ggml_type41ELi8ELb0ELb0EEvPKvS2_PKi31ggml_cuda_mm_fusion_args_devicePfj15HIP_vector_typeIjLj3EEjjjS8_jjjS8_jjjj.has_dyn_sized_stack, 0
	.set _ZL13mul_mat_vec_qIL9ggml_type41ELi8ELb0ELb0EEvPKvS2_PKi31ggml_cuda_mm_fusion_args_devicePfj15HIP_vector_typeIjLj3EEjjjS8_jjjS8_jjjj.has_recursion, 0
	.set _ZL13mul_mat_vec_qIL9ggml_type41ELi8ELb0ELb0EEvPKvS2_PKi31ggml_cuda_mm_fusion_args_devicePfj15HIP_vector_typeIjLj3EEjjjS8_jjjS8_jjjj.has_indirect_call, 0
	.section	.AMDGPU.csdata,"",@progbits
; Kernel info:
; codeLenInByte = 3900
; TotalNumSgprs: 30
; NumVgprs: 94
; ScratchSize: 0
; MemoryBound: 0
; FloatMode: 240
; IeeeMode: 1
; LDSByteSize: 0 bytes/workgroup (compile time only)
; SGPRBlocks: 0
; VGPRBlocks: 11
; NumSGPRsForWavesPerEU: 30
; NumVGPRsForWavesPerEU: 94
; Occupancy: 16
; WaveLimiterHint : 0
; COMPUTE_PGM_RSRC2:SCRATCH_EN: 0
; COMPUTE_PGM_RSRC2:USER_SGPR: 2
; COMPUTE_PGM_RSRC2:TRAP_HANDLER: 0
; COMPUTE_PGM_RSRC2:TGID_X_EN: 1
; COMPUTE_PGM_RSRC2:TGID_Y_EN: 1
; COMPUTE_PGM_RSRC2:TGID_Z_EN: 1
; COMPUTE_PGM_RSRC2:TIDIG_COMP_CNT: 1
	.section	.text._ZL17mul_mat_vec_q_moeIL9ggml_type2ELi2EEvPKvS2_PKiPfj15HIP_vector_typeIjLj3EEjjjjjjjjj,"axG",@progbits,_ZL17mul_mat_vec_q_moeIL9ggml_type2ELi2EEvPKvS2_PKiPfj15HIP_vector_typeIjLj3EEjjjjjjjjj,comdat
	.globl	_ZL17mul_mat_vec_q_moeIL9ggml_type2ELi2EEvPKvS2_PKiPfj15HIP_vector_typeIjLj3EEjjjjjjjjj ; -- Begin function _ZL17mul_mat_vec_q_moeIL9ggml_type2ELi2EEvPKvS2_PKiPfj15HIP_vector_typeIjLj3EEjjjjjjjjj
	.p2align	8
	.type	_ZL17mul_mat_vec_q_moeIL9ggml_type2ELi2EEvPKvS2_PKiPfj15HIP_vector_typeIjLj3EEjjjjjjjjj,@function
_ZL17mul_mat_vec_q_moeIL9ggml_type2ELi2EEvPKvS2_PKiPfj15HIP_vector_typeIjLj3EEjjjjjjjjj: ; @_ZL17mul_mat_vec_q_moeIL9ggml_type2ELi2EEvPKvS2_PKiPfj15HIP_vector_typeIjLj3EEjjjjjjjjj
; %bb.0:
	s_load_b256 s[4:11], s[0:1], 0x30
	v_bfe_u32 v6, v0, 10, 10
	s_mov_b32 s2, exec_lo
	s_wait_kmcnt 0x0
	s_delay_alu instid0(VALU_DEP_1)
	v_cmpx_gt_u32_e64 s11, v6
	s_cbranch_execz .LBB12_7
; %bb.1:
	s_clause 0x2
	s_load_b32 s2, s[0:1], 0x20
	s_load_b32 s20, s[0:1], 0x50
	s_load_b256 s[12:19], s[0:1], 0x0
	v_bfe_u32 v8, v0, 1, 9
	v_dual_mov_b32 v0, 0 :: v_dual_and_b32 v7, 0x3ff, v0
	v_mov_b32_e32 v1, 0
	s_mov_b32 s11, exec_lo
	s_wait_kmcnt 0x0
	s_lshr_b32 s3, s2, 5
	s_lshl_b32 s2, ttmp9, 1
	v_cmpx_gt_u32_e64 s3, v8
	s_cbranch_execz .LBB12_5
; %bb.2:
	s_mov_b32 s22, ttmp7
	v_lshrrev_b32_e32 v9, 1, v7
	v_mad_co_u64_u32 v[0:1], null, s20, v6, s[22:23]
	v_dual_mov_b32 v1, 0 :: v_dual_lshlrev_b32 v4, 2, v7
	s_load_b96 s[20:22], s[0:1], 0x24
	s_mov_b32 s1, 0
	v_and_b32_e32 v5, 1, v7
	s_delay_alu instid0(VALU_DEP_2) | instskip(NEXT) | instid1(VALU_DEP_4)
	v_and_b32_e32 v12, 4, v4
	v_lshlrev_b64_e32 v[2:3], 2, v[0:1]
	s_delay_alu instid0(VALU_DEP_1) | instskip(NEXT) | instid1(VALU_DEP_1)
	v_add_co_u32 v2, vcc_lo, s16, v2
	v_add_co_ci_u32_e64 v3, null, s17, v3, vcc_lo
	global_load_b32 v0, v[2:3], off
	v_mul_lo_u32 v2, s6, v6
	s_wait_kmcnt 0x0
	s_mul_hi_u32 s0, s20, ttmp7
	s_add_co_i32 s6, s2, 1
	s_add_co_i32 s0, ttmp7, s0
	s_delay_alu instid0(SALU_CYCLE_1) | instskip(NEXT) | instid1(SALU_CYCLE_1)
	s_lshr_b32 s0, s0, s21
	s_mul_i32 s0, s0, s22
	s_delay_alu instid0(VALU_DEP_1) | instskip(SKIP_1) | instid1(SALU_CYCLE_1)
	v_mad_co_u64_u32 v[2:3], null, v2, 36, 0
	s_sub_co_i32 s0, ttmp7, s0
	s_mul_i32 s0, s0, s9
	v_mad_co_u64_u32 v[10:11], null, v9, 36, v[2:3]
	s_wait_loadcnt 0x0
	v_mul_lo_u32 v0, v0, s8
	s_mul_u64 s[8:9], s[0:1], 36
	s_wait_alu 0xfffe
	s_add_nc_u64 s[8:9], s[14:15], s[8:9]
	s_delay_alu instid0(VALU_DEP_1)
	v_mad_co_u64_u32 v[2:3], null, s2, s5, v[0:1]
	v_mad_co_u64_u32 v[3:4], null, s5, s6, v[0:1]
	s_wait_alu 0xfffe
	v_add_co_u32 v4, vcc_lo, s8, v10
	v_lshlrev_b32_e32 v10, 1, v12
	v_dual_mov_b32 v0, v1 :: v_dual_lshlrev_b32 v9, 3, v5
	s_wait_alu 0xfffd
	v_add_co_ci_u32_e64 v5, null, s9, v11, vcc_lo
.LBB12_3:                               ; =>This Inner Loop Header: Depth=1
	v_add_nc_u32_e32 v12, v2, v8
	v_add_nc_u32_e32 v15, v3, v8
	v_add_co_u32 v11, vcc_lo, v4, v9
	v_add_nc_u32_e32 v8, 16, v8
	s_delay_alu instid0(VALU_DEP_4) | instskip(NEXT) | instid1(VALU_DEP_4)
	v_mad_co_i64_i32 v[13:14], null, v12, 18, s[12:13]
	v_mad_co_i64_i32 v[15:16], null, v15, 18, s[12:13]
	s_wait_alu 0xfffd
	v_add_co_ci_u32_e64 v12, null, 0, v5, vcc_lo
	s_delay_alu instid0(VALU_DEP_3) | instskip(SKIP_1) | instid1(VALU_DEP_4)
	v_add_co_u32 v17, s0, v13, v10
	s_wait_alu 0xf1ff
	v_add_co_ci_u32_e64 v18, null, 0, v14, s0
	s_delay_alu instid0(VALU_DEP_4)
	v_add_co_u32 v19, s0, v15, v10
	s_wait_alu 0xf1ff
	v_add_co_ci_u32_e64 v20, null, 0, v16, s0
	s_clause 0x1
	global_load_b64 v[17:18], v[17:18], off offset:2
	global_load_b64 v[19:20], v[19:20], off offset:2
	s_clause 0x2
	global_load_b64 v[21:22], v[11:12], off offset:4
	global_load_b64 v[11:12], v[11:12], off offset:20
	global_load_b32 v23, v[4:5], off
	s_clause 0x1
	global_load_u16 v15, v[15:16], off
	global_load_u16 v13, v[13:14], off
	v_add_co_u32 v4, vcc_lo, 0x240, v4
	v_cmp_le_u32_e64 s0, s3, v8
	s_wait_alu 0xfffd
	v_add_co_ci_u32_e64 v5, null, 0, v5, vcc_lo
	s_or_b32 s1, s0, s1
	s_wait_loadcnt 0x6
	v_lshrrev_b32_e32 v14, 4, v17
	v_and_b32_e32 v16, 0xf0f0f0f, v17
	s_wait_loadcnt 0x5
	v_lshrrev_b32_e32 v17, 4, v19
	v_and_b32_e32 v24, 0xf0f0f0f, v18
	v_lshrrev_b32_e32 v18, 4, v18
	v_and_b32_e32 v14, 0xf0f0f0f, v14
	s_wait_loadcnt 0x4
	v_dot4_i32_iu8 v16, v16, v21, 0 neg_lo:[1,1,0]
	v_and_b32_e32 v17, 0xf0f0f0f, v17
	s_wait_loadcnt 0x3
	s_delay_alu instid0(VALU_DEP_2) | instskip(SKIP_2) | instid1(VALU_DEP_2)
	v_dot4_i32_iu8 v14, v14, v11, v16 neg_lo:[1,1,0]
	s_wait_loadcnt 0x2
	v_lshrrev_b32_e32 v16, 16, v23
	v_dot4_i32_iu8 v14, v24, v22, v14 neg_lo:[1,1,0]
	s_delay_alu instid0(VALU_DEP_2) | instskip(SKIP_1) | instid1(VALU_DEP_1)
	v_cvt_f32_f16_e32 v16, v16
	v_and_b32_e32 v19, 0xf0f0f0f, v19
	v_dot4_i32_iu8 v19, v19, v21, 0 neg_lo:[1,1,0]
	v_and_b32_e32 v21, 0xf0f0f0f, v20
	v_lshrrev_b32_e32 v20, 4, v20
	s_delay_alu instid0(VALU_DEP_3) | instskip(SKIP_1) | instid1(VALU_DEP_3)
	v_dot4_i32_iu8 v11, v17, v11, v19 neg_lo:[1,1,0]
	v_and_b32_e32 v17, 0xf0f0f0f, v18
	v_and_b32_e32 v18, 0xf0f0f0f, v20
	s_delay_alu instid0(VALU_DEP_3) | instskip(NEXT) | instid1(VALU_DEP_3)
	v_dot4_i32_iu8 v11, v21, v22, v11 neg_lo:[1,1,0]
	v_dot4_i32_iu8 v14, v17, v12, v14 neg_lo:[1,1,0]
	s_delay_alu instid0(VALU_DEP_2) | instskip(SKIP_1) | instid1(VALU_DEP_3)
	v_dot4_i32_iu8 v11, v18, v12, v11 neg_lo:[1,1,0]
	v_mul_f32_e32 v12, -4.0, v16
	v_cvt_f32_i32_e32 v14, v14
	s_delay_alu instid0(VALU_DEP_3) | instskip(NEXT) | instid1(VALU_DEP_2)
	v_cvt_f32_i32_e32 v11, v11
	v_fma_mix_f32 v14, v14, v23, v12 op_sel_hi:[0,1,0]
	s_delay_alu instid0(VALU_DEP_2) | instskip(SKIP_1) | instid1(VALU_DEP_2)
	v_fma_mix_f32 v11, v11, v23, v12 op_sel_hi:[0,1,0]
	s_wait_loadcnt 0x0
	v_fma_mix_f32 v1, v14, v13, v1 op_sel_hi:[0,1,0]
	s_delay_alu instid0(VALU_DEP_2)
	v_fma_mix_f32 v0, v11, v15, v0 op_sel_hi:[0,1,0]
	s_wait_alu 0xfffe
	s_and_not1_b32 exec_lo, exec_lo, s1
	s_cbranch_execnz .LBB12_3
; %bb.4:
	s_or_b32 exec_lo, exec_lo, s1
.LBB12_5:
	s_wait_alu 0xfffe
	s_or_b32 exec_lo, exec_lo, s11
	v_mbcnt_lo_u32_b32 v2, -1, 0
	s_delay_alu instid0(VALU_DEP_1) | instskip(SKIP_1) | instid1(VALU_DEP_2)
	v_xor_b32_e32 v3, 16, v2
	v_xor_b32_e32 v5, 8, v2
	v_cmp_gt_i32_e32 vcc_lo, 32, v3
	s_wait_alu 0xfffd
	v_cndmask_b32_e32 v3, v2, v3, vcc_lo
	s_delay_alu instid0(VALU_DEP_3) | instskip(NEXT) | instid1(VALU_DEP_2)
	v_cmp_gt_i32_e32 vcc_lo, 32, v5
	v_lshlrev_b32_e32 v3, 2, v3
	ds_bpermute_b32 v4, v3, v1
	ds_bpermute_b32 v3, v3, v0
	s_wait_alu 0xfffd
	v_cndmask_b32_e32 v5, v2, v5, vcc_lo
	s_wait_dscnt 0x0
	v_dual_add_f32 v1, v1, v4 :: v_dual_add_f32 v0, v0, v3
	s_delay_alu instid0(VALU_DEP_2) | instskip(SKIP_3) | instid1(VALU_DEP_1)
	v_lshlrev_b32_e32 v5, 2, v5
	ds_bpermute_b32 v3, v5, v1
	ds_bpermute_b32 v4, v5, v0
	v_xor_b32_e32 v5, 4, v2
	v_cmp_gt_i32_e32 vcc_lo, 32, v5
	s_wait_alu 0xfffd
	v_cndmask_b32_e32 v5, v2, v5, vcc_lo
	s_delay_alu instid0(VALU_DEP_1)
	v_lshlrev_b32_e32 v5, 2, v5
	s_wait_dscnt 0x0
	v_dual_add_f32 v1, v1, v3 :: v_dual_add_f32 v0, v0, v4
	ds_bpermute_b32 v3, v5, v1
	ds_bpermute_b32 v4, v5, v0
	v_xor_b32_e32 v5, 2, v2
	s_delay_alu instid0(VALU_DEP_1) | instskip(SKIP_2) | instid1(VALU_DEP_1)
	v_cmp_gt_i32_e32 vcc_lo, 32, v5
	s_wait_alu 0xfffd
	v_cndmask_b32_e32 v5, v2, v5, vcc_lo
	v_lshlrev_b32_e32 v5, 2, v5
	s_wait_dscnt 0x1
	v_add_f32_e32 v1, v1, v3
	s_wait_dscnt 0x0
	v_add_f32_e32 v3, v0, v4
	ds_bpermute_b32 v0, v5, v1
	ds_bpermute_b32 v4, v5, v3
	v_xor_b32_e32 v5, 1, v2
	s_delay_alu instid0(VALU_DEP_1) | instskip(SKIP_4) | instid1(VALU_DEP_2)
	v_cmp_gt_i32_e32 vcc_lo, 32, v5
	s_wait_alu 0xfffd
	v_cndmask_b32_e32 v2, v2, v5, vcc_lo
	v_cmp_gt_u32_e32 vcc_lo, 2, v7
	s_wait_dscnt 0x1
	v_dual_add_f32 v0, v1, v0 :: v_dual_lshlrev_b32 v5, 2, v2
	s_wait_dscnt 0x0
	v_dual_add_f32 v1, v3, v4 :: v_dual_add_nc_u32 v4, s2, v7
	ds_bpermute_b32 v2, v5, v0
	ds_bpermute_b32 v3, v5, v1
	v_cmp_gt_u32_e64 s0, s4, v4
	s_and_b32 s0, vcc_lo, s0
	s_wait_alu 0xfffe
	s_and_b32 exec_lo, exec_lo, s0
	s_cbranch_execz .LBB12_7
; %bb.6:
	v_mul_lo_u32 v4, s7, v6
	v_or_b32_e32 v6, s2, v7
	s_mul_i32 s0, s10, ttmp7
	s_wait_dscnt 0x1
	v_dual_mov_b32 v5, 0 :: v_dual_add_f32 v2, v0, v2
	s_wait_dscnt 0x0
	v_add_f32_e32 v3, v1, v3
	v_cmp_eq_u32_e32 vcc_lo, 1, v7
	s_wait_alu 0xfffe
	v_add3_u32 v4, v6, v4, s0
	s_wait_alu 0xfffd
	v_cndmask_b32_e32 v2, v2, v3, vcc_lo
	s_delay_alu instid0(VALU_DEP_2) | instskip(NEXT) | instid1(VALU_DEP_1)
	v_lshlrev_b64_e32 v[0:1], 2, v[4:5]
	v_add_co_u32 v0, vcc_lo, s18, v0
	s_wait_alu 0xfffd
	s_delay_alu instid0(VALU_DEP_2)
	v_add_co_ci_u32_e64 v1, null, s19, v1, vcc_lo
	global_store_b32 v[0:1], v2, off
.LBB12_7:
	s_endpgm
	.section	.rodata,"a",@progbits
	.p2align	6, 0x0
	.amdhsa_kernel _ZL17mul_mat_vec_q_moeIL9ggml_type2ELi2EEvPKvS2_PKiPfj15HIP_vector_typeIjLj3EEjjjjjjjjj
		.amdhsa_group_segment_fixed_size 0
		.amdhsa_private_segment_fixed_size 0
		.amdhsa_kernarg_size 84
		.amdhsa_user_sgpr_count 2
		.amdhsa_user_sgpr_dispatch_ptr 0
		.amdhsa_user_sgpr_queue_ptr 0
		.amdhsa_user_sgpr_kernarg_segment_ptr 1
		.amdhsa_user_sgpr_dispatch_id 0
		.amdhsa_user_sgpr_private_segment_size 0
		.amdhsa_wavefront_size32 1
		.amdhsa_uses_dynamic_stack 0
		.amdhsa_enable_private_segment 0
		.amdhsa_system_sgpr_workgroup_id_x 1
		.amdhsa_system_sgpr_workgroup_id_y 1
		.amdhsa_system_sgpr_workgroup_id_z 0
		.amdhsa_system_sgpr_workgroup_info 0
		.amdhsa_system_vgpr_workitem_id 1
		.amdhsa_next_free_vgpr 25
		.amdhsa_next_free_sgpr 24
		.amdhsa_reserve_vcc 1
		.amdhsa_float_round_mode_32 0
		.amdhsa_float_round_mode_16_64 0
		.amdhsa_float_denorm_mode_32 3
		.amdhsa_float_denorm_mode_16_64 3
		.amdhsa_fp16_overflow 0
		.amdhsa_workgroup_processor_mode 1
		.amdhsa_memory_ordered 1
		.amdhsa_forward_progress 1
		.amdhsa_inst_pref_size 10
		.amdhsa_round_robin_scheduling 0
		.amdhsa_exception_fp_ieee_invalid_op 0
		.amdhsa_exception_fp_denorm_src 0
		.amdhsa_exception_fp_ieee_div_zero 0
		.amdhsa_exception_fp_ieee_overflow 0
		.amdhsa_exception_fp_ieee_underflow 0
		.amdhsa_exception_fp_ieee_inexact 0
		.amdhsa_exception_int_div_zero 0
	.end_amdhsa_kernel
	.section	.text._ZL17mul_mat_vec_q_moeIL9ggml_type2ELi2EEvPKvS2_PKiPfj15HIP_vector_typeIjLj3EEjjjjjjjjj,"axG",@progbits,_ZL17mul_mat_vec_q_moeIL9ggml_type2ELi2EEvPKvS2_PKiPfj15HIP_vector_typeIjLj3EEjjjjjjjjj,comdat
.Lfunc_end12:
	.size	_ZL17mul_mat_vec_q_moeIL9ggml_type2ELi2EEvPKvS2_PKiPfj15HIP_vector_typeIjLj3EEjjjjjjjjj, .Lfunc_end12-_ZL17mul_mat_vec_q_moeIL9ggml_type2ELi2EEvPKvS2_PKiPfj15HIP_vector_typeIjLj3EEjjjjjjjjj
                                        ; -- End function
	.set _ZL17mul_mat_vec_q_moeIL9ggml_type2ELi2EEvPKvS2_PKiPfj15HIP_vector_typeIjLj3EEjjjjjjjjj.num_vgpr, 25
	.set _ZL17mul_mat_vec_q_moeIL9ggml_type2ELi2EEvPKvS2_PKiPfj15HIP_vector_typeIjLj3EEjjjjjjjjj.num_agpr, 0
	.set _ZL17mul_mat_vec_q_moeIL9ggml_type2ELi2EEvPKvS2_PKiPfj15HIP_vector_typeIjLj3EEjjjjjjjjj.numbered_sgpr, 24
	.set _ZL17mul_mat_vec_q_moeIL9ggml_type2ELi2EEvPKvS2_PKiPfj15HIP_vector_typeIjLj3EEjjjjjjjjj.num_named_barrier, 0
	.set _ZL17mul_mat_vec_q_moeIL9ggml_type2ELi2EEvPKvS2_PKiPfj15HIP_vector_typeIjLj3EEjjjjjjjjj.private_seg_size, 0
	.set _ZL17mul_mat_vec_q_moeIL9ggml_type2ELi2EEvPKvS2_PKiPfj15HIP_vector_typeIjLj3EEjjjjjjjjj.uses_vcc, 1
	.set _ZL17mul_mat_vec_q_moeIL9ggml_type2ELi2EEvPKvS2_PKiPfj15HIP_vector_typeIjLj3EEjjjjjjjjj.uses_flat_scratch, 0
	.set _ZL17mul_mat_vec_q_moeIL9ggml_type2ELi2EEvPKvS2_PKiPfj15HIP_vector_typeIjLj3EEjjjjjjjjj.has_dyn_sized_stack, 0
	.set _ZL17mul_mat_vec_q_moeIL9ggml_type2ELi2EEvPKvS2_PKiPfj15HIP_vector_typeIjLj3EEjjjjjjjjj.has_recursion, 0
	.set _ZL17mul_mat_vec_q_moeIL9ggml_type2ELi2EEvPKvS2_PKiPfj15HIP_vector_typeIjLj3EEjjjjjjjjj.has_indirect_call, 0
	.section	.AMDGPU.csdata,"",@progbits
; Kernel info:
; codeLenInByte = 1264
; TotalNumSgprs: 26
; NumVgprs: 25
; ScratchSize: 0
; MemoryBound: 0
; FloatMode: 240
; IeeeMode: 1
; LDSByteSize: 0 bytes/workgroup (compile time only)
; SGPRBlocks: 0
; VGPRBlocks: 3
; NumSGPRsForWavesPerEU: 26
; NumVGPRsForWavesPerEU: 25
; Occupancy: 16
; WaveLimiterHint : 1
; COMPUTE_PGM_RSRC2:SCRATCH_EN: 0
; COMPUTE_PGM_RSRC2:USER_SGPR: 2
; COMPUTE_PGM_RSRC2:TRAP_HANDLER: 0
; COMPUTE_PGM_RSRC2:TGID_X_EN: 1
; COMPUTE_PGM_RSRC2:TGID_Y_EN: 1
; COMPUTE_PGM_RSRC2:TGID_Z_EN: 0
; COMPUTE_PGM_RSRC2:TIDIG_COMP_CNT: 1
	.section	.text._ZL13mul_mat_vec_qIL9ggml_type2ELi1ELb1ELb1EEvPKvS2_PKi31ggml_cuda_mm_fusion_args_devicePfj15HIP_vector_typeIjLj3EEjjjS8_jjjS8_jjjj,"axG",@progbits,_ZL13mul_mat_vec_qIL9ggml_type2ELi1ELb1ELb1EEvPKvS2_PKi31ggml_cuda_mm_fusion_args_devicePfj15HIP_vector_typeIjLj3EEjjjS8_jjjS8_jjjj,comdat
	.globl	_ZL13mul_mat_vec_qIL9ggml_type2ELi1ELb1ELb1EEvPKvS2_PKi31ggml_cuda_mm_fusion_args_devicePfj15HIP_vector_typeIjLj3EEjjjS8_jjjS8_jjjj ; -- Begin function _ZL13mul_mat_vec_qIL9ggml_type2ELi1ELb1ELb1EEvPKvS2_PKi31ggml_cuda_mm_fusion_args_devicePfj15HIP_vector_typeIjLj3EEjjjS8_jjjS8_jjjj
	.p2align	8
	.type	_ZL13mul_mat_vec_qIL9ggml_type2ELi1ELb1ELb1EEvPKvS2_PKi31ggml_cuda_mm_fusion_args_devicePfj15HIP_vector_typeIjLj3EEjjjS8_jjjS8_jjjj,@function
_ZL13mul_mat_vec_qIL9ggml_type2ELi1ELb1ELb1EEvPKvS2_PKi31ggml_cuda_mm_fusion_args_devicePfj15HIP_vector_typeIjLj3EEjjjS8_jjjS8_jjjj: ; @_ZL13mul_mat_vec_qIL9ggml_type2ELi1ELb1ELb1EEvPKvS2_PKi31ggml_cuda_mm_fusion_args_devicePfj15HIP_vector_typeIjLj3EEjjjS8_jjjS8_jjjj
; %bb.0:
	s_clause 0x3
	s_load_b256 s[8:15], s[0:1], 0x0
	s_load_b128 s[16:19], s[0:1], 0x20
	s_load_b128 s[20:23], s[0:1], 0x40
	s_load_b128 s[4:7], s[0:1], 0x68
	s_and_b32 s27, ttmp7, 0xffff
	s_wait_kmcnt 0x0
	s_cmp_lg_u64 s[12:13], 0
	s_cselect_b32 s2, -1, 0
	s_cmp_eq_u64 s[12:13], 0
	s_cbranch_scc1 .LBB13_42
; %bb.1:
	s_lshl_b32 s3, s27, 2
	s_load_b32 s28, s[12:13], s3 offset:0x0
	s_clause 0x1
	s_load_b32 s29, s[0:1], 0x50
	s_load_b32 s30, s[0:1], 0x78
	s_cbranch_execnz .LBB13_3
.LBB13_2:
	s_load_b64 s[12:13], s[0:1], 0x5c
	s_wait_kmcnt 0x0
	s_mul_hi_u32 s3, s12, s27
	s_delay_alu instid0(SALU_CYCLE_1) | instskip(NEXT) | instid1(SALU_CYCLE_1)
	s_add_co_i32 s3, s27, s3
	s_lshr_b32 s28, s3, s13
.LBB13_3:
	s_and_not1_b32 vcc_lo, exec_lo, s2
	s_mov_b32 s3, s27
	s_mov_b32 s31, s27
	s_cbranch_vccnz .LBB13_5
; %bb.4:
	s_mul_hi_u32 s2, s21, s27
	s_wait_kmcnt 0x0
	s_mov_b32 s3, s28
	s_add_co_i32 s2, s27, s2
	s_delay_alu instid0(SALU_CYCLE_1) | instskip(NEXT) | instid1(SALU_CYCLE_1)
	s_lshr_b32 s2, s2, s22
	s_mul_i32 s2, s2, s23
	s_delay_alu instid0(SALU_CYCLE_1)
	s_sub_co_i32 s31, s27, s2
.LBB13_5:
	s_load_b96 s[24:26], s[0:1], 0x80
	v_bfe_u32 v14, v0, 10, 10
	v_dual_mov_b32 v10, 0 :: v_dual_and_b32 v9, 0x3ff, v0
	s_lshr_b32 s21, ttmp7, 16
	s_cmp_lg_u64 s[14:15], 0
	s_delay_alu instid0(VALU_DEP_1) | instskip(SKIP_4) | instid1(VALU_DEP_1)
	v_dual_mov_b32 v11, 0 :: v_dual_lshlrev_b32 v8, 2, v9
	v_or_b32_e32 v0, v9, v14
	s_cselect_b32 s2, -1, 0
	s_mov_b32 s23, 0
	s_mul_i32 s12, s3, s6
	v_cmp_eq_u32_e32 vcc_lo, 0, v0
	s_and_b32 s13, s2, vcc_lo
	s_delay_alu instid0(SALU_CYCLE_1)
	s_and_saveexec_b32 s3, s13
	s_cbranch_execz .LBB13_7
; %bb.6:
	s_wait_kmcnt 0x0
	s_mul_i32 s22, s26, s21
	s_mov_b32 s13, s23
	s_lshl_b64 s[36:37], s[22:23], 2
	s_mov_b32 s34, ttmp9
	s_add_nc_u64 s[14:15], s[14:15], s[36:37]
	s_lshl_b64 s[22:23], s[12:13], 2
	s_ashr_i32 s35, ttmp9, 31
	s_add_nc_u64 s[14:15], s[14:15], s[22:23]
	s_lshl_b64 s[22:23], s[34:35], 2
	s_delay_alu instid0(SALU_CYCLE_1)
	s_add_nc_u64 s[14:15], s[14:15], s[22:23]
	global_load_b32 v11, v8, s[14:15]
.LBB13_7:
	s_or_b32 exec_lo, exec_lo, s3
	s_cmp_lg_u64 s[16:17], 0
	s_cselect_b32 s14, -1, 0
	s_cmp_lg_u64 s[18:19], 0
	s_cselect_b32 s3, -1, 0
	s_delay_alu instid0(SALU_CYCLE_1) | instskip(NEXT) | instid1(SALU_CYCLE_1)
	s_and_b32 s13, s3, s14
	s_and_b32 s13, s13, vcc_lo
	s_delay_alu instid0(SALU_CYCLE_1)
	s_and_saveexec_b32 s15, s13
	s_cbranch_execz .LBB13_9
; %bb.8:
	s_wait_kmcnt 0x0
	s_mul_i32 s34, s26, s21
	s_mov_b32 s35, 0
	s_mov_b32 s22, ttmp9
	s_lshl_b64 s[36:37], s[34:35], 2
	s_mov_b32 s13, s35
	s_add_nc_u64 s[18:19], s[18:19], s[36:37]
	s_lshl_b64 s[12:13], s[12:13], 2
	s_ashr_i32 s23, ttmp9, 31
	s_add_nc_u64 s[12:13], s[18:19], s[12:13]
	s_lshl_b64 s[18:19], s[22:23], 2
	s_delay_alu instid0(SALU_CYCLE_1)
	s_add_nc_u64 s[12:13], s[12:13], s[18:19]
	global_load_b32 v10, v8, s[12:13]
.LBB13_9:
	s_or_b32 exec_lo, exec_lo, s15
	v_dual_mov_b32 v15, 0 :: v_dual_lshlrev_b32 v0, 5, v14
	v_cndmask_b32_e64 v12, 0, 1, s14
	s_lshr_b32 s15, s20, 5
	s_mov_b32 s18, exec_lo
	s_delay_alu instid0(VALU_DEP_2) | instskip(SKIP_1) | instid1(VALU_DEP_2)
	v_add_nc_u16 v1, v0, v9
	v_mov_b32_e32 v13, 0
	v_lshrrev_b16 v1, 1, v1
	s_delay_alu instid0(VALU_DEP_1) | instskip(SKIP_1) | instid1(VALU_DEP_1)
	v_and_b32_e32 v16, 0xffff, v1
	s_wait_alu 0xfffe
	v_cmpx_gt_u32_e64 s15, v16
	s_cbranch_execz .LBB13_15
; %bb.10:
	s_mul_hi_u32 s7, s7, s21
	v_dual_mov_b32 v15, 0 :: v_dual_add_nc_u32 v0, v0, v9
	s_mul_i32 s22, s31, s5
	s_add_co_i32 s5, s21, s7
	s_wait_kmcnt 0x0
	s_mul_i32 s12, s25, s21
	s_mov_b32 s13, 0
	s_lshr_b32 s5, s5, s30
	s_mov_b32 s23, s13
	s_mul_i32 s7, s28, s4
	s_mul_i32 s19, s5, s24
	s_mul_u64 s[4:5], s[12:13], 36
	v_lshrrev_b32_e32 v0, 1, v0
	s_mul_u64 s[22:23], s[22:23], 36
	s_add_nc_u64 s[4:5], s[10:11], s[4:5]
	v_dual_mov_b32 v13, 0 :: v_dual_and_b32 v2, 4, v8
	v_and_b32_e32 v3, 1, v9
	s_add_nc_u64 s[4:5], s[4:5], s[22:23]
	s_mul_i32 s29, s29, ttmp9
	v_mad_co_u64_u32 v[0:1], null, v0, 36, s[4:5]
	s_delay_alu instid0(VALU_DEP_2) | instskip(SKIP_2) | instid1(SALU_CYCLE_1)
	v_lshlrev_b32_e32 v17, 3, v3
	v_lshlrev_b32_e32 v18, 1, v2
	s_add_co_i32 s19, s19, s29
	s_add_co_i32 s5, s7, s19
	s_branch .LBB13_12
.LBB13_11:                              ;   in Loop: Header=BB13_12 Depth=1
	s_wait_loadcnt 0x1
	v_lshrrev_b32_e32 v22, 4, v6
	v_and_b32_e32 v6, 0xf0f0f0f, v6
	v_add_nc_u32_e32 v16, 0x80, v16
	v_add_co_u32 v0, s4, 0x1200, v0
	s_delay_alu instid0(VALU_DEP_4) | instskip(NEXT) | instid1(VALU_DEP_4)
	v_and_b32_e32 v22, 0xf0f0f0f, v22
	v_dot4_i32_iu8 v2, v6, v2, 0 neg_lo:[1,1,0]
	v_and_b32_e32 v6, 0xf0f0f0f, v7
	v_lshrrev_b32_e32 v7, 4, v7
	v_cmp_le_u32_e32 vcc_lo, s15, v16
	s_wait_alu 0xf1ff
	v_add_co_ci_u32_e64 v1, null, 0, v1, s4
	v_dot4_i32_iu8 v2, v22, v4, v2 neg_lo:[1,1,0]
	v_and_b32_e32 v4, 0xf0f0f0f, v7
	s_or_b32 s13, vcc_lo, s13
	s_delay_alu instid0(VALU_DEP_2) | instskip(NEXT) | instid1(VALU_DEP_1)
	v_dot4_i32_iu8 v2, v6, v3, v2 neg_lo:[1,1,0]
	v_dot4_i32_iu8 v2, v4, v5, v2 neg_lo:[1,1,0]
	s_delay_alu instid0(VALU_DEP_1) | instskip(NEXT) | instid1(VALU_DEP_1)
	v_cvt_f32_i32_e32 v2, v2
	v_fma_f32 v2, v2, v20, -v21
	s_wait_loadcnt 0x0
	s_delay_alu instid0(VALU_DEP_1)
	v_fma_mix_f32 v15, v2, v19, v15 op_sel_hi:[0,1,0]
	s_and_not1_b32 exec_lo, exec_lo, s13
	s_cbranch_execz .LBB13_14
.LBB13_12:                              ; =>This Inner Loop Header: Depth=1
	s_wait_alu 0xfffe
	v_add_nc_u32_e32 v22, s5, v16
	global_load_b32 v21, v[0:1], off
	v_add_co_u32 v4, vcc_lo, v0, v17
	s_wait_alu 0xfffd
	v_add_co_ci_u32_e64 v5, null, 0, v1, vcc_lo
	v_mad_co_i64_i32 v[19:20], null, v22, 18, s[8:9]
	s_delay_alu instid0(VALU_DEP_1) | instskip(SKIP_1) | instid1(VALU_DEP_2)
	v_add_co_u32 v6, vcc_lo, v19, v18
	s_wait_alu 0xfffd
	v_add_co_ci_u32_e64 v7, null, 0, v20, vcc_lo
	s_clause 0x1
	global_load_b64 v[2:3], v[4:5], off offset:4
	global_load_b64 v[4:5], v[4:5], off offset:20
	s_clause 0x1
	global_load_b64 v[6:7], v[6:7], off offset:2
	global_load_u16 v19, v[19:20], off
	s_and_not1_b32 vcc_lo, exec_lo, s14
	s_wait_loadcnt 0x4
	v_lshrrev_b32_e32 v20, 16, v21
	s_delay_alu instid0(VALU_DEP_1) | instskip(SKIP_1) | instid1(VALU_DEP_2)
	v_cvt_f32_f16_e32 v23, v20
	v_cvt_f32_f16_e32 v20, v21
	v_mul_f32_e32 v21, 4.0, v23
	s_wait_alu 0xfffe
	s_cbranch_vccnz .LBB13_11
; %bb.13:                               ;   in Loop: Header=BB13_12 Depth=1
	v_mad_co_i64_i32 v[22:23], null, v22, 18, s[16:17]
	s_delay_alu instid0(VALU_DEP_1) | instskip(SKIP_1) | instid1(VALU_DEP_2)
	v_add_co_u32 v24, vcc_lo, v22, v18
	s_wait_alu 0xfffd
	v_add_co_ci_u32_e64 v25, null, 0, v23, vcc_lo
	s_clause 0x1
	global_load_b64 v[24:25], v[24:25], off offset:2
	global_load_u16 v22, v[22:23], off
	s_wait_loadcnt 0x1
	v_lshrrev_b32_e32 v23, 4, v24
	v_and_b32_e32 v24, 0xf0f0f0f, v24
	v_lshrrev_b32_e32 v26, 4, v25
	s_delay_alu instid0(VALU_DEP_3) | instskip(NEXT) | instid1(VALU_DEP_3)
	v_and_b32_e32 v23, 0xf0f0f0f, v23
	v_dot4_i32_iu8 v24, v24, v2, 0 neg_lo:[1,1,0]
	s_delay_alu instid0(VALU_DEP_1) | instskip(SKIP_2) | instid1(VALU_DEP_2)
	v_dot4_i32_iu8 v23, v23, v4, v24 neg_lo:[1,1,0]
	v_and_b32_e32 v24, 0xf0f0f0f, v25
	v_and_b32_e32 v25, 0xf0f0f0f, v26
	v_dot4_i32_iu8 v23, v24, v3, v23 neg_lo:[1,1,0]
	s_delay_alu instid0(VALU_DEP_1) | instskip(NEXT) | instid1(VALU_DEP_1)
	v_dot4_i32_iu8 v23, v25, v5, v23 neg_lo:[1,1,0]
	v_cvt_f32_i32_e32 v23, v23
	s_delay_alu instid0(VALU_DEP_1) | instskip(SKIP_1) | instid1(VALU_DEP_1)
	v_fma_f32 v23, v20, v23, -v21
	s_wait_loadcnt 0x0
	v_fma_mix_f32 v13, v23, v22, v13 op_sel_hi:[0,1,0]
	s_branch .LBB13_11
.LBB13_14:
	s_or_b32 exec_lo, exec_lo, s13
.LBB13_15:
	s_delay_alu instid0(SALU_CYCLE_1)
	s_or_b32 exec_lo, exec_lo, s18
	s_load_b32 s5, s[0:1], 0x30
	v_cmp_eq_u32_e64 s4, 0, v14
	s_mov_b32 s7, exec_lo
	v_cmpx_ne_u32_e32 0, v14
	s_cbranch_execz .LBB13_19
; %bb.16:
	v_add_nc_u32_e32 v0, -1, v14
	s_and_b32 vcc_lo, exec_lo, s14
	s_delay_alu instid0(VALU_DEP_1)
	v_lshlrev_b32_e32 v0, 7, v0
	s_wait_alu 0xfffe
	s_cbranch_vccz .LBB13_18
; %bb.17:
	s_delay_alu instid0(VALU_DEP_1)
	v_lshl_add_u32 v1, v9, 2, v0
	ds_store_b32 v1, v13 offset:896
.LBB13_18:
	s_delay_alu instid0(VALU_DEP_1)
	v_lshl_add_u32 v0, v9, 2, v0
	ds_store_b32 v0, v15
.LBB13_19:
	s_or_b32 exec_lo, exec_lo, s7
	s_wait_loadcnt_dscnt 0x0
	s_barrier_signal -1
	s_barrier_wait -1
	global_inv scope:SCOPE_SE
	s_and_saveexec_b32 s7, s4
	s_cbranch_execz .LBB13_61
; %bb.20:
	ds_load_b32 v0, v8
	v_cmp_ne_u32_e32 vcc_lo, 1, v12
	v_add_nc_u32_e32 v1, 0x380, v8
	s_cbranch_vccnz .LBB13_22
; %bb.21:
	ds_load_b32 v2, v1
	s_wait_dscnt 0x0
	v_add_f32_e32 v13, v13, v2
.LBB13_22:
	ds_load_b32 v2, v8 offset:128
	v_cmp_ne_u32_e32 vcc_lo, 1, v12
	s_cbranch_vccnz .LBB13_24
; %bb.23:
	ds_load_b32 v3, v1 offset:128
	s_wait_dscnt 0x0
	v_add_f32_e32 v13, v13, v3
.LBB13_24:
	ds_load_b32 v3, v8 offset:256
	v_cmp_ne_u32_e32 vcc_lo, 1, v12
	s_cbranch_vccnz .LBB13_26
; %bb.25:
	ds_load_b32 v4, v1 offset:256
	s_wait_dscnt 0x0
	v_add_f32_e32 v13, v13, v4
.LBB13_26:
	;; [unrolled: 8-line block ×6, first 2 shown]
	v_mbcnt_lo_u32_b32 v1, -1, 0
	s_wait_dscnt 0x6
	v_add_f32_e32 v0, v15, v0
	s_wait_dscnt 0x5
	s_delay_alu instid0(VALU_DEP_1) | instskip(SKIP_2) | instid1(VALU_DEP_2)
	v_add_f32_e32 v0, v0, v2
	v_xor_b32_e32 v2, 16, v1
	s_wait_dscnt 0x4
	v_add_f32_e32 v0, v0, v3
	s_delay_alu instid0(VALU_DEP_2) | instskip(SKIP_2) | instid1(VALU_DEP_3)
	v_cmp_gt_i32_e32 vcc_lo, 32, v2
	v_xor_b32_e32 v3, 8, v1
	s_wait_dscnt 0x3
	v_add_f32_e32 v0, v0, v4
	s_wait_alu 0xfffd
	v_cndmask_b32_e32 v2, v1, v2, vcc_lo
	v_cmp_gt_i32_e32 vcc_lo, 32, v3
	s_wait_dscnt 0x2
	s_wait_alu 0xfffd
	v_dual_add_f32 v0, v0, v5 :: v_dual_cndmask_b32 v3, v1, v3
	s_wait_dscnt 0x1
	s_delay_alu instid0(VALU_DEP_1) | instskip(SKIP_1) | instid1(VALU_DEP_1)
	v_dual_add_f32 v0, v0, v6 :: v_dual_lshlrev_b32 v3, 2, v3
	s_wait_dscnt 0x0
	v_add_f32_e32 v4, v0, v7
	v_lshlrev_b32_e32 v0, 2, v2
	ds_bpermute_b32 v2, v0, v4
	s_wait_dscnt 0x0
	v_add_f32_e32 v2, v4, v2
	v_xor_b32_e32 v4, 4, v1
	ds_bpermute_b32 v5, v3, v2
	v_cmp_gt_i32_e32 vcc_lo, 32, v4
	s_wait_alu 0xfffd
	v_cndmask_b32_e32 v4, v1, v4, vcc_lo
	s_delay_alu instid0(VALU_DEP_1)
	v_lshlrev_b32_e32 v4, 2, v4
	s_wait_dscnt 0x0
	v_add_f32_e32 v2, v2, v5
	v_xor_b32_e32 v5, 2, v1
	ds_bpermute_b32 v6, v4, v2
	v_cmp_gt_i32_e32 vcc_lo, 32, v5
	s_wait_alu 0xfffd
	v_cndmask_b32_e32 v5, v1, v5, vcc_lo
	s_wait_dscnt 0x0
	s_delay_alu instid0(VALU_DEP_1)
	v_dual_add_f32 v2, v2, v6 :: v_dual_lshlrev_b32 v5, 2, v5
	v_xor_b32_e32 v6, 1, v1
	ds_bpermute_b32 v7, v5, v2
	v_cmp_gt_i32_e32 vcc_lo, 32, v6
	s_wait_alu 0xfffd
	v_cndmask_b32_e32 v1, v1, v6, vcc_lo
	v_cmp_ne_u32_e32 vcc_lo, 1, v12
	s_delay_alu instid0(VALU_DEP_2)
	v_lshlrev_b32_e32 v6, 2, v1
	s_wait_dscnt 0x0
	v_add_f32_e32 v1, v2, v7
	ds_bpermute_b32 v2, v6, v1
	s_cbranch_vccnz .LBB13_36
; %bb.35:
	ds_bpermute_b32 v0, v0, v13
	s_wait_dscnt 0x0
	v_add_f32_e32 v0, v13, v0
	ds_bpermute_b32 v3, v3, v0
	s_wait_dscnt 0x0
	v_add_f32_e32 v0, v0, v3
	;; [unrolled: 3-line block ×5, first 2 shown]
.LBB13_36:
	v_cmp_eq_u32_e32 vcc_lo, 0, v9
	s_and_b32 exec_lo, exec_lo, vcc_lo
	s_cbranch_execz .LBB13_61
; %bb.37:
	s_wait_dscnt 0x0
	v_add_f32_e32 v0, v1, v2
	v_cmp_ne_u32_e32 vcc_lo, 1, v12
	s_delay_alu instid0(VALU_DEP_2) | instskip(NEXT) | instid1(VALU_DEP_1)
	v_add_f32_e32 v1, v11, v0
	v_cndmask_b32_e64 v0, v0, v1, s2
	s_cbranch_vccnz .LBB13_60
; %bb.38:
	v_add_f32_e32 v1, v10, v13
	s_wait_kmcnt 0x0
	s_cmp_lt_i32 s5, 2
	s_mov_b32 s2, 0
	s_delay_alu instid0(VALU_DEP_1)
	v_cndmask_b32_e64 v1, v13, v1, s3
	s_cbranch_scc1 .LBB13_43
; %bb.39:
	s_cmp_gt_i32 s5, 2
	s_cbranch_scc0 .LBB13_44
; %bb.40:
	s_cmp_eq_u32 s5, 3
	s_cbranch_scc0 .LBB13_45
; %bb.41:
	v_max_num_f32_e32 v2, v1, v1
	s_mov_b32 s3, 0xc0e00000
	s_delay_alu instid0(VALU_DEP_1) | instskip(NEXT) | instid1(VALU_DEP_1)
	v_min_num_f32_e32 v2, 0x40e00000, v2
	v_mul_f32_e32 v3, 0xbfd9db23, v2
	s_delay_alu instid0(VALU_DEP_1) | instskip(NEXT) | instid1(VALU_DEP_1)
	v_mul_f32_e32 v4, 0x3fb8aa3b, v3
	v_fma_f32 v5, 0x3fb8aa3b, v3, -v4
	v_rndne_f32_e32 v6, v4
	s_delay_alu instid0(VALU_DEP_1) | instskip(NEXT) | instid1(VALU_DEP_1)
	v_dual_fmamk_f32 v5, v3, 0x32a5705f, v5 :: v_dual_sub_f32 v4, v4, v6
	v_add_f32_e32 v4, v4, v5
	v_cvt_i32_f32_e32 v5, v6
	v_cmp_ngt_f32_e32 vcc_lo, 0xc2ce8ed0, v3
	s_delay_alu instid0(VALU_DEP_3) | instskip(NEXT) | instid1(TRANS32_DEP_1)
	v_exp_f32_e32 v4, v4
	v_ldexp_f32 v4, v4, v5
	s_wait_alu 0xfffd
	s_delay_alu instid0(VALU_DEP_1) | instskip(SKIP_2) | instid1(VALU_DEP_2)
	v_cndmask_b32_e32 v4, 0, v4, vcc_lo
	v_cmp_nlt_f32_e32 vcc_lo, 0x42b17218, v3
	s_wait_alu 0xfffd
	v_cndmask_b32_e32 v3, 0x7f800000, v4, vcc_lo
	s_delay_alu instid0(VALU_DEP_1) | instskip(NEXT) | instid1(VALU_DEP_1)
	v_add_f32_e32 v3, 1.0, v3
	v_div_scale_f32 v4, null, v3, v3, v2
	v_div_scale_f32 v7, vcc_lo, v2, v3, v2
	s_delay_alu instid0(VALU_DEP_2) | instskip(NEXT) | instid1(TRANS32_DEP_1)
	v_rcp_f32_e32 v5, v4
	v_fma_f32 v6, -v4, v5, 1.0
	s_delay_alu instid0(VALU_DEP_1) | instskip(NEXT) | instid1(VALU_DEP_1)
	v_fmac_f32_e32 v5, v6, v5
	v_mul_f32_e32 v6, v7, v5
	s_delay_alu instid0(VALU_DEP_1) | instskip(NEXT) | instid1(VALU_DEP_1)
	v_fma_f32 v9, -v4, v6, v7
	v_fmac_f32_e32 v6, v9, v5
	s_delay_alu instid0(VALU_DEP_1) | instskip(SKIP_2) | instid1(VALU_DEP_2)
	v_fma_f32 v4, -v4, v6, v7
	v_max_num_f32_e32 v7, v0, v0
	s_wait_alu 0xfffd
	v_div_fmas_f32 v4, v4, v5, v6
	s_wait_alu 0xfffe
	s_delay_alu instid0(VALU_DEP_2) | instskip(SKIP_1) | instid1(VALU_DEP_2)
	v_minmax_num_f32 v5, v7, 0x40e00000, s3
	s_mov_b32 s3, 0
	v_div_fixup_f32 v2, v4, v3, v2
	s_delay_alu instid0(VALU_DEP_2) | instskip(NEXT) | instid1(VALU_DEP_1)
	v_add_f32_e32 v3, 1.0, v5
	v_mul_f32_e32 v2, v3, v2
	s_branch .LBB13_46
.LBB13_42:
                                        ; implicit-def: $sgpr28
	s_clause 0x1
	s_load_b32 s29, s[0:1], 0x50
	s_load_b32 s30, s[0:1], 0x78
	s_branch .LBB13_2
.LBB13_43:
	s_mov_b32 s3, 0
                                        ; implicit-def: $vgpr2
	s_cbranch_execnz .LBB13_50
	s_branch .LBB13_51
.LBB13_44:
	s_mov_b32 s4, -1
	s_mov_b32 s3, 0
                                        ; implicit-def: $vgpr2
	s_branch .LBB13_47
.LBB13_45:
	s_mov_b32 s3, -1
                                        ; implicit-def: $vgpr2
.LBB13_46:
	s_mov_b32 s4, 0
.LBB13_47:
	s_wait_alu 0xfffe
	s_and_b32 vcc_lo, exec_lo, s4
	s_wait_alu 0xfffe
	s_cbranch_vccz .LBB13_49
; %bb.48:
	v_mul_f32_e32 v2, 0xbfb8aa3b, v1
	v_cmp_nlt_f32_e32 vcc_lo, 0x42ce8ed0, v1
	s_delay_alu instid0(VALU_DEP_2) | instskip(SKIP_1) | instid1(VALU_DEP_2)
	v_rndne_f32_e32 v3, v2
	v_fma_f32 v4, 0xbfb8aa3b, v1, -v2
	v_sub_f32_e32 v2, v2, v3
	s_delay_alu instid0(VALU_DEP_2) | instskip(SKIP_1) | instid1(VALU_DEP_2)
	v_fmamk_f32 v4, v1, 0xb2a5705f, v4
	v_cvt_i32_f32_e32 v3, v3
	v_add_f32_e32 v2, v2, v4
	s_delay_alu instid0(VALU_DEP_1) | instskip(NEXT) | instid1(TRANS32_DEP_1)
	v_exp_f32_e32 v2, v2
	v_ldexp_f32 v2, v2, v3
	s_wait_alu 0xfffd
	s_delay_alu instid0(VALU_DEP_1) | instskip(SKIP_2) | instid1(VALU_DEP_2)
	v_cndmask_b32_e32 v2, 0, v2, vcc_lo
	v_cmp_ngt_f32_e32 vcc_lo, 0xc2b17218, v1
	s_wait_alu 0xfffd
	v_cndmask_b32_e32 v2, 0x7f800000, v2, vcc_lo
	s_delay_alu instid0(VALU_DEP_1) | instskip(NEXT) | instid1(VALU_DEP_1)
	v_add_f32_e32 v2, 1.0, v2
	v_div_scale_f32 v3, null, v2, v2, v1
	s_delay_alu instid0(VALU_DEP_1) | instskip(NEXT) | instid1(TRANS32_DEP_1)
	v_rcp_f32_e32 v4, v3
	v_fma_f32 v5, -v3, v4, 1.0
	s_delay_alu instid0(VALU_DEP_1) | instskip(SKIP_1) | instid1(VALU_DEP_1)
	v_fmac_f32_e32 v4, v5, v4
	v_div_scale_f32 v5, vcc_lo, v1, v2, v1
	v_mul_f32_e32 v6, v5, v4
	s_delay_alu instid0(VALU_DEP_1) | instskip(NEXT) | instid1(VALU_DEP_1)
	v_fma_f32 v7, -v3, v6, v5
	v_fmac_f32_e32 v6, v7, v4
	s_delay_alu instid0(VALU_DEP_1) | instskip(SKIP_1) | instid1(VALU_DEP_1)
	v_fma_f32 v3, -v3, v6, v5
	s_wait_alu 0xfffd
	v_div_fmas_f32 v3, v3, v4, v6
	s_delay_alu instid0(VALU_DEP_1) | instskip(NEXT) | instid1(VALU_DEP_1)
	v_div_fixup_f32 v2, v3, v2, v1
	v_mul_f32_e32 v2, v0, v2
.LBB13_49:
	s_branch .LBB13_51
.LBB13_50:
	s_cmp_lg_u32 s5, 1
	s_mov_b32 s2, -1
	s_cselect_b32 s3, -1, 0
.LBB13_51:
	s_wait_alu 0xfffe
	s_and_not1_b32 vcc_lo, exec_lo, s3
	s_wait_alu 0xfffe
	s_cbranch_vccz .LBB13_53
; %bb.52:
	s_and_not1_b32 vcc_lo, exec_lo, s2
	s_wait_alu 0xfffe
	s_cbranch_vccz .LBB13_54
	s_branch .LBB13_59
.LBB13_53:
	v_mul_f32_e32 v2, v1, v0
	s_cbranch_execnz .LBB13_59
.LBB13_54:
	v_mul_f32_e32 v2, 0x3d372713, v1
	v_mul_f32_e32 v3, 0x3f4c422a, v1
	s_delay_alu instid0(VALU_DEP_2) | instskip(NEXT) | instid1(VALU_DEP_1)
	v_fma_f32 v2, v1, v2, 1.0
	v_mul_f32_e32 v2, v3, v2
                                        ; implicit-def: $vgpr3
	s_delay_alu instid0(VALU_DEP_1)
	v_cmp_ngt_f32_e64 s2, 0x3f200000, |v2|
	s_and_saveexec_b32 s3, s2
	s_wait_alu 0xfffe
	s_xor_b32 s2, exec_lo, s3
	s_cbranch_execz .LBB13_56
; %bb.55:
	v_add_f32_e64 v3, |v2|, |v2|
	s_delay_alu instid0(VALU_DEP_1) | instskip(SKIP_1) | instid1(VALU_DEP_2)
	v_mul_f32_e32 v4, 0x3fb8aa3b, v3
	v_cmp_ngt_f32_e32 vcc_lo, 0xc2ce8ed0, v3
	v_rndne_f32_e32 v5, v4
	v_fma_f32 v6, 0x3fb8aa3b, v3, -v4
	s_delay_alu instid0(VALU_DEP_2) | instskip(NEXT) | instid1(VALU_DEP_2)
	v_sub_f32_e32 v4, v4, v5
	v_fmamk_f32 v6, v3, 0x32a5705f, v6
	v_cvt_i32_f32_e32 v5, v5
	s_delay_alu instid0(VALU_DEP_2) | instskip(NEXT) | instid1(VALU_DEP_1)
	v_add_f32_e32 v4, v4, v6
	v_exp_f32_e32 v4, v4
	s_delay_alu instid0(TRANS32_DEP_1) | instskip(SKIP_1) | instid1(VALU_DEP_1)
	v_ldexp_f32 v4, v4, v5
	s_wait_alu 0xfffd
	v_cndmask_b32_e32 v4, 0, v4, vcc_lo
	v_cmp_nlt_f32_e32 vcc_lo, 0x42b17218, v3
	s_wait_alu 0xfffd
	s_delay_alu instid0(VALU_DEP_2) | instskip(NEXT) | instid1(VALU_DEP_1)
	v_cndmask_b32_e32 v3, 0x7f800000, v4, vcc_lo
	v_add_f32_e32 v3, 1.0, v3
	s_delay_alu instid0(VALU_DEP_1) | instskip(NEXT) | instid1(TRANS32_DEP_1)
	v_rcp_f32_e32 v3, v3
	v_fma_f32 v3, v3, -2.0, 1.0
.LBB13_56:
	s_wait_alu 0xfffe
	s_and_not1_saveexec_b32 s2, s2
	s_cbranch_execz .LBB13_58
; %bb.57:
	v_mul_f32_e32 v3, v2, v2
	s_mov_b32 s3, 0xbbbac73d
	s_wait_alu 0xfffe
	s_delay_alu instid0(VALU_DEP_1) | instskip(NEXT) | instid1(VALU_DEP_1)
	v_fmaak_f32 v4, s3, v3, 0x3ca908c9
	v_fmaak_f32 v4, v3, v4, 0xbd5c1c4e
	s_delay_alu instid0(VALU_DEP_1) | instskip(NEXT) | instid1(VALU_DEP_1)
	v_fmaak_f32 v4, v3, v4, 0x3e088382
	v_fmaak_f32 v4, v3, v4, 0xbeaaaa99
	s_delay_alu instid0(VALU_DEP_1) | instskip(NEXT) | instid1(VALU_DEP_1)
	v_mul_f32_e64 v4, |v2|, v4
	v_fma_f32 v3, v3, v4, |v2|
.LBB13_58:
	s_wait_alu 0xfffe
	s_or_b32 exec_lo, exec_lo, s2
	s_delay_alu instid0(VALU_DEP_1) | instskip(NEXT) | instid1(VALU_DEP_1)
	v_bfi_b32 v2, 0x7fffffff, v3, v2
	v_dual_mul_f32 v1, 0.5, v1 :: v_dual_add_f32 v2, 1.0, v2
	s_delay_alu instid0(VALU_DEP_1) | instskip(NEXT) | instid1(VALU_DEP_1)
	v_mul_f32_e32 v1, v1, v2
	v_mul_f32_e32 v2, v0, v1
.LBB13_59:
	s_delay_alu instid0(VALU_DEP_1)
	v_mov_b32_e32 v0, v2
.LBB13_60:
	s_load_b64 s[0:1], s[0:1], 0x38
	s_mul_i32 s2, s6, s27
	s_wait_kmcnt 0x0
	s_mul_i32 s3, s26, s21
	s_wait_alu 0xfffe
	s_add_co_i32 s2, s2, ttmp9
	s_wait_alu 0xfffe
	s_add_co_i32 s2, s2, s3
	s_mov_b32 s3, 0
	s_wait_alu 0xfffe
	s_lshl_b64 s[2:3], s[2:3], 2
	s_wait_alu 0xfffe
	s_add_nc_u64 s[0:1], s[0:1], s[2:3]
	global_store_b32 v8, v0, s[0:1]
.LBB13_61:
	s_endpgm
	.section	.rodata,"a",@progbits
	.p2align	6, 0x0
	.amdhsa_kernel _ZL13mul_mat_vec_qIL9ggml_type2ELi1ELb1ELb1EEvPKvS2_PKi31ggml_cuda_mm_fusion_args_devicePfj15HIP_vector_typeIjLj3EEjjjS8_jjjS8_jjjj
		.amdhsa_group_segment_fixed_size 1792
		.amdhsa_private_segment_fixed_size 0
		.amdhsa_kernarg_size 144
		.amdhsa_user_sgpr_count 2
		.amdhsa_user_sgpr_dispatch_ptr 0
		.amdhsa_user_sgpr_queue_ptr 0
		.amdhsa_user_sgpr_kernarg_segment_ptr 1
		.amdhsa_user_sgpr_dispatch_id 0
		.amdhsa_user_sgpr_private_segment_size 0
		.amdhsa_wavefront_size32 1
		.amdhsa_uses_dynamic_stack 0
		.amdhsa_enable_private_segment 0
		.amdhsa_system_sgpr_workgroup_id_x 1
		.amdhsa_system_sgpr_workgroup_id_y 1
		.amdhsa_system_sgpr_workgroup_id_z 1
		.amdhsa_system_sgpr_workgroup_info 0
		.amdhsa_system_vgpr_workitem_id 1
		.amdhsa_next_free_vgpr 27
		.amdhsa_next_free_sgpr 38
		.amdhsa_reserve_vcc 1
		.amdhsa_float_round_mode_32 0
		.amdhsa_float_round_mode_16_64 0
		.amdhsa_float_denorm_mode_32 3
		.amdhsa_float_denorm_mode_16_64 3
		.amdhsa_fp16_overflow 0
		.amdhsa_workgroup_processor_mode 1
		.amdhsa_memory_ordered 1
		.amdhsa_forward_progress 1
		.amdhsa_inst_pref_size 24
		.amdhsa_round_robin_scheduling 0
		.amdhsa_exception_fp_ieee_invalid_op 0
		.amdhsa_exception_fp_denorm_src 0
		.amdhsa_exception_fp_ieee_div_zero 0
		.amdhsa_exception_fp_ieee_overflow 0
		.amdhsa_exception_fp_ieee_underflow 0
		.amdhsa_exception_fp_ieee_inexact 0
		.amdhsa_exception_int_div_zero 0
	.end_amdhsa_kernel
	.section	.text._ZL13mul_mat_vec_qIL9ggml_type2ELi1ELb1ELb1EEvPKvS2_PKi31ggml_cuda_mm_fusion_args_devicePfj15HIP_vector_typeIjLj3EEjjjS8_jjjS8_jjjj,"axG",@progbits,_ZL13mul_mat_vec_qIL9ggml_type2ELi1ELb1ELb1EEvPKvS2_PKi31ggml_cuda_mm_fusion_args_devicePfj15HIP_vector_typeIjLj3EEjjjS8_jjjS8_jjjj,comdat
.Lfunc_end13:
	.size	_ZL13mul_mat_vec_qIL9ggml_type2ELi1ELb1ELb1EEvPKvS2_PKi31ggml_cuda_mm_fusion_args_devicePfj15HIP_vector_typeIjLj3EEjjjS8_jjjS8_jjjj, .Lfunc_end13-_ZL13mul_mat_vec_qIL9ggml_type2ELi1ELb1ELb1EEvPKvS2_PKi31ggml_cuda_mm_fusion_args_devicePfj15HIP_vector_typeIjLj3EEjjjS8_jjjS8_jjjj
                                        ; -- End function
	.set _ZL13mul_mat_vec_qIL9ggml_type2ELi1ELb1ELb1EEvPKvS2_PKi31ggml_cuda_mm_fusion_args_devicePfj15HIP_vector_typeIjLj3EEjjjS8_jjjS8_jjjj.num_vgpr, 27
	.set _ZL13mul_mat_vec_qIL9ggml_type2ELi1ELb1ELb1EEvPKvS2_PKi31ggml_cuda_mm_fusion_args_devicePfj15HIP_vector_typeIjLj3EEjjjS8_jjjS8_jjjj.num_agpr, 0
	.set _ZL13mul_mat_vec_qIL9ggml_type2ELi1ELb1ELb1EEvPKvS2_PKi31ggml_cuda_mm_fusion_args_devicePfj15HIP_vector_typeIjLj3EEjjjS8_jjjS8_jjjj.numbered_sgpr, 38
	.set _ZL13mul_mat_vec_qIL9ggml_type2ELi1ELb1ELb1EEvPKvS2_PKi31ggml_cuda_mm_fusion_args_devicePfj15HIP_vector_typeIjLj3EEjjjS8_jjjS8_jjjj.num_named_barrier, 0
	.set _ZL13mul_mat_vec_qIL9ggml_type2ELi1ELb1ELb1EEvPKvS2_PKi31ggml_cuda_mm_fusion_args_devicePfj15HIP_vector_typeIjLj3EEjjjS8_jjjS8_jjjj.private_seg_size, 0
	.set _ZL13mul_mat_vec_qIL9ggml_type2ELi1ELb1ELb1EEvPKvS2_PKi31ggml_cuda_mm_fusion_args_devicePfj15HIP_vector_typeIjLj3EEjjjS8_jjjS8_jjjj.uses_vcc, 1
	.set _ZL13mul_mat_vec_qIL9ggml_type2ELi1ELb1ELb1EEvPKvS2_PKi31ggml_cuda_mm_fusion_args_devicePfj15HIP_vector_typeIjLj3EEjjjS8_jjjS8_jjjj.uses_flat_scratch, 0
	.set _ZL13mul_mat_vec_qIL9ggml_type2ELi1ELb1ELb1EEvPKvS2_PKi31ggml_cuda_mm_fusion_args_devicePfj15HIP_vector_typeIjLj3EEjjjS8_jjjS8_jjjj.has_dyn_sized_stack, 0
	.set _ZL13mul_mat_vec_qIL9ggml_type2ELi1ELb1ELb1EEvPKvS2_PKi31ggml_cuda_mm_fusion_args_devicePfj15HIP_vector_typeIjLj3EEjjjS8_jjjS8_jjjj.has_recursion, 0
	.set _ZL13mul_mat_vec_qIL9ggml_type2ELi1ELb1ELb1EEvPKvS2_PKi31ggml_cuda_mm_fusion_args_devicePfj15HIP_vector_typeIjLj3EEjjjS8_jjjS8_jjjj.has_indirect_call, 0
	.section	.AMDGPU.csdata,"",@progbits
; Kernel info:
; codeLenInByte = 2992
; TotalNumSgprs: 40
; NumVgprs: 27
; ScratchSize: 0
; MemoryBound: 0
; FloatMode: 240
; IeeeMode: 1
; LDSByteSize: 1792 bytes/workgroup (compile time only)
; SGPRBlocks: 0
; VGPRBlocks: 3
; NumSGPRsForWavesPerEU: 40
; NumVGPRsForWavesPerEU: 27
; Occupancy: 16
; WaveLimiterHint : 0
; COMPUTE_PGM_RSRC2:SCRATCH_EN: 0
; COMPUTE_PGM_RSRC2:USER_SGPR: 2
; COMPUTE_PGM_RSRC2:TRAP_HANDLER: 0
; COMPUTE_PGM_RSRC2:TGID_X_EN: 1
; COMPUTE_PGM_RSRC2:TGID_Y_EN: 1
; COMPUTE_PGM_RSRC2:TGID_Z_EN: 1
; COMPUTE_PGM_RSRC2:TIDIG_COMP_CNT: 1
	.section	.text._ZL13mul_mat_vec_qIL9ggml_type2ELi1ELb0ELb1EEvPKvS2_PKi31ggml_cuda_mm_fusion_args_devicePfj15HIP_vector_typeIjLj3EEjjjS8_jjjS8_jjjj,"axG",@progbits,_ZL13mul_mat_vec_qIL9ggml_type2ELi1ELb0ELb1EEvPKvS2_PKi31ggml_cuda_mm_fusion_args_devicePfj15HIP_vector_typeIjLj3EEjjjS8_jjjS8_jjjj,comdat
	.globl	_ZL13mul_mat_vec_qIL9ggml_type2ELi1ELb0ELb1EEvPKvS2_PKi31ggml_cuda_mm_fusion_args_devicePfj15HIP_vector_typeIjLj3EEjjjS8_jjjS8_jjjj ; -- Begin function _ZL13mul_mat_vec_qIL9ggml_type2ELi1ELb0ELb1EEvPKvS2_PKi31ggml_cuda_mm_fusion_args_devicePfj15HIP_vector_typeIjLj3EEjjjS8_jjjS8_jjjj
	.p2align	8
	.type	_ZL13mul_mat_vec_qIL9ggml_type2ELi1ELb0ELb1EEvPKvS2_PKi31ggml_cuda_mm_fusion_args_devicePfj15HIP_vector_typeIjLj3EEjjjS8_jjjS8_jjjj,@function
_ZL13mul_mat_vec_qIL9ggml_type2ELi1ELb0ELb1EEvPKvS2_PKi31ggml_cuda_mm_fusion_args_devicePfj15HIP_vector_typeIjLj3EEjjjS8_jjjS8_jjjj: ; @_ZL13mul_mat_vec_qIL9ggml_type2ELi1ELb0ELb1EEvPKvS2_PKi31ggml_cuda_mm_fusion_args_devicePfj15HIP_vector_typeIjLj3EEjjjS8_jjjS8_jjjj
; %bb.0:
	s_clause 0x1
	s_load_b64 s[2:3], s[0:1], 0x10
	s_load_b128 s[8:11], s[0:1], 0x40
	s_and_b32 s15, ttmp7, 0xffff
	s_wait_kmcnt 0x0
	s_cmp_lg_u64 s[2:3], 0
	s_cselect_b32 s12, -1, 0
	s_cmp_eq_u64 s[2:3], 0
	s_cbranch_scc1 .LBB14_15
; %bb.1:
	s_lshl_b32 s4, s15, 2
	s_load_b32 s19, s[2:3], s4 offset:0x0
	s_clause 0x1
	s_load_b128 s[4:7], s[0:1], 0x68
	s_load_b32 s20, s[0:1], 0x50
	s_cbranch_execnz .LBB14_3
.LBB14_2:
	s_load_b64 s[2:3], s[0:1], 0x5c
	s_wait_kmcnt 0x0
	s_mul_hi_u32 s2, s2, s15
	s_delay_alu instid0(SALU_CYCLE_1) | instskip(NEXT) | instid1(SALU_CYCLE_1)
	s_add_co_i32 s2, s15, s2
	s_lshr_b32 s19, s2, s3
.LBB14_3:
	s_load_b32 s21, s[0:1], 0x78
	s_and_not1_b32 vcc_lo, exec_lo, s12
	s_mov_b32 s22, s15
	s_cbranch_vccnz .LBB14_5
; %bb.4:
	s_mul_hi_u32 s2, s9, s15
	s_delay_alu instid0(SALU_CYCLE_1) | instskip(NEXT) | instid1(SALU_CYCLE_1)
	s_add_co_i32 s2, s15, s2
	s_lshr_b32 s2, s2, s10
	s_delay_alu instid0(SALU_CYCLE_1) | instskip(NEXT) | instid1(SALU_CYCLE_1)
	s_mul_i32 s2, s2, s11
	s_sub_co_i32 s22, s15, s2
.LBB14_5:
	v_bfe_u32 v4, v0, 10, 10
	v_dual_mov_b32 v5, 0 :: v_dual_and_b32 v2, 0x3ff, v0
	s_load_b96 s[12:14], s[0:1], 0x80
	s_lshr_b32 s17, s8, 5
	s_delay_alu instid0(VALU_DEP_2) | instskip(NEXT) | instid1(VALU_DEP_2)
	v_lshlrev_b32_e32 v0, 5, v4
	v_lshlrev_b32_e32 v3, 2, v2
	s_lshr_b32 s16, ttmp7, 16
	s_mov_b32 s18, exec_lo
	s_delay_alu instid0(VALU_DEP_2) | instskip(NEXT) | instid1(VALU_DEP_1)
	v_add_nc_u16 v1, v0, v2
	v_lshrrev_b16 v1, 1, v1
	s_delay_alu instid0(VALU_DEP_1) | instskip(NEXT) | instid1(VALU_DEP_1)
	v_and_b32_e32 v6, 0xffff, v1
	v_cmpx_gt_u32_e64 s17, v6
	s_cbranch_execz .LBB14_9
; %bb.6:
	s_load_b128 s[8:11], s[0:1], 0x0
	v_dual_mov_b32 v5, 0 :: v_dual_add_nc_u32 v0, v0, v2
	s_wait_kmcnt 0x0
	s_mul_i32 s22, s22, s5
	s_mul_hi_u32 s5, s7, s16
	s_mul_i32 s2, s13, s16
	s_mov_b32 s3, 0
	s_add_co_i32 s5, s16, s5
	s_mov_b32 s23, s3
	s_mul_i32 s7, s19, s4
	s_lshr_b32 s13, s5, s21
	s_mul_u64 s[4:5], s[2:3], 36
	v_lshrrev_b32_e32 v0, 1, v0
	s_mul_i32 s2, s13, s12
	s_mul_u64 s[12:13], s[22:23], 36
	v_and_b32_e32 v8, 4, v3
	v_and_b32_e32 v7, 1, v2
	s_mul_i32 s20, s20, ttmp9
	s_delay_alu instid0(SALU_CYCLE_1) | instskip(SKIP_1) | instid1(VALU_DEP_1)
	s_add_co_i32 s2, s2, s20
	s_add_nc_u64 s[4:5], s[10:11], s[4:5]
	v_lshlrev_b32_e32 v7, 3, v7
	s_add_nc_u64 s[4:5], s[4:5], s[12:13]
	v_lshlrev_b32_e32 v8, 1, v8
	v_mad_co_u64_u32 v[0:1], null, v0, 36, s[4:5]
	s_add_co_i32 s4, s7, s2
.LBB14_7:                               ; =>This Inner Loop Header: Depth=1
	s_wait_alu 0xfffe
	v_add_nc_u32_e32 v9, s4, v6
	v_add_co_u32 v11, vcc_lo, v0, v7
	s_wait_alu 0xfffd
	v_add_co_ci_u32_e64 v12, null, 0, v1, vcc_lo
	s_delay_alu instid0(VALU_DEP_3) | instskip(SKIP_1) | instid1(VALU_DEP_1)
	v_mad_co_i64_i32 v[9:10], null, v9, 18, s[8:9]
	v_add_nc_u32_e32 v6, 0x80, v6
	v_cmp_le_u32_e32 vcc_lo, s17, v6
	s_delay_alu instid0(VALU_DEP_3) | instskip(SKIP_1) | instid1(VALU_DEP_4)
	v_add_co_u32 v13, s2, v9, v8
	s_wait_alu 0xf1ff
	v_add_co_ci_u32_e64 v14, null, 0, v10, s2
	s_or_b32 s3, vcc_lo, s3
	global_load_b64 v[13:14], v[13:14], off offset:2
	s_clause 0x2
	global_load_b64 v[15:16], v[11:12], off offset:4
	global_load_b64 v[11:12], v[11:12], off offset:20
	global_load_b32 v17, v[0:1], off
	global_load_u16 v9, v[9:10], off
	v_add_co_u32 v0, s2, 0x1200, v0
	s_wait_alu 0xf1ff
	v_add_co_ci_u32_e64 v1, null, 0, v1, s2
	s_wait_loadcnt 0x4
	v_lshrrev_b32_e32 v10, 4, v13
	v_and_b32_e32 v13, 0xf0f0f0f, v13
	s_delay_alu instid0(VALU_DEP_2) | instskip(SKIP_1) | instid1(VALU_DEP_2)
	v_and_b32_e32 v10, 0xf0f0f0f, v10
	s_wait_loadcnt 0x3
	v_dot4_i32_iu8 v13, v13, v15, 0 neg_lo:[1,1,0]
	v_and_b32_e32 v15, 0xf0f0f0f, v14
	v_lshrrev_b32_e32 v14, 4, v14
	s_wait_loadcnt 0x2
	s_delay_alu instid0(VALU_DEP_3) | instskip(SKIP_3) | instid1(VALU_DEP_3)
	v_dot4_i32_iu8 v10, v10, v11, v13 neg_lo:[1,1,0]
	s_wait_loadcnt 0x1
	v_lshrrev_b32_e32 v11, 16, v17
	v_and_b32_e32 v13, 0xf0f0f0f, v14
	v_dot4_i32_iu8 v10, v15, v16, v10 neg_lo:[1,1,0]
	s_delay_alu instid0(VALU_DEP_3) | instskip(NEXT) | instid1(VALU_DEP_2)
	v_cvt_f32_f16_e32 v11, v11
	v_dot4_i32_iu8 v10, v13, v12, v10 neg_lo:[1,1,0]
	s_delay_alu instid0(VALU_DEP_2) | instskip(NEXT) | instid1(VALU_DEP_2)
	v_mul_f32_e32 v11, -4.0, v11
	v_cvt_f32_i32_e32 v10, v10
	s_delay_alu instid0(VALU_DEP_1) | instskip(SKIP_1) | instid1(VALU_DEP_1)
	v_fma_mix_f32 v10, v10, v17, v11 op_sel_hi:[0,1,0]
	s_wait_loadcnt 0x0
	v_fma_mix_f32 v5, v10, v9, v5 op_sel_hi:[0,1,0]
	s_wait_alu 0xfffe
	s_and_not1_b32 exec_lo, exec_lo, s3
	s_cbranch_execnz .LBB14_7
; %bb.8:
	s_or_b32 exec_lo, exec_lo, s3
.LBB14_9:
	s_delay_alu instid0(SALU_CYCLE_1) | instskip(NEXT) | instid1(SALU_CYCLE_1)
	s_or_b32 exec_lo, exec_lo, s18
	s_mov_b32 s3, exec_lo
	v_cmp_eq_u32_e32 vcc_lo, 0, v4
	v_cmpx_ne_u32_e32 0, v4
; %bb.10:
	v_lshlrev_b32_e32 v0, 7, v4
	s_delay_alu instid0(VALU_DEP_1)
	v_add3_u32 v0, v0, v3, 0xffffff80
	ds_store_b32 v0, v5
; %bb.11:
	s_wait_alu 0xfffe
	s_or_b32 exec_lo, exec_lo, s3
	s_wait_dscnt 0x0
	s_barrier_signal -1
	s_barrier_wait -1
	global_inv scope:SCOPE_SE
	s_and_saveexec_b32 s2, vcc_lo
	s_cbranch_execz .LBB14_14
; %bb.12:
	ds_load_2addr_b32 v[0:1], v3 offset1:32
	ds_load_2addr_b32 v[6:7], v3 offset0:64 offset1:96
	ds_load_2addr_b32 v[8:9], v3 offset0:128 offset1:160
	s_mov_b32 s3, 0
	s_wait_dscnt 0x2
	v_add_f32_e32 v0, v5, v0
	s_delay_alu instid0(VALU_DEP_1) | instskip(SKIP_4) | instid1(VALU_DEP_2)
	v_add_f32_e32 v0, v0, v1
	ds_load_b32 v1, v3 offset:768
	v_mbcnt_lo_u32_b32 v3, -1, 0
	s_wait_dscnt 0x2
	v_add_f32_e32 v0, v0, v6
	v_xor_b32_e32 v4, 16, v3
	s_delay_alu instid0(VALU_DEP_2) | instskip(NEXT) | instid1(VALU_DEP_2)
	v_add_f32_e32 v0, v0, v7
	v_cmp_gt_i32_e32 vcc_lo, 32, v4
	s_wait_dscnt 0x1
	s_delay_alu instid0(VALU_DEP_2) | instskip(SKIP_2) | instid1(VALU_DEP_2)
	v_add_f32_e32 v0, v0, v8
	s_wait_alu 0xfffd
	v_cndmask_b32_e32 v4, v3, v4, vcc_lo
	v_add_f32_e32 v0, v0, v9
	s_wait_dscnt 0x0
	s_delay_alu instid0(VALU_DEP_1)
	v_dual_add_f32 v0, v0, v1 :: v_dual_lshlrev_b32 v1, 2, v4
	v_xor_b32_e32 v4, 8, v3
	ds_bpermute_b32 v1, v1, v0
	v_cmp_gt_i32_e32 vcc_lo, 32, v4
	s_wait_alu 0xfffd
	v_cndmask_b32_e32 v4, v3, v4, vcc_lo
	s_delay_alu instid0(VALU_DEP_1) | instskip(SKIP_4) | instid1(VALU_DEP_1)
	v_lshlrev_b32_e32 v4, 2, v4
	s_wait_dscnt 0x0
	v_add_f32_e32 v0, v0, v1
	ds_bpermute_b32 v1, v4, v0
	v_xor_b32_e32 v4, 4, v3
	v_cmp_gt_i32_e32 vcc_lo, 32, v4
	s_wait_alu 0xfffd
	v_cndmask_b32_e32 v4, v3, v4, vcc_lo
	s_delay_alu instid0(VALU_DEP_1) | instskip(SKIP_4) | instid1(VALU_DEP_1)
	v_lshlrev_b32_e32 v4, 2, v4
	s_wait_dscnt 0x0
	v_add_f32_e32 v0, v0, v1
	ds_bpermute_b32 v1, v4, v0
	v_xor_b32_e32 v4, 2, v3
	;; [unrolled: 9-line block ×3, first 2 shown]
	v_cmp_gt_i32_e32 vcc_lo, 32, v4
	s_wait_alu 0xfffd
	v_cndmask_b32_e32 v3, v3, v4, vcc_lo
	v_cmp_eq_u32_e32 vcc_lo, 0, v2
	s_wait_dscnt 0x0
	s_delay_alu instid0(VALU_DEP_2)
	v_dual_add_f32 v0, v0, v1 :: v_dual_lshlrev_b32 v3, 2, v3
	ds_bpermute_b32 v1, v3, v0
	s_and_b32 exec_lo, exec_lo, vcc_lo
	s_cbranch_execz .LBB14_14
; %bb.13:
	s_load_b64 s[0:1], s[0:1], 0x38
	s_wait_kmcnt 0x0
	s_mul_i32 s2, s6, s15
	s_mul_i32 s4, s14, s16
	s_wait_alu 0xfffe
	s_add_co_i32 s2, s2, ttmp9
	v_mov_b32_e32 v2, 0
	s_wait_alu 0xfffe
	s_add_co_i32 s2, s2, s4
	s_wait_dscnt 0x0
	v_add_f32_e32 v0, v0, v1
	s_wait_alu 0xfffe
	s_lshl_b64 s[2:3], s[2:3], 2
	s_wait_alu 0xfffe
	s_add_nc_u64 s[0:1], s[0:1], s[2:3]
	global_store_b32 v2, v0, s[0:1]
.LBB14_14:
	s_endpgm
.LBB14_15:
                                        ; implicit-def: $sgpr19
	s_clause 0x1
	s_load_b128 s[4:7], s[0:1], 0x68
	s_load_b32 s20, s[0:1], 0x50
	s_branch .LBB14_2
	.section	.rodata,"a",@progbits
	.p2align	6, 0x0
	.amdhsa_kernel _ZL13mul_mat_vec_qIL9ggml_type2ELi1ELb0ELb1EEvPKvS2_PKi31ggml_cuda_mm_fusion_args_devicePfj15HIP_vector_typeIjLj3EEjjjS8_jjjS8_jjjj
		.amdhsa_group_segment_fixed_size 896
		.amdhsa_private_segment_fixed_size 0
		.amdhsa_kernarg_size 144
		.amdhsa_user_sgpr_count 2
		.amdhsa_user_sgpr_dispatch_ptr 0
		.amdhsa_user_sgpr_queue_ptr 0
		.amdhsa_user_sgpr_kernarg_segment_ptr 1
		.amdhsa_user_sgpr_dispatch_id 0
		.amdhsa_user_sgpr_private_segment_size 0
		.amdhsa_wavefront_size32 1
		.amdhsa_uses_dynamic_stack 0
		.amdhsa_enable_private_segment 0
		.amdhsa_system_sgpr_workgroup_id_x 1
		.amdhsa_system_sgpr_workgroup_id_y 1
		.amdhsa_system_sgpr_workgroup_id_z 1
		.amdhsa_system_sgpr_workgroup_info 0
		.amdhsa_system_vgpr_workitem_id 1
		.amdhsa_next_free_vgpr 18
		.amdhsa_next_free_sgpr 24
		.amdhsa_reserve_vcc 1
		.amdhsa_float_round_mode_32 0
		.amdhsa_float_round_mode_16_64 0
		.amdhsa_float_denorm_mode_32 3
		.amdhsa_float_denorm_mode_16_64 3
		.amdhsa_fp16_overflow 0
		.amdhsa_workgroup_processor_mode 1
		.amdhsa_memory_ordered 1
		.amdhsa_forward_progress 1
		.amdhsa_inst_pref_size 10
		.amdhsa_round_robin_scheduling 0
		.amdhsa_exception_fp_ieee_invalid_op 0
		.amdhsa_exception_fp_denorm_src 0
		.amdhsa_exception_fp_ieee_div_zero 0
		.amdhsa_exception_fp_ieee_overflow 0
		.amdhsa_exception_fp_ieee_underflow 0
		.amdhsa_exception_fp_ieee_inexact 0
		.amdhsa_exception_int_div_zero 0
	.end_amdhsa_kernel
	.section	.text._ZL13mul_mat_vec_qIL9ggml_type2ELi1ELb0ELb1EEvPKvS2_PKi31ggml_cuda_mm_fusion_args_devicePfj15HIP_vector_typeIjLj3EEjjjS8_jjjS8_jjjj,"axG",@progbits,_ZL13mul_mat_vec_qIL9ggml_type2ELi1ELb0ELb1EEvPKvS2_PKi31ggml_cuda_mm_fusion_args_devicePfj15HIP_vector_typeIjLj3EEjjjS8_jjjS8_jjjj,comdat
.Lfunc_end14:
	.size	_ZL13mul_mat_vec_qIL9ggml_type2ELi1ELb0ELb1EEvPKvS2_PKi31ggml_cuda_mm_fusion_args_devicePfj15HIP_vector_typeIjLj3EEjjjS8_jjjS8_jjjj, .Lfunc_end14-_ZL13mul_mat_vec_qIL9ggml_type2ELi1ELb0ELb1EEvPKvS2_PKi31ggml_cuda_mm_fusion_args_devicePfj15HIP_vector_typeIjLj3EEjjjS8_jjjS8_jjjj
                                        ; -- End function
	.set _ZL13mul_mat_vec_qIL9ggml_type2ELi1ELb0ELb1EEvPKvS2_PKi31ggml_cuda_mm_fusion_args_devicePfj15HIP_vector_typeIjLj3EEjjjS8_jjjS8_jjjj.num_vgpr, 18
	.set _ZL13mul_mat_vec_qIL9ggml_type2ELi1ELb0ELb1EEvPKvS2_PKi31ggml_cuda_mm_fusion_args_devicePfj15HIP_vector_typeIjLj3EEjjjS8_jjjS8_jjjj.num_agpr, 0
	.set _ZL13mul_mat_vec_qIL9ggml_type2ELi1ELb0ELb1EEvPKvS2_PKi31ggml_cuda_mm_fusion_args_devicePfj15HIP_vector_typeIjLj3EEjjjS8_jjjS8_jjjj.numbered_sgpr, 24
	.set _ZL13mul_mat_vec_qIL9ggml_type2ELi1ELb0ELb1EEvPKvS2_PKi31ggml_cuda_mm_fusion_args_devicePfj15HIP_vector_typeIjLj3EEjjjS8_jjjS8_jjjj.num_named_barrier, 0
	.set _ZL13mul_mat_vec_qIL9ggml_type2ELi1ELb0ELb1EEvPKvS2_PKi31ggml_cuda_mm_fusion_args_devicePfj15HIP_vector_typeIjLj3EEjjjS8_jjjS8_jjjj.private_seg_size, 0
	.set _ZL13mul_mat_vec_qIL9ggml_type2ELi1ELb0ELb1EEvPKvS2_PKi31ggml_cuda_mm_fusion_args_devicePfj15HIP_vector_typeIjLj3EEjjjS8_jjjS8_jjjj.uses_vcc, 1
	.set _ZL13mul_mat_vec_qIL9ggml_type2ELi1ELb0ELb1EEvPKvS2_PKi31ggml_cuda_mm_fusion_args_devicePfj15HIP_vector_typeIjLj3EEjjjS8_jjjS8_jjjj.uses_flat_scratch, 0
	.set _ZL13mul_mat_vec_qIL9ggml_type2ELi1ELb0ELb1EEvPKvS2_PKi31ggml_cuda_mm_fusion_args_devicePfj15HIP_vector_typeIjLj3EEjjjS8_jjjS8_jjjj.has_dyn_sized_stack, 0
	.set _ZL13mul_mat_vec_qIL9ggml_type2ELi1ELb0ELb1EEvPKvS2_PKi31ggml_cuda_mm_fusion_args_devicePfj15HIP_vector_typeIjLj3EEjjjS8_jjjS8_jjjj.has_recursion, 0
	.set _ZL13mul_mat_vec_qIL9ggml_type2ELi1ELb0ELb1EEvPKvS2_PKi31ggml_cuda_mm_fusion_args_devicePfj15HIP_vector_typeIjLj3EEjjjS8_jjjS8_jjjj.has_indirect_call, 0
	.section	.AMDGPU.csdata,"",@progbits
; Kernel info:
; codeLenInByte = 1196
; TotalNumSgprs: 26
; NumVgprs: 18
; ScratchSize: 0
; MemoryBound: 0
; FloatMode: 240
; IeeeMode: 1
; LDSByteSize: 896 bytes/workgroup (compile time only)
; SGPRBlocks: 0
; VGPRBlocks: 2
; NumSGPRsForWavesPerEU: 26
; NumVGPRsForWavesPerEU: 18
; Occupancy: 16
; WaveLimiterHint : 0
; COMPUTE_PGM_RSRC2:SCRATCH_EN: 0
; COMPUTE_PGM_RSRC2:USER_SGPR: 2
; COMPUTE_PGM_RSRC2:TRAP_HANDLER: 0
; COMPUTE_PGM_RSRC2:TGID_X_EN: 1
; COMPUTE_PGM_RSRC2:TGID_Y_EN: 1
; COMPUTE_PGM_RSRC2:TGID_Z_EN: 1
; COMPUTE_PGM_RSRC2:TIDIG_COMP_CNT: 1
	.section	.text._ZL13mul_mat_vec_qIL9ggml_type2ELi1ELb1ELb0EEvPKvS2_PKi31ggml_cuda_mm_fusion_args_devicePfj15HIP_vector_typeIjLj3EEjjjS8_jjjS8_jjjj,"axG",@progbits,_ZL13mul_mat_vec_qIL9ggml_type2ELi1ELb1ELb0EEvPKvS2_PKi31ggml_cuda_mm_fusion_args_devicePfj15HIP_vector_typeIjLj3EEjjjS8_jjjS8_jjjj,comdat
	.globl	_ZL13mul_mat_vec_qIL9ggml_type2ELi1ELb1ELb0EEvPKvS2_PKi31ggml_cuda_mm_fusion_args_devicePfj15HIP_vector_typeIjLj3EEjjjS8_jjjS8_jjjj ; -- Begin function _ZL13mul_mat_vec_qIL9ggml_type2ELi1ELb1ELb0EEvPKvS2_PKi31ggml_cuda_mm_fusion_args_devicePfj15HIP_vector_typeIjLj3EEjjjS8_jjjS8_jjjj
	.p2align	8
	.type	_ZL13mul_mat_vec_qIL9ggml_type2ELi1ELb1ELb0EEvPKvS2_PKi31ggml_cuda_mm_fusion_args_devicePfj15HIP_vector_typeIjLj3EEjjjS8_jjjS8_jjjj,@function
_ZL13mul_mat_vec_qIL9ggml_type2ELi1ELb1ELb0EEvPKvS2_PKi31ggml_cuda_mm_fusion_args_devicePfj15HIP_vector_typeIjLj3EEjjjS8_jjjS8_jjjj: ; @_ZL13mul_mat_vec_qIL9ggml_type2ELi1ELb1ELb0EEvPKvS2_PKi31ggml_cuda_mm_fusion_args_devicePfj15HIP_vector_typeIjLj3EEjjjS8_jjjS8_jjjj
; %bb.0:
	s_clause 0x3
	s_load_b256 s[8:15], s[0:1], 0x0
	s_load_b128 s[16:19], s[0:1], 0x20
	s_load_b128 s[20:23], s[0:1], 0x40
	;; [unrolled: 1-line block ×3, first 2 shown]
	s_and_b32 s27, ttmp7, 0xffff
	s_wait_kmcnt 0x0
	s_cmp_lg_u64 s[12:13], 0
	s_cselect_b32 s2, -1, 0
	s_cmp_eq_u64 s[12:13], 0
	s_cbranch_scc1 .LBB15_42
; %bb.1:
	s_lshl_b32 s3, s27, 2
	s_load_b32 s28, s[12:13], s3 offset:0x0
	s_clause 0x1
	s_load_b32 s29, s[0:1], 0x50
	s_load_b32 s30, s[0:1], 0x78
	s_cbranch_execnz .LBB15_3
.LBB15_2:
	s_load_b64 s[12:13], s[0:1], 0x5c
	s_wait_kmcnt 0x0
	s_mul_hi_u32 s3, s12, s27
	s_delay_alu instid0(SALU_CYCLE_1) | instskip(NEXT) | instid1(SALU_CYCLE_1)
	s_add_co_i32 s3, s27, s3
	s_lshr_b32 s28, s3, s13
.LBB15_3:
	s_and_not1_b32 vcc_lo, exec_lo, s2
	s_mov_b32 s3, s27
	s_mov_b32 s31, s27
	s_cbranch_vccnz .LBB15_5
; %bb.4:
	s_mul_hi_u32 s2, s21, s27
	s_wait_kmcnt 0x0
	s_mov_b32 s3, s28
	s_add_co_i32 s2, s27, s2
	s_delay_alu instid0(SALU_CYCLE_1) | instskip(NEXT) | instid1(SALU_CYCLE_1)
	s_lshr_b32 s2, s2, s22
	s_mul_i32 s2, s2, s23
	s_delay_alu instid0(SALU_CYCLE_1)
	s_sub_co_i32 s31, s27, s2
.LBB15_5:
	s_load_b96 s[24:26], s[0:1], 0x80
	v_bfe_u32 v14, v0, 10, 10
	v_dual_mov_b32 v10, 0 :: v_dual_and_b32 v9, 0x3ff, v0
	s_lshr_b32 s21, ttmp7, 16
	s_cmp_lg_u64 s[14:15], 0
	s_delay_alu instid0(VALU_DEP_1) | instskip(SKIP_4) | instid1(VALU_DEP_1)
	v_dual_mov_b32 v11, 0 :: v_dual_lshlrev_b32 v8, 2, v9
	v_or_b32_e32 v0, v9, v14
	s_cselect_b32 s2, -1, 0
	s_mov_b32 s23, 0
	s_mul_i32 s12, s3, s6
	v_cmp_eq_u32_e32 vcc_lo, 0, v0
	s_and_b32 s13, s2, vcc_lo
	s_delay_alu instid0(SALU_CYCLE_1)
	s_and_saveexec_b32 s3, s13
	s_cbranch_execz .LBB15_7
; %bb.6:
	s_wait_kmcnt 0x0
	s_mul_i32 s22, s26, s21
	s_mov_b32 s13, s23
	s_lshl_b64 s[36:37], s[22:23], 2
	s_mov_b32 s34, ttmp9
	s_add_nc_u64 s[14:15], s[14:15], s[36:37]
	s_lshl_b64 s[22:23], s[12:13], 2
	s_ashr_i32 s35, ttmp9, 31
	s_add_nc_u64 s[14:15], s[14:15], s[22:23]
	s_lshl_b64 s[22:23], s[34:35], 2
	s_delay_alu instid0(SALU_CYCLE_1)
	s_add_nc_u64 s[14:15], s[14:15], s[22:23]
	global_load_b32 v11, v8, s[14:15]
.LBB15_7:
	s_or_b32 exec_lo, exec_lo, s3
	s_cmp_lg_u64 s[16:17], 0
	s_cselect_b32 s14, -1, 0
	s_cmp_lg_u64 s[18:19], 0
	s_cselect_b32 s3, -1, 0
	s_delay_alu instid0(SALU_CYCLE_1) | instskip(NEXT) | instid1(SALU_CYCLE_1)
	s_and_b32 s13, s3, s14
	s_and_b32 s13, s13, vcc_lo
	s_delay_alu instid0(SALU_CYCLE_1)
	s_and_saveexec_b32 s15, s13
	s_cbranch_execz .LBB15_9
; %bb.8:
	s_wait_kmcnt 0x0
	s_mul_i32 s34, s26, s21
	s_mov_b32 s35, 0
	s_mov_b32 s22, ttmp9
	s_lshl_b64 s[36:37], s[34:35], 2
	s_mov_b32 s13, s35
	s_add_nc_u64 s[18:19], s[18:19], s[36:37]
	s_lshl_b64 s[12:13], s[12:13], 2
	s_ashr_i32 s23, ttmp9, 31
	s_add_nc_u64 s[12:13], s[18:19], s[12:13]
	s_lshl_b64 s[18:19], s[22:23], 2
	s_delay_alu instid0(SALU_CYCLE_1)
	s_add_nc_u64 s[12:13], s[12:13], s[18:19]
	global_load_b32 v10, v8, s[12:13]
.LBB15_9:
	s_or_b32 exec_lo, exec_lo, s15
	v_dual_mov_b32 v15, 0 :: v_dual_lshlrev_b32 v0, 5, v14
	v_cndmask_b32_e64 v12, 0, 1, s14
	s_lshr_b32 s15, s20, 5
	s_mov_b32 s18, exec_lo
	s_delay_alu instid0(VALU_DEP_2) | instskip(SKIP_1) | instid1(VALU_DEP_2)
	v_add_nc_u16 v1, v0, v9
	v_mov_b32_e32 v13, 0
	v_lshrrev_b16 v1, 1, v1
	s_delay_alu instid0(VALU_DEP_1) | instskip(SKIP_1) | instid1(VALU_DEP_1)
	v_and_b32_e32 v16, 0xffff, v1
	s_wait_alu 0xfffe
	v_cmpx_gt_u32_e64 s15, v16
	s_cbranch_execz .LBB15_15
; %bb.10:
	s_mul_hi_u32 s7, s7, s21
	v_dual_mov_b32 v15, 0 :: v_dual_add_nc_u32 v0, v0, v9
	s_mul_i32 s22, s31, s5
	s_add_co_i32 s5, s21, s7
	s_wait_kmcnt 0x0
	s_mul_i32 s12, s25, s21
	s_mov_b32 s13, 0
	s_lshr_b32 s5, s5, s30
	s_mov_b32 s23, s13
	s_mul_i32 s7, s28, s4
	s_mul_i32 s19, s5, s24
	s_mul_u64 s[4:5], s[12:13], 36
	v_lshrrev_b32_e32 v0, 1, v0
	s_mul_u64 s[22:23], s[22:23], 36
	s_add_nc_u64 s[4:5], s[10:11], s[4:5]
	v_dual_mov_b32 v13, 0 :: v_dual_and_b32 v2, 4, v8
	v_and_b32_e32 v3, 1, v9
	s_add_nc_u64 s[4:5], s[4:5], s[22:23]
	s_mul_i32 s29, s29, ttmp9
	v_mad_co_u64_u32 v[0:1], null, v0, 36, s[4:5]
	s_delay_alu instid0(VALU_DEP_2) | instskip(SKIP_2) | instid1(SALU_CYCLE_1)
	v_lshlrev_b32_e32 v17, 3, v3
	v_lshlrev_b32_e32 v18, 1, v2
	s_add_co_i32 s19, s19, s29
	s_add_co_i32 s5, s7, s19
	s_branch .LBB15_12
.LBB15_11:                              ;   in Loop: Header=BB15_12 Depth=1
	s_wait_loadcnt 0x1
	v_lshrrev_b32_e32 v22, 4, v6
	v_and_b32_e32 v6, 0xf0f0f0f, v6
	v_add_nc_u32_e32 v16, 0x80, v16
	v_add_co_u32 v0, s4, 0x1200, v0
	s_delay_alu instid0(VALU_DEP_4) | instskip(NEXT) | instid1(VALU_DEP_4)
	v_and_b32_e32 v22, 0xf0f0f0f, v22
	v_dot4_i32_iu8 v2, v6, v2, 0 neg_lo:[1,1,0]
	v_and_b32_e32 v6, 0xf0f0f0f, v7
	v_lshrrev_b32_e32 v7, 4, v7
	v_cmp_le_u32_e32 vcc_lo, s15, v16
	s_wait_alu 0xf1ff
	v_add_co_ci_u32_e64 v1, null, 0, v1, s4
	v_dot4_i32_iu8 v2, v22, v4, v2 neg_lo:[1,1,0]
	v_and_b32_e32 v4, 0xf0f0f0f, v7
	s_or_b32 s13, vcc_lo, s13
	s_delay_alu instid0(VALU_DEP_2) | instskip(NEXT) | instid1(VALU_DEP_1)
	v_dot4_i32_iu8 v2, v6, v3, v2 neg_lo:[1,1,0]
	v_dot4_i32_iu8 v2, v4, v5, v2 neg_lo:[1,1,0]
	s_delay_alu instid0(VALU_DEP_1) | instskip(NEXT) | instid1(VALU_DEP_1)
	v_cvt_f32_i32_e32 v2, v2
	v_fma_f32 v2, v2, v20, -v21
	s_wait_loadcnt 0x0
	s_delay_alu instid0(VALU_DEP_1)
	v_fma_mix_f32 v15, v2, v19, v15 op_sel_hi:[0,1,0]
	s_and_not1_b32 exec_lo, exec_lo, s13
	s_cbranch_execz .LBB15_14
.LBB15_12:                              ; =>This Inner Loop Header: Depth=1
	s_wait_alu 0xfffe
	v_add_nc_u32_e32 v22, s5, v16
	global_load_b32 v21, v[0:1], off
	v_add_co_u32 v4, vcc_lo, v0, v17
	s_wait_alu 0xfffd
	v_add_co_ci_u32_e64 v5, null, 0, v1, vcc_lo
	v_mad_co_i64_i32 v[19:20], null, v22, 18, s[8:9]
	s_delay_alu instid0(VALU_DEP_1) | instskip(SKIP_1) | instid1(VALU_DEP_2)
	v_add_co_u32 v6, vcc_lo, v19, v18
	s_wait_alu 0xfffd
	v_add_co_ci_u32_e64 v7, null, 0, v20, vcc_lo
	s_clause 0x1
	global_load_b64 v[2:3], v[4:5], off offset:4
	global_load_b64 v[4:5], v[4:5], off offset:20
	s_clause 0x1
	global_load_b64 v[6:7], v[6:7], off offset:2
	global_load_u16 v19, v[19:20], off
	s_and_not1_b32 vcc_lo, exec_lo, s14
	s_wait_loadcnt 0x4
	v_lshrrev_b32_e32 v20, 16, v21
	s_delay_alu instid0(VALU_DEP_1) | instskip(SKIP_1) | instid1(VALU_DEP_2)
	v_cvt_f32_f16_e32 v23, v20
	v_cvt_f32_f16_e32 v20, v21
	v_mul_f32_e32 v21, 4.0, v23
	s_wait_alu 0xfffe
	s_cbranch_vccnz .LBB15_11
; %bb.13:                               ;   in Loop: Header=BB15_12 Depth=1
	v_mad_co_i64_i32 v[22:23], null, v22, 18, s[16:17]
	s_delay_alu instid0(VALU_DEP_1) | instskip(SKIP_1) | instid1(VALU_DEP_2)
	v_add_co_u32 v24, vcc_lo, v22, v18
	s_wait_alu 0xfffd
	v_add_co_ci_u32_e64 v25, null, 0, v23, vcc_lo
	s_clause 0x1
	global_load_b64 v[24:25], v[24:25], off offset:2
	global_load_u16 v22, v[22:23], off
	s_wait_loadcnt 0x1
	v_lshrrev_b32_e32 v23, 4, v24
	v_and_b32_e32 v24, 0xf0f0f0f, v24
	v_lshrrev_b32_e32 v26, 4, v25
	s_delay_alu instid0(VALU_DEP_3) | instskip(NEXT) | instid1(VALU_DEP_3)
	v_and_b32_e32 v23, 0xf0f0f0f, v23
	v_dot4_i32_iu8 v24, v24, v2, 0 neg_lo:[1,1,0]
	s_delay_alu instid0(VALU_DEP_1) | instskip(SKIP_2) | instid1(VALU_DEP_2)
	v_dot4_i32_iu8 v23, v23, v4, v24 neg_lo:[1,1,0]
	v_and_b32_e32 v24, 0xf0f0f0f, v25
	v_and_b32_e32 v25, 0xf0f0f0f, v26
	v_dot4_i32_iu8 v23, v24, v3, v23 neg_lo:[1,1,0]
	s_delay_alu instid0(VALU_DEP_1) | instskip(NEXT) | instid1(VALU_DEP_1)
	v_dot4_i32_iu8 v23, v25, v5, v23 neg_lo:[1,1,0]
	v_cvt_f32_i32_e32 v23, v23
	s_delay_alu instid0(VALU_DEP_1) | instskip(SKIP_1) | instid1(VALU_DEP_1)
	v_fma_f32 v23, v20, v23, -v21
	s_wait_loadcnt 0x0
	v_fma_mix_f32 v13, v23, v22, v13 op_sel_hi:[0,1,0]
	s_branch .LBB15_11
.LBB15_14:
	s_or_b32 exec_lo, exec_lo, s13
.LBB15_15:
	s_delay_alu instid0(SALU_CYCLE_1)
	s_or_b32 exec_lo, exec_lo, s18
	s_load_b32 s5, s[0:1], 0x30
	v_cmp_eq_u32_e64 s4, 0, v14
	s_mov_b32 s7, exec_lo
	v_cmpx_ne_u32_e32 0, v14
	s_cbranch_execz .LBB15_19
; %bb.16:
	v_add_nc_u32_e32 v0, -1, v14
	s_and_b32 vcc_lo, exec_lo, s14
	s_delay_alu instid0(VALU_DEP_1)
	v_lshlrev_b32_e32 v0, 7, v0
	s_wait_alu 0xfffe
	s_cbranch_vccz .LBB15_18
; %bb.17:
	s_delay_alu instid0(VALU_DEP_1)
	v_lshl_add_u32 v1, v9, 2, v0
	ds_store_b32 v1, v13 offset:896
.LBB15_18:
	s_delay_alu instid0(VALU_DEP_1)
	v_lshl_add_u32 v0, v9, 2, v0
	ds_store_b32 v0, v15
.LBB15_19:
	s_or_b32 exec_lo, exec_lo, s7
	s_wait_loadcnt_dscnt 0x0
	s_barrier_signal -1
	s_barrier_wait -1
	global_inv scope:SCOPE_SE
	s_and_saveexec_b32 s7, s4
	s_cbranch_execz .LBB15_61
; %bb.20:
	ds_load_b32 v0, v8
	v_cmp_ne_u32_e32 vcc_lo, 1, v12
	v_add_nc_u32_e32 v1, 0x380, v8
	s_cbranch_vccnz .LBB15_22
; %bb.21:
	ds_load_b32 v2, v1
	s_wait_dscnt 0x0
	v_add_f32_e32 v13, v13, v2
.LBB15_22:
	ds_load_b32 v2, v8 offset:128
	v_cmp_ne_u32_e32 vcc_lo, 1, v12
	s_cbranch_vccnz .LBB15_24
; %bb.23:
	ds_load_b32 v3, v1 offset:128
	s_wait_dscnt 0x0
	v_add_f32_e32 v13, v13, v3
.LBB15_24:
	ds_load_b32 v3, v8 offset:256
	v_cmp_ne_u32_e32 vcc_lo, 1, v12
	s_cbranch_vccnz .LBB15_26
; %bb.25:
	ds_load_b32 v4, v1 offset:256
	s_wait_dscnt 0x0
	v_add_f32_e32 v13, v13, v4
.LBB15_26:
	;; [unrolled: 8-line block ×6, first 2 shown]
	v_mbcnt_lo_u32_b32 v1, -1, 0
	s_wait_dscnt 0x6
	v_add_f32_e32 v0, v15, v0
	s_wait_dscnt 0x5
	s_delay_alu instid0(VALU_DEP_1) | instskip(SKIP_2) | instid1(VALU_DEP_2)
	v_add_f32_e32 v0, v0, v2
	v_xor_b32_e32 v2, 16, v1
	s_wait_dscnt 0x4
	v_add_f32_e32 v0, v0, v3
	s_delay_alu instid0(VALU_DEP_2) | instskip(SKIP_2) | instid1(VALU_DEP_3)
	v_cmp_gt_i32_e32 vcc_lo, 32, v2
	v_xor_b32_e32 v3, 8, v1
	s_wait_dscnt 0x3
	v_add_f32_e32 v0, v0, v4
	s_wait_alu 0xfffd
	v_cndmask_b32_e32 v2, v1, v2, vcc_lo
	v_cmp_gt_i32_e32 vcc_lo, 32, v3
	s_wait_dscnt 0x2
	s_wait_alu 0xfffd
	v_dual_add_f32 v0, v0, v5 :: v_dual_cndmask_b32 v3, v1, v3
	s_wait_dscnt 0x1
	s_delay_alu instid0(VALU_DEP_1) | instskip(SKIP_1) | instid1(VALU_DEP_1)
	v_dual_add_f32 v0, v0, v6 :: v_dual_lshlrev_b32 v3, 2, v3
	s_wait_dscnt 0x0
	v_add_f32_e32 v4, v0, v7
	v_lshlrev_b32_e32 v0, 2, v2
	ds_bpermute_b32 v2, v0, v4
	s_wait_dscnt 0x0
	v_add_f32_e32 v2, v4, v2
	v_xor_b32_e32 v4, 4, v1
	ds_bpermute_b32 v5, v3, v2
	v_cmp_gt_i32_e32 vcc_lo, 32, v4
	s_wait_alu 0xfffd
	v_cndmask_b32_e32 v4, v1, v4, vcc_lo
	s_delay_alu instid0(VALU_DEP_1)
	v_lshlrev_b32_e32 v4, 2, v4
	s_wait_dscnt 0x0
	v_add_f32_e32 v2, v2, v5
	v_xor_b32_e32 v5, 2, v1
	ds_bpermute_b32 v6, v4, v2
	v_cmp_gt_i32_e32 vcc_lo, 32, v5
	s_wait_alu 0xfffd
	v_cndmask_b32_e32 v5, v1, v5, vcc_lo
	s_wait_dscnt 0x0
	s_delay_alu instid0(VALU_DEP_1)
	v_dual_add_f32 v2, v2, v6 :: v_dual_lshlrev_b32 v5, 2, v5
	v_xor_b32_e32 v6, 1, v1
	ds_bpermute_b32 v7, v5, v2
	v_cmp_gt_i32_e32 vcc_lo, 32, v6
	s_wait_alu 0xfffd
	v_cndmask_b32_e32 v1, v1, v6, vcc_lo
	v_cmp_ne_u32_e32 vcc_lo, 1, v12
	s_delay_alu instid0(VALU_DEP_2)
	v_lshlrev_b32_e32 v6, 2, v1
	s_wait_dscnt 0x0
	v_add_f32_e32 v1, v2, v7
	ds_bpermute_b32 v2, v6, v1
	s_cbranch_vccnz .LBB15_36
; %bb.35:
	ds_bpermute_b32 v0, v0, v13
	s_wait_dscnt 0x0
	v_add_f32_e32 v0, v13, v0
	ds_bpermute_b32 v3, v3, v0
	s_wait_dscnt 0x0
	v_add_f32_e32 v0, v0, v3
	;; [unrolled: 3-line block ×5, first 2 shown]
.LBB15_36:
	v_cmp_eq_u32_e32 vcc_lo, 0, v9
	s_and_b32 exec_lo, exec_lo, vcc_lo
	s_cbranch_execz .LBB15_61
; %bb.37:
	s_wait_dscnt 0x0
	v_add_f32_e32 v0, v1, v2
	v_cmp_ne_u32_e32 vcc_lo, 1, v12
	s_delay_alu instid0(VALU_DEP_2) | instskip(NEXT) | instid1(VALU_DEP_1)
	v_add_f32_e32 v1, v11, v0
	v_cndmask_b32_e64 v0, v0, v1, s2
	s_cbranch_vccnz .LBB15_60
; %bb.38:
	v_add_f32_e32 v1, v10, v13
	s_wait_kmcnt 0x0
	s_cmp_lt_i32 s5, 2
	s_mov_b32 s2, 0
	s_delay_alu instid0(VALU_DEP_1)
	v_cndmask_b32_e64 v1, v13, v1, s3
	s_cbranch_scc1 .LBB15_43
; %bb.39:
	s_cmp_gt_i32 s5, 2
	s_cbranch_scc0 .LBB15_44
; %bb.40:
	s_cmp_eq_u32 s5, 3
	s_cbranch_scc0 .LBB15_45
; %bb.41:
	v_max_num_f32_e32 v2, v1, v1
	s_mov_b32 s3, 0xc0e00000
	s_delay_alu instid0(VALU_DEP_1) | instskip(NEXT) | instid1(VALU_DEP_1)
	v_min_num_f32_e32 v2, 0x40e00000, v2
	v_mul_f32_e32 v3, 0xbfd9db23, v2
	s_delay_alu instid0(VALU_DEP_1) | instskip(NEXT) | instid1(VALU_DEP_1)
	v_mul_f32_e32 v4, 0x3fb8aa3b, v3
	v_fma_f32 v5, 0x3fb8aa3b, v3, -v4
	v_rndne_f32_e32 v6, v4
	s_delay_alu instid0(VALU_DEP_1) | instskip(NEXT) | instid1(VALU_DEP_1)
	v_dual_fmamk_f32 v5, v3, 0x32a5705f, v5 :: v_dual_sub_f32 v4, v4, v6
	v_add_f32_e32 v4, v4, v5
	v_cvt_i32_f32_e32 v5, v6
	v_cmp_ngt_f32_e32 vcc_lo, 0xc2ce8ed0, v3
	s_delay_alu instid0(VALU_DEP_3) | instskip(NEXT) | instid1(TRANS32_DEP_1)
	v_exp_f32_e32 v4, v4
	v_ldexp_f32 v4, v4, v5
	s_wait_alu 0xfffd
	s_delay_alu instid0(VALU_DEP_1) | instskip(SKIP_2) | instid1(VALU_DEP_2)
	v_cndmask_b32_e32 v4, 0, v4, vcc_lo
	v_cmp_nlt_f32_e32 vcc_lo, 0x42b17218, v3
	s_wait_alu 0xfffd
	v_cndmask_b32_e32 v3, 0x7f800000, v4, vcc_lo
	s_delay_alu instid0(VALU_DEP_1) | instskip(NEXT) | instid1(VALU_DEP_1)
	v_add_f32_e32 v3, 1.0, v3
	v_div_scale_f32 v4, null, v3, v3, v2
	v_div_scale_f32 v7, vcc_lo, v2, v3, v2
	s_delay_alu instid0(VALU_DEP_2) | instskip(NEXT) | instid1(TRANS32_DEP_1)
	v_rcp_f32_e32 v5, v4
	v_fma_f32 v6, -v4, v5, 1.0
	s_delay_alu instid0(VALU_DEP_1) | instskip(NEXT) | instid1(VALU_DEP_1)
	v_fmac_f32_e32 v5, v6, v5
	v_mul_f32_e32 v6, v7, v5
	s_delay_alu instid0(VALU_DEP_1) | instskip(NEXT) | instid1(VALU_DEP_1)
	v_fma_f32 v9, -v4, v6, v7
	v_fmac_f32_e32 v6, v9, v5
	s_delay_alu instid0(VALU_DEP_1) | instskip(SKIP_2) | instid1(VALU_DEP_2)
	v_fma_f32 v4, -v4, v6, v7
	v_max_num_f32_e32 v7, v0, v0
	s_wait_alu 0xfffd
	v_div_fmas_f32 v4, v4, v5, v6
	s_wait_alu 0xfffe
	s_delay_alu instid0(VALU_DEP_2) | instskip(SKIP_1) | instid1(VALU_DEP_2)
	v_minmax_num_f32 v5, v7, 0x40e00000, s3
	s_mov_b32 s3, 0
	v_div_fixup_f32 v2, v4, v3, v2
	s_delay_alu instid0(VALU_DEP_2) | instskip(NEXT) | instid1(VALU_DEP_1)
	v_add_f32_e32 v3, 1.0, v5
	v_mul_f32_e32 v2, v3, v2
	s_branch .LBB15_46
.LBB15_42:
                                        ; implicit-def: $sgpr28
	s_clause 0x1
	s_load_b32 s29, s[0:1], 0x50
	s_load_b32 s30, s[0:1], 0x78
	s_branch .LBB15_2
.LBB15_43:
	s_mov_b32 s3, 0
                                        ; implicit-def: $vgpr2
	s_cbranch_execnz .LBB15_50
	s_branch .LBB15_51
.LBB15_44:
	s_mov_b32 s4, -1
	s_mov_b32 s3, 0
                                        ; implicit-def: $vgpr2
	s_branch .LBB15_47
.LBB15_45:
	s_mov_b32 s3, -1
                                        ; implicit-def: $vgpr2
.LBB15_46:
	s_mov_b32 s4, 0
.LBB15_47:
	s_wait_alu 0xfffe
	s_and_b32 vcc_lo, exec_lo, s4
	s_wait_alu 0xfffe
	s_cbranch_vccz .LBB15_49
; %bb.48:
	v_mul_f32_e32 v2, 0xbfb8aa3b, v1
	v_cmp_nlt_f32_e32 vcc_lo, 0x42ce8ed0, v1
	s_delay_alu instid0(VALU_DEP_2) | instskip(SKIP_1) | instid1(VALU_DEP_2)
	v_rndne_f32_e32 v3, v2
	v_fma_f32 v4, 0xbfb8aa3b, v1, -v2
	v_sub_f32_e32 v2, v2, v3
	s_delay_alu instid0(VALU_DEP_2) | instskip(SKIP_1) | instid1(VALU_DEP_2)
	v_fmamk_f32 v4, v1, 0xb2a5705f, v4
	v_cvt_i32_f32_e32 v3, v3
	v_add_f32_e32 v2, v2, v4
	s_delay_alu instid0(VALU_DEP_1) | instskip(NEXT) | instid1(TRANS32_DEP_1)
	v_exp_f32_e32 v2, v2
	v_ldexp_f32 v2, v2, v3
	s_wait_alu 0xfffd
	s_delay_alu instid0(VALU_DEP_1) | instskip(SKIP_2) | instid1(VALU_DEP_2)
	v_cndmask_b32_e32 v2, 0, v2, vcc_lo
	v_cmp_ngt_f32_e32 vcc_lo, 0xc2b17218, v1
	s_wait_alu 0xfffd
	v_cndmask_b32_e32 v2, 0x7f800000, v2, vcc_lo
	s_delay_alu instid0(VALU_DEP_1) | instskip(NEXT) | instid1(VALU_DEP_1)
	v_add_f32_e32 v2, 1.0, v2
	v_div_scale_f32 v3, null, v2, v2, v1
	s_delay_alu instid0(VALU_DEP_1) | instskip(NEXT) | instid1(TRANS32_DEP_1)
	v_rcp_f32_e32 v4, v3
	v_fma_f32 v5, -v3, v4, 1.0
	s_delay_alu instid0(VALU_DEP_1) | instskip(SKIP_1) | instid1(VALU_DEP_1)
	v_fmac_f32_e32 v4, v5, v4
	v_div_scale_f32 v5, vcc_lo, v1, v2, v1
	v_mul_f32_e32 v6, v5, v4
	s_delay_alu instid0(VALU_DEP_1) | instskip(NEXT) | instid1(VALU_DEP_1)
	v_fma_f32 v7, -v3, v6, v5
	v_fmac_f32_e32 v6, v7, v4
	s_delay_alu instid0(VALU_DEP_1) | instskip(SKIP_1) | instid1(VALU_DEP_1)
	v_fma_f32 v3, -v3, v6, v5
	s_wait_alu 0xfffd
	v_div_fmas_f32 v3, v3, v4, v6
	s_delay_alu instid0(VALU_DEP_1) | instskip(NEXT) | instid1(VALU_DEP_1)
	v_div_fixup_f32 v2, v3, v2, v1
	v_mul_f32_e32 v2, v0, v2
.LBB15_49:
	s_branch .LBB15_51
.LBB15_50:
	s_cmp_lg_u32 s5, 1
	s_mov_b32 s2, -1
	s_cselect_b32 s3, -1, 0
.LBB15_51:
	s_wait_alu 0xfffe
	s_and_not1_b32 vcc_lo, exec_lo, s3
	s_wait_alu 0xfffe
	s_cbranch_vccz .LBB15_53
; %bb.52:
	s_and_not1_b32 vcc_lo, exec_lo, s2
	s_wait_alu 0xfffe
	s_cbranch_vccz .LBB15_54
	s_branch .LBB15_59
.LBB15_53:
	v_mul_f32_e32 v2, v1, v0
	s_cbranch_execnz .LBB15_59
.LBB15_54:
	v_mul_f32_e32 v2, 0x3d372713, v1
	v_mul_f32_e32 v3, 0x3f4c422a, v1
	s_delay_alu instid0(VALU_DEP_2) | instskip(NEXT) | instid1(VALU_DEP_1)
	v_fma_f32 v2, v1, v2, 1.0
	v_mul_f32_e32 v2, v3, v2
                                        ; implicit-def: $vgpr3
	s_delay_alu instid0(VALU_DEP_1)
	v_cmp_ngt_f32_e64 s2, 0x3f200000, |v2|
	s_and_saveexec_b32 s3, s2
	s_wait_alu 0xfffe
	s_xor_b32 s2, exec_lo, s3
	s_cbranch_execz .LBB15_56
; %bb.55:
	v_add_f32_e64 v3, |v2|, |v2|
	s_delay_alu instid0(VALU_DEP_1) | instskip(SKIP_1) | instid1(VALU_DEP_2)
	v_mul_f32_e32 v4, 0x3fb8aa3b, v3
	v_cmp_ngt_f32_e32 vcc_lo, 0xc2ce8ed0, v3
	v_rndne_f32_e32 v5, v4
	v_fma_f32 v6, 0x3fb8aa3b, v3, -v4
	s_delay_alu instid0(VALU_DEP_2) | instskip(NEXT) | instid1(VALU_DEP_2)
	v_sub_f32_e32 v4, v4, v5
	v_fmamk_f32 v6, v3, 0x32a5705f, v6
	v_cvt_i32_f32_e32 v5, v5
	s_delay_alu instid0(VALU_DEP_2) | instskip(NEXT) | instid1(VALU_DEP_1)
	v_add_f32_e32 v4, v4, v6
	v_exp_f32_e32 v4, v4
	s_delay_alu instid0(TRANS32_DEP_1) | instskip(SKIP_1) | instid1(VALU_DEP_1)
	v_ldexp_f32 v4, v4, v5
	s_wait_alu 0xfffd
	v_cndmask_b32_e32 v4, 0, v4, vcc_lo
	v_cmp_nlt_f32_e32 vcc_lo, 0x42b17218, v3
	s_wait_alu 0xfffd
	s_delay_alu instid0(VALU_DEP_2) | instskip(NEXT) | instid1(VALU_DEP_1)
	v_cndmask_b32_e32 v3, 0x7f800000, v4, vcc_lo
	v_add_f32_e32 v3, 1.0, v3
	s_delay_alu instid0(VALU_DEP_1) | instskip(NEXT) | instid1(TRANS32_DEP_1)
	v_rcp_f32_e32 v3, v3
	v_fma_f32 v3, v3, -2.0, 1.0
.LBB15_56:
	s_wait_alu 0xfffe
	s_and_not1_saveexec_b32 s2, s2
	s_cbranch_execz .LBB15_58
; %bb.57:
	v_mul_f32_e32 v3, v2, v2
	s_mov_b32 s3, 0xbbbac73d
	s_wait_alu 0xfffe
	s_delay_alu instid0(VALU_DEP_1) | instskip(NEXT) | instid1(VALU_DEP_1)
	v_fmaak_f32 v4, s3, v3, 0x3ca908c9
	v_fmaak_f32 v4, v3, v4, 0xbd5c1c4e
	s_delay_alu instid0(VALU_DEP_1) | instskip(NEXT) | instid1(VALU_DEP_1)
	v_fmaak_f32 v4, v3, v4, 0x3e088382
	v_fmaak_f32 v4, v3, v4, 0xbeaaaa99
	s_delay_alu instid0(VALU_DEP_1) | instskip(NEXT) | instid1(VALU_DEP_1)
	v_mul_f32_e64 v4, |v2|, v4
	v_fma_f32 v3, v3, v4, |v2|
.LBB15_58:
	s_wait_alu 0xfffe
	s_or_b32 exec_lo, exec_lo, s2
	s_delay_alu instid0(VALU_DEP_1) | instskip(NEXT) | instid1(VALU_DEP_1)
	v_bfi_b32 v2, 0x7fffffff, v3, v2
	v_dual_mul_f32 v1, 0.5, v1 :: v_dual_add_f32 v2, 1.0, v2
	s_delay_alu instid0(VALU_DEP_1) | instskip(NEXT) | instid1(VALU_DEP_1)
	v_mul_f32_e32 v1, v1, v2
	v_mul_f32_e32 v2, v0, v1
.LBB15_59:
	s_delay_alu instid0(VALU_DEP_1)
	v_mov_b32_e32 v0, v2
.LBB15_60:
	s_load_b64 s[0:1], s[0:1], 0x38
	s_mul_i32 s2, s6, s27
	s_wait_kmcnt 0x0
	s_mul_i32 s3, s26, s21
	s_wait_alu 0xfffe
	s_add_co_i32 s2, s2, ttmp9
	s_wait_alu 0xfffe
	s_add_co_i32 s2, s2, s3
	s_mov_b32 s3, 0
	s_wait_alu 0xfffe
	s_lshl_b64 s[2:3], s[2:3], 2
	s_wait_alu 0xfffe
	s_add_nc_u64 s[0:1], s[0:1], s[2:3]
	global_store_b32 v8, v0, s[0:1]
.LBB15_61:
	s_endpgm
	.section	.rodata,"a",@progbits
	.p2align	6, 0x0
	.amdhsa_kernel _ZL13mul_mat_vec_qIL9ggml_type2ELi1ELb1ELb0EEvPKvS2_PKi31ggml_cuda_mm_fusion_args_devicePfj15HIP_vector_typeIjLj3EEjjjS8_jjjS8_jjjj
		.amdhsa_group_segment_fixed_size 1792
		.amdhsa_private_segment_fixed_size 0
		.amdhsa_kernarg_size 144
		.amdhsa_user_sgpr_count 2
		.amdhsa_user_sgpr_dispatch_ptr 0
		.amdhsa_user_sgpr_queue_ptr 0
		.amdhsa_user_sgpr_kernarg_segment_ptr 1
		.amdhsa_user_sgpr_dispatch_id 0
		.amdhsa_user_sgpr_private_segment_size 0
		.amdhsa_wavefront_size32 1
		.amdhsa_uses_dynamic_stack 0
		.amdhsa_enable_private_segment 0
		.amdhsa_system_sgpr_workgroup_id_x 1
		.amdhsa_system_sgpr_workgroup_id_y 1
		.amdhsa_system_sgpr_workgroup_id_z 1
		.amdhsa_system_sgpr_workgroup_info 0
		.amdhsa_system_vgpr_workitem_id 1
		.amdhsa_next_free_vgpr 27
		.amdhsa_next_free_sgpr 38
		.amdhsa_reserve_vcc 1
		.amdhsa_float_round_mode_32 0
		.amdhsa_float_round_mode_16_64 0
		.amdhsa_float_denorm_mode_32 3
		.amdhsa_float_denorm_mode_16_64 3
		.amdhsa_fp16_overflow 0
		.amdhsa_workgroup_processor_mode 1
		.amdhsa_memory_ordered 1
		.amdhsa_forward_progress 1
		.amdhsa_inst_pref_size 24
		.amdhsa_round_robin_scheduling 0
		.amdhsa_exception_fp_ieee_invalid_op 0
		.amdhsa_exception_fp_denorm_src 0
		.amdhsa_exception_fp_ieee_div_zero 0
		.amdhsa_exception_fp_ieee_overflow 0
		.amdhsa_exception_fp_ieee_underflow 0
		.amdhsa_exception_fp_ieee_inexact 0
		.amdhsa_exception_int_div_zero 0
	.end_amdhsa_kernel
	.section	.text._ZL13mul_mat_vec_qIL9ggml_type2ELi1ELb1ELb0EEvPKvS2_PKi31ggml_cuda_mm_fusion_args_devicePfj15HIP_vector_typeIjLj3EEjjjS8_jjjS8_jjjj,"axG",@progbits,_ZL13mul_mat_vec_qIL9ggml_type2ELi1ELb1ELb0EEvPKvS2_PKi31ggml_cuda_mm_fusion_args_devicePfj15HIP_vector_typeIjLj3EEjjjS8_jjjS8_jjjj,comdat
.Lfunc_end15:
	.size	_ZL13mul_mat_vec_qIL9ggml_type2ELi1ELb1ELb0EEvPKvS2_PKi31ggml_cuda_mm_fusion_args_devicePfj15HIP_vector_typeIjLj3EEjjjS8_jjjS8_jjjj, .Lfunc_end15-_ZL13mul_mat_vec_qIL9ggml_type2ELi1ELb1ELb0EEvPKvS2_PKi31ggml_cuda_mm_fusion_args_devicePfj15HIP_vector_typeIjLj3EEjjjS8_jjjS8_jjjj
                                        ; -- End function
	.set _ZL13mul_mat_vec_qIL9ggml_type2ELi1ELb1ELb0EEvPKvS2_PKi31ggml_cuda_mm_fusion_args_devicePfj15HIP_vector_typeIjLj3EEjjjS8_jjjS8_jjjj.num_vgpr, 27
	.set _ZL13mul_mat_vec_qIL9ggml_type2ELi1ELb1ELb0EEvPKvS2_PKi31ggml_cuda_mm_fusion_args_devicePfj15HIP_vector_typeIjLj3EEjjjS8_jjjS8_jjjj.num_agpr, 0
	.set _ZL13mul_mat_vec_qIL9ggml_type2ELi1ELb1ELb0EEvPKvS2_PKi31ggml_cuda_mm_fusion_args_devicePfj15HIP_vector_typeIjLj3EEjjjS8_jjjS8_jjjj.numbered_sgpr, 38
	.set _ZL13mul_mat_vec_qIL9ggml_type2ELi1ELb1ELb0EEvPKvS2_PKi31ggml_cuda_mm_fusion_args_devicePfj15HIP_vector_typeIjLj3EEjjjS8_jjjS8_jjjj.num_named_barrier, 0
	.set _ZL13mul_mat_vec_qIL9ggml_type2ELi1ELb1ELb0EEvPKvS2_PKi31ggml_cuda_mm_fusion_args_devicePfj15HIP_vector_typeIjLj3EEjjjS8_jjjS8_jjjj.private_seg_size, 0
	.set _ZL13mul_mat_vec_qIL9ggml_type2ELi1ELb1ELb0EEvPKvS2_PKi31ggml_cuda_mm_fusion_args_devicePfj15HIP_vector_typeIjLj3EEjjjS8_jjjS8_jjjj.uses_vcc, 1
	.set _ZL13mul_mat_vec_qIL9ggml_type2ELi1ELb1ELb0EEvPKvS2_PKi31ggml_cuda_mm_fusion_args_devicePfj15HIP_vector_typeIjLj3EEjjjS8_jjjS8_jjjj.uses_flat_scratch, 0
	.set _ZL13mul_mat_vec_qIL9ggml_type2ELi1ELb1ELb0EEvPKvS2_PKi31ggml_cuda_mm_fusion_args_devicePfj15HIP_vector_typeIjLj3EEjjjS8_jjjS8_jjjj.has_dyn_sized_stack, 0
	.set _ZL13mul_mat_vec_qIL9ggml_type2ELi1ELb1ELb0EEvPKvS2_PKi31ggml_cuda_mm_fusion_args_devicePfj15HIP_vector_typeIjLj3EEjjjS8_jjjS8_jjjj.has_recursion, 0
	.set _ZL13mul_mat_vec_qIL9ggml_type2ELi1ELb1ELb0EEvPKvS2_PKi31ggml_cuda_mm_fusion_args_devicePfj15HIP_vector_typeIjLj3EEjjjS8_jjjS8_jjjj.has_indirect_call, 0
	.section	.AMDGPU.csdata,"",@progbits
; Kernel info:
; codeLenInByte = 2992
; TotalNumSgprs: 40
; NumVgprs: 27
; ScratchSize: 0
; MemoryBound: 0
; FloatMode: 240
; IeeeMode: 1
; LDSByteSize: 1792 bytes/workgroup (compile time only)
; SGPRBlocks: 0
; VGPRBlocks: 3
; NumSGPRsForWavesPerEU: 40
; NumVGPRsForWavesPerEU: 27
; Occupancy: 16
; WaveLimiterHint : 0
; COMPUTE_PGM_RSRC2:SCRATCH_EN: 0
; COMPUTE_PGM_RSRC2:USER_SGPR: 2
; COMPUTE_PGM_RSRC2:TRAP_HANDLER: 0
; COMPUTE_PGM_RSRC2:TGID_X_EN: 1
; COMPUTE_PGM_RSRC2:TGID_Y_EN: 1
; COMPUTE_PGM_RSRC2:TGID_Z_EN: 1
; COMPUTE_PGM_RSRC2:TIDIG_COMP_CNT: 1
	.section	.text._ZL13mul_mat_vec_qIL9ggml_type2ELi1ELb0ELb0EEvPKvS2_PKi31ggml_cuda_mm_fusion_args_devicePfj15HIP_vector_typeIjLj3EEjjjS8_jjjS8_jjjj,"axG",@progbits,_ZL13mul_mat_vec_qIL9ggml_type2ELi1ELb0ELb0EEvPKvS2_PKi31ggml_cuda_mm_fusion_args_devicePfj15HIP_vector_typeIjLj3EEjjjS8_jjjS8_jjjj,comdat
	.globl	_ZL13mul_mat_vec_qIL9ggml_type2ELi1ELb0ELb0EEvPKvS2_PKi31ggml_cuda_mm_fusion_args_devicePfj15HIP_vector_typeIjLj3EEjjjS8_jjjS8_jjjj ; -- Begin function _ZL13mul_mat_vec_qIL9ggml_type2ELi1ELb0ELb0EEvPKvS2_PKi31ggml_cuda_mm_fusion_args_devicePfj15HIP_vector_typeIjLj3EEjjjS8_jjjS8_jjjj
	.p2align	8
	.type	_ZL13mul_mat_vec_qIL9ggml_type2ELi1ELb0ELb0EEvPKvS2_PKi31ggml_cuda_mm_fusion_args_devicePfj15HIP_vector_typeIjLj3EEjjjS8_jjjS8_jjjj,@function
_ZL13mul_mat_vec_qIL9ggml_type2ELi1ELb0ELb0EEvPKvS2_PKi31ggml_cuda_mm_fusion_args_devicePfj15HIP_vector_typeIjLj3EEjjjS8_jjjS8_jjjj: ; @_ZL13mul_mat_vec_qIL9ggml_type2ELi1ELb0ELb0EEvPKvS2_PKi31ggml_cuda_mm_fusion_args_devicePfj15HIP_vector_typeIjLj3EEjjjS8_jjjS8_jjjj
; %bb.0:
	s_clause 0x1
	s_load_b64 s[2:3], s[0:1], 0x10
	s_load_b128 s[8:11], s[0:1], 0x40
	s_and_b32 s15, ttmp7, 0xffff
	s_wait_kmcnt 0x0
	s_cmp_lg_u64 s[2:3], 0
	s_cselect_b32 s12, -1, 0
	s_cmp_eq_u64 s[2:3], 0
	s_cbranch_scc1 .LBB16_15
; %bb.1:
	s_lshl_b32 s4, s15, 2
	s_load_b32 s19, s[2:3], s4 offset:0x0
	s_clause 0x1
	s_load_b128 s[4:7], s[0:1], 0x68
	s_load_b32 s20, s[0:1], 0x50
	s_cbranch_execnz .LBB16_3
.LBB16_2:
	s_load_b64 s[2:3], s[0:1], 0x5c
	s_wait_kmcnt 0x0
	s_mul_hi_u32 s2, s2, s15
	s_delay_alu instid0(SALU_CYCLE_1) | instskip(NEXT) | instid1(SALU_CYCLE_1)
	s_add_co_i32 s2, s15, s2
	s_lshr_b32 s19, s2, s3
.LBB16_3:
	s_load_b32 s21, s[0:1], 0x78
	s_and_not1_b32 vcc_lo, exec_lo, s12
	s_mov_b32 s22, s15
	s_cbranch_vccnz .LBB16_5
; %bb.4:
	s_mul_hi_u32 s2, s9, s15
	s_delay_alu instid0(SALU_CYCLE_1) | instskip(NEXT) | instid1(SALU_CYCLE_1)
	s_add_co_i32 s2, s15, s2
	s_lshr_b32 s2, s2, s10
	s_delay_alu instid0(SALU_CYCLE_1) | instskip(NEXT) | instid1(SALU_CYCLE_1)
	s_mul_i32 s2, s2, s11
	s_sub_co_i32 s22, s15, s2
.LBB16_5:
	v_bfe_u32 v4, v0, 10, 10
	v_dual_mov_b32 v5, 0 :: v_dual_and_b32 v2, 0x3ff, v0
	s_load_b96 s[12:14], s[0:1], 0x80
	s_lshr_b32 s17, s8, 5
	s_delay_alu instid0(VALU_DEP_2) | instskip(NEXT) | instid1(VALU_DEP_2)
	v_lshlrev_b32_e32 v0, 5, v4
	v_lshlrev_b32_e32 v3, 2, v2
	s_lshr_b32 s16, ttmp7, 16
	s_mov_b32 s18, exec_lo
	s_delay_alu instid0(VALU_DEP_2) | instskip(NEXT) | instid1(VALU_DEP_1)
	v_add_nc_u16 v1, v0, v2
	v_lshrrev_b16 v1, 1, v1
	s_delay_alu instid0(VALU_DEP_1) | instskip(NEXT) | instid1(VALU_DEP_1)
	v_and_b32_e32 v6, 0xffff, v1
	v_cmpx_gt_u32_e64 s17, v6
	s_cbranch_execz .LBB16_9
; %bb.6:
	s_load_b128 s[8:11], s[0:1], 0x0
	v_dual_mov_b32 v5, 0 :: v_dual_add_nc_u32 v0, v0, v2
	s_wait_kmcnt 0x0
	s_mul_i32 s22, s22, s5
	s_mul_hi_u32 s5, s7, s16
	s_mul_i32 s2, s13, s16
	s_mov_b32 s3, 0
	s_add_co_i32 s5, s16, s5
	s_mov_b32 s23, s3
	s_mul_i32 s7, s19, s4
	s_lshr_b32 s13, s5, s21
	s_mul_u64 s[4:5], s[2:3], 36
	v_lshrrev_b32_e32 v0, 1, v0
	s_mul_i32 s2, s13, s12
	s_mul_u64 s[12:13], s[22:23], 36
	v_and_b32_e32 v8, 4, v3
	v_and_b32_e32 v7, 1, v2
	s_mul_i32 s20, s20, ttmp9
	s_delay_alu instid0(SALU_CYCLE_1) | instskip(SKIP_1) | instid1(VALU_DEP_1)
	s_add_co_i32 s2, s2, s20
	s_add_nc_u64 s[4:5], s[10:11], s[4:5]
	v_lshlrev_b32_e32 v7, 3, v7
	s_add_nc_u64 s[4:5], s[4:5], s[12:13]
	v_lshlrev_b32_e32 v8, 1, v8
	v_mad_co_u64_u32 v[0:1], null, v0, 36, s[4:5]
	s_add_co_i32 s4, s7, s2
.LBB16_7:                               ; =>This Inner Loop Header: Depth=1
	s_wait_alu 0xfffe
	v_add_nc_u32_e32 v9, s4, v6
	v_add_co_u32 v11, vcc_lo, v0, v7
	s_wait_alu 0xfffd
	v_add_co_ci_u32_e64 v12, null, 0, v1, vcc_lo
	s_delay_alu instid0(VALU_DEP_3) | instskip(SKIP_1) | instid1(VALU_DEP_1)
	v_mad_co_i64_i32 v[9:10], null, v9, 18, s[8:9]
	v_add_nc_u32_e32 v6, 0x80, v6
	v_cmp_le_u32_e32 vcc_lo, s17, v6
	s_delay_alu instid0(VALU_DEP_3) | instskip(SKIP_1) | instid1(VALU_DEP_4)
	v_add_co_u32 v13, s2, v9, v8
	s_wait_alu 0xf1ff
	v_add_co_ci_u32_e64 v14, null, 0, v10, s2
	s_or_b32 s3, vcc_lo, s3
	global_load_b64 v[13:14], v[13:14], off offset:2
	s_clause 0x2
	global_load_b64 v[15:16], v[11:12], off offset:4
	global_load_b64 v[11:12], v[11:12], off offset:20
	global_load_b32 v17, v[0:1], off
	global_load_u16 v9, v[9:10], off
	v_add_co_u32 v0, s2, 0x1200, v0
	s_wait_alu 0xf1ff
	v_add_co_ci_u32_e64 v1, null, 0, v1, s2
	s_wait_loadcnt 0x4
	v_lshrrev_b32_e32 v10, 4, v13
	v_and_b32_e32 v13, 0xf0f0f0f, v13
	s_delay_alu instid0(VALU_DEP_2) | instskip(SKIP_1) | instid1(VALU_DEP_2)
	v_and_b32_e32 v10, 0xf0f0f0f, v10
	s_wait_loadcnt 0x3
	v_dot4_i32_iu8 v13, v13, v15, 0 neg_lo:[1,1,0]
	v_and_b32_e32 v15, 0xf0f0f0f, v14
	v_lshrrev_b32_e32 v14, 4, v14
	s_wait_loadcnt 0x2
	s_delay_alu instid0(VALU_DEP_3) | instskip(SKIP_3) | instid1(VALU_DEP_3)
	v_dot4_i32_iu8 v10, v10, v11, v13 neg_lo:[1,1,0]
	s_wait_loadcnt 0x1
	v_lshrrev_b32_e32 v11, 16, v17
	v_and_b32_e32 v13, 0xf0f0f0f, v14
	v_dot4_i32_iu8 v10, v15, v16, v10 neg_lo:[1,1,0]
	s_delay_alu instid0(VALU_DEP_3) | instskip(NEXT) | instid1(VALU_DEP_2)
	v_cvt_f32_f16_e32 v11, v11
	v_dot4_i32_iu8 v10, v13, v12, v10 neg_lo:[1,1,0]
	s_delay_alu instid0(VALU_DEP_2) | instskip(NEXT) | instid1(VALU_DEP_2)
	v_mul_f32_e32 v11, -4.0, v11
	v_cvt_f32_i32_e32 v10, v10
	s_delay_alu instid0(VALU_DEP_1) | instskip(SKIP_1) | instid1(VALU_DEP_1)
	v_fma_mix_f32 v10, v10, v17, v11 op_sel_hi:[0,1,0]
	s_wait_loadcnt 0x0
	v_fma_mix_f32 v5, v10, v9, v5 op_sel_hi:[0,1,0]
	s_wait_alu 0xfffe
	s_and_not1_b32 exec_lo, exec_lo, s3
	s_cbranch_execnz .LBB16_7
; %bb.8:
	s_or_b32 exec_lo, exec_lo, s3
.LBB16_9:
	s_delay_alu instid0(SALU_CYCLE_1) | instskip(NEXT) | instid1(SALU_CYCLE_1)
	s_or_b32 exec_lo, exec_lo, s18
	s_mov_b32 s3, exec_lo
	v_cmp_eq_u32_e32 vcc_lo, 0, v4
	v_cmpx_ne_u32_e32 0, v4
; %bb.10:
	v_lshlrev_b32_e32 v0, 7, v4
	s_delay_alu instid0(VALU_DEP_1)
	v_add3_u32 v0, v0, v3, 0xffffff80
	ds_store_b32 v0, v5
; %bb.11:
	s_wait_alu 0xfffe
	s_or_b32 exec_lo, exec_lo, s3
	s_wait_dscnt 0x0
	s_barrier_signal -1
	s_barrier_wait -1
	global_inv scope:SCOPE_SE
	s_and_saveexec_b32 s2, vcc_lo
	s_cbranch_execz .LBB16_14
; %bb.12:
	ds_load_2addr_b32 v[0:1], v3 offset1:32
	ds_load_2addr_b32 v[6:7], v3 offset0:64 offset1:96
	ds_load_2addr_b32 v[8:9], v3 offset0:128 offset1:160
	s_mov_b32 s3, 0
	s_wait_dscnt 0x2
	v_add_f32_e32 v0, v5, v0
	s_delay_alu instid0(VALU_DEP_1) | instskip(SKIP_4) | instid1(VALU_DEP_2)
	v_add_f32_e32 v0, v0, v1
	ds_load_b32 v1, v3 offset:768
	v_mbcnt_lo_u32_b32 v3, -1, 0
	s_wait_dscnt 0x2
	v_add_f32_e32 v0, v0, v6
	v_xor_b32_e32 v4, 16, v3
	s_delay_alu instid0(VALU_DEP_2) | instskip(NEXT) | instid1(VALU_DEP_2)
	v_add_f32_e32 v0, v0, v7
	v_cmp_gt_i32_e32 vcc_lo, 32, v4
	s_wait_dscnt 0x1
	s_delay_alu instid0(VALU_DEP_2) | instskip(SKIP_2) | instid1(VALU_DEP_2)
	v_add_f32_e32 v0, v0, v8
	s_wait_alu 0xfffd
	v_cndmask_b32_e32 v4, v3, v4, vcc_lo
	v_add_f32_e32 v0, v0, v9
	s_wait_dscnt 0x0
	s_delay_alu instid0(VALU_DEP_1)
	v_dual_add_f32 v0, v0, v1 :: v_dual_lshlrev_b32 v1, 2, v4
	v_xor_b32_e32 v4, 8, v3
	ds_bpermute_b32 v1, v1, v0
	v_cmp_gt_i32_e32 vcc_lo, 32, v4
	s_wait_alu 0xfffd
	v_cndmask_b32_e32 v4, v3, v4, vcc_lo
	s_delay_alu instid0(VALU_DEP_1) | instskip(SKIP_4) | instid1(VALU_DEP_1)
	v_lshlrev_b32_e32 v4, 2, v4
	s_wait_dscnt 0x0
	v_add_f32_e32 v0, v0, v1
	ds_bpermute_b32 v1, v4, v0
	v_xor_b32_e32 v4, 4, v3
	v_cmp_gt_i32_e32 vcc_lo, 32, v4
	s_wait_alu 0xfffd
	v_cndmask_b32_e32 v4, v3, v4, vcc_lo
	s_delay_alu instid0(VALU_DEP_1) | instskip(SKIP_4) | instid1(VALU_DEP_1)
	v_lshlrev_b32_e32 v4, 2, v4
	s_wait_dscnt 0x0
	v_add_f32_e32 v0, v0, v1
	ds_bpermute_b32 v1, v4, v0
	v_xor_b32_e32 v4, 2, v3
	;; [unrolled: 9-line block ×3, first 2 shown]
	v_cmp_gt_i32_e32 vcc_lo, 32, v4
	s_wait_alu 0xfffd
	v_cndmask_b32_e32 v3, v3, v4, vcc_lo
	v_cmp_eq_u32_e32 vcc_lo, 0, v2
	s_wait_dscnt 0x0
	s_delay_alu instid0(VALU_DEP_2)
	v_dual_add_f32 v0, v0, v1 :: v_dual_lshlrev_b32 v3, 2, v3
	ds_bpermute_b32 v1, v3, v0
	s_and_b32 exec_lo, exec_lo, vcc_lo
	s_cbranch_execz .LBB16_14
; %bb.13:
	s_load_b64 s[0:1], s[0:1], 0x38
	s_wait_kmcnt 0x0
	s_mul_i32 s2, s6, s15
	s_mul_i32 s4, s14, s16
	s_wait_alu 0xfffe
	s_add_co_i32 s2, s2, ttmp9
	v_mov_b32_e32 v2, 0
	s_wait_alu 0xfffe
	s_add_co_i32 s2, s2, s4
	s_wait_dscnt 0x0
	v_add_f32_e32 v0, v0, v1
	s_wait_alu 0xfffe
	s_lshl_b64 s[2:3], s[2:3], 2
	s_wait_alu 0xfffe
	s_add_nc_u64 s[0:1], s[0:1], s[2:3]
	global_store_b32 v2, v0, s[0:1]
.LBB16_14:
	s_endpgm
.LBB16_15:
                                        ; implicit-def: $sgpr19
	s_clause 0x1
	s_load_b128 s[4:7], s[0:1], 0x68
	s_load_b32 s20, s[0:1], 0x50
	s_branch .LBB16_2
	.section	.rodata,"a",@progbits
	.p2align	6, 0x0
	.amdhsa_kernel _ZL13mul_mat_vec_qIL9ggml_type2ELi1ELb0ELb0EEvPKvS2_PKi31ggml_cuda_mm_fusion_args_devicePfj15HIP_vector_typeIjLj3EEjjjS8_jjjS8_jjjj
		.amdhsa_group_segment_fixed_size 896
		.amdhsa_private_segment_fixed_size 0
		.amdhsa_kernarg_size 144
		.amdhsa_user_sgpr_count 2
		.amdhsa_user_sgpr_dispatch_ptr 0
		.amdhsa_user_sgpr_queue_ptr 0
		.amdhsa_user_sgpr_kernarg_segment_ptr 1
		.amdhsa_user_sgpr_dispatch_id 0
		.amdhsa_user_sgpr_private_segment_size 0
		.amdhsa_wavefront_size32 1
		.amdhsa_uses_dynamic_stack 0
		.amdhsa_enable_private_segment 0
		.amdhsa_system_sgpr_workgroup_id_x 1
		.amdhsa_system_sgpr_workgroup_id_y 1
		.amdhsa_system_sgpr_workgroup_id_z 1
		.amdhsa_system_sgpr_workgroup_info 0
		.amdhsa_system_vgpr_workitem_id 1
		.amdhsa_next_free_vgpr 18
		.amdhsa_next_free_sgpr 24
		.amdhsa_reserve_vcc 1
		.amdhsa_float_round_mode_32 0
		.amdhsa_float_round_mode_16_64 0
		.amdhsa_float_denorm_mode_32 3
		.amdhsa_float_denorm_mode_16_64 3
		.amdhsa_fp16_overflow 0
		.amdhsa_workgroup_processor_mode 1
		.amdhsa_memory_ordered 1
		.amdhsa_forward_progress 1
		.amdhsa_inst_pref_size 10
		.amdhsa_round_robin_scheduling 0
		.amdhsa_exception_fp_ieee_invalid_op 0
		.amdhsa_exception_fp_denorm_src 0
		.amdhsa_exception_fp_ieee_div_zero 0
		.amdhsa_exception_fp_ieee_overflow 0
		.amdhsa_exception_fp_ieee_underflow 0
		.amdhsa_exception_fp_ieee_inexact 0
		.amdhsa_exception_int_div_zero 0
	.end_amdhsa_kernel
	.section	.text._ZL13mul_mat_vec_qIL9ggml_type2ELi1ELb0ELb0EEvPKvS2_PKi31ggml_cuda_mm_fusion_args_devicePfj15HIP_vector_typeIjLj3EEjjjS8_jjjS8_jjjj,"axG",@progbits,_ZL13mul_mat_vec_qIL9ggml_type2ELi1ELb0ELb0EEvPKvS2_PKi31ggml_cuda_mm_fusion_args_devicePfj15HIP_vector_typeIjLj3EEjjjS8_jjjS8_jjjj,comdat
.Lfunc_end16:
	.size	_ZL13mul_mat_vec_qIL9ggml_type2ELi1ELb0ELb0EEvPKvS2_PKi31ggml_cuda_mm_fusion_args_devicePfj15HIP_vector_typeIjLj3EEjjjS8_jjjS8_jjjj, .Lfunc_end16-_ZL13mul_mat_vec_qIL9ggml_type2ELi1ELb0ELb0EEvPKvS2_PKi31ggml_cuda_mm_fusion_args_devicePfj15HIP_vector_typeIjLj3EEjjjS8_jjjS8_jjjj
                                        ; -- End function
	.set _ZL13mul_mat_vec_qIL9ggml_type2ELi1ELb0ELb0EEvPKvS2_PKi31ggml_cuda_mm_fusion_args_devicePfj15HIP_vector_typeIjLj3EEjjjS8_jjjS8_jjjj.num_vgpr, 18
	.set _ZL13mul_mat_vec_qIL9ggml_type2ELi1ELb0ELb0EEvPKvS2_PKi31ggml_cuda_mm_fusion_args_devicePfj15HIP_vector_typeIjLj3EEjjjS8_jjjS8_jjjj.num_agpr, 0
	.set _ZL13mul_mat_vec_qIL9ggml_type2ELi1ELb0ELb0EEvPKvS2_PKi31ggml_cuda_mm_fusion_args_devicePfj15HIP_vector_typeIjLj3EEjjjS8_jjjS8_jjjj.numbered_sgpr, 24
	.set _ZL13mul_mat_vec_qIL9ggml_type2ELi1ELb0ELb0EEvPKvS2_PKi31ggml_cuda_mm_fusion_args_devicePfj15HIP_vector_typeIjLj3EEjjjS8_jjjS8_jjjj.num_named_barrier, 0
	.set _ZL13mul_mat_vec_qIL9ggml_type2ELi1ELb0ELb0EEvPKvS2_PKi31ggml_cuda_mm_fusion_args_devicePfj15HIP_vector_typeIjLj3EEjjjS8_jjjS8_jjjj.private_seg_size, 0
	.set _ZL13mul_mat_vec_qIL9ggml_type2ELi1ELb0ELb0EEvPKvS2_PKi31ggml_cuda_mm_fusion_args_devicePfj15HIP_vector_typeIjLj3EEjjjS8_jjjS8_jjjj.uses_vcc, 1
	.set _ZL13mul_mat_vec_qIL9ggml_type2ELi1ELb0ELb0EEvPKvS2_PKi31ggml_cuda_mm_fusion_args_devicePfj15HIP_vector_typeIjLj3EEjjjS8_jjjS8_jjjj.uses_flat_scratch, 0
	.set _ZL13mul_mat_vec_qIL9ggml_type2ELi1ELb0ELb0EEvPKvS2_PKi31ggml_cuda_mm_fusion_args_devicePfj15HIP_vector_typeIjLj3EEjjjS8_jjjS8_jjjj.has_dyn_sized_stack, 0
	.set _ZL13mul_mat_vec_qIL9ggml_type2ELi1ELb0ELb0EEvPKvS2_PKi31ggml_cuda_mm_fusion_args_devicePfj15HIP_vector_typeIjLj3EEjjjS8_jjjS8_jjjj.has_recursion, 0
	.set _ZL13mul_mat_vec_qIL9ggml_type2ELi1ELb0ELb0EEvPKvS2_PKi31ggml_cuda_mm_fusion_args_devicePfj15HIP_vector_typeIjLj3EEjjjS8_jjjS8_jjjj.has_indirect_call, 0
	.section	.AMDGPU.csdata,"",@progbits
; Kernel info:
; codeLenInByte = 1196
; TotalNumSgprs: 26
; NumVgprs: 18
; ScratchSize: 0
; MemoryBound: 0
; FloatMode: 240
; IeeeMode: 1
; LDSByteSize: 896 bytes/workgroup (compile time only)
; SGPRBlocks: 0
; VGPRBlocks: 2
; NumSGPRsForWavesPerEU: 26
; NumVGPRsForWavesPerEU: 18
; Occupancy: 16
; WaveLimiterHint : 0
; COMPUTE_PGM_RSRC2:SCRATCH_EN: 0
; COMPUTE_PGM_RSRC2:USER_SGPR: 2
; COMPUTE_PGM_RSRC2:TRAP_HANDLER: 0
; COMPUTE_PGM_RSRC2:TGID_X_EN: 1
; COMPUTE_PGM_RSRC2:TGID_Y_EN: 1
; COMPUTE_PGM_RSRC2:TGID_Z_EN: 1
; COMPUTE_PGM_RSRC2:TIDIG_COMP_CNT: 1
	.section	.text._ZL13mul_mat_vec_qIL9ggml_type2ELi2ELb0ELb0EEvPKvS2_PKi31ggml_cuda_mm_fusion_args_devicePfj15HIP_vector_typeIjLj3EEjjjS8_jjjS8_jjjj,"axG",@progbits,_ZL13mul_mat_vec_qIL9ggml_type2ELi2ELb0ELb0EEvPKvS2_PKi31ggml_cuda_mm_fusion_args_devicePfj15HIP_vector_typeIjLj3EEjjjS8_jjjS8_jjjj,comdat
	.globl	_ZL13mul_mat_vec_qIL9ggml_type2ELi2ELb0ELb0EEvPKvS2_PKi31ggml_cuda_mm_fusion_args_devicePfj15HIP_vector_typeIjLj3EEjjjS8_jjjS8_jjjj ; -- Begin function _ZL13mul_mat_vec_qIL9ggml_type2ELi2ELb0ELb0EEvPKvS2_PKi31ggml_cuda_mm_fusion_args_devicePfj15HIP_vector_typeIjLj3EEjjjS8_jjjS8_jjjj
	.p2align	8
	.type	_ZL13mul_mat_vec_qIL9ggml_type2ELi2ELb0ELb0EEvPKvS2_PKi31ggml_cuda_mm_fusion_args_devicePfj15HIP_vector_typeIjLj3EEjjjS8_jjjS8_jjjj,@function
_ZL13mul_mat_vec_qIL9ggml_type2ELi2ELb0ELb0EEvPKvS2_PKi31ggml_cuda_mm_fusion_args_devicePfj15HIP_vector_typeIjLj3EEjjjS8_jjjS8_jjjj: ; @_ZL13mul_mat_vec_qIL9ggml_type2ELi2ELb0ELb0EEvPKvS2_PKi31ggml_cuda_mm_fusion_args_devicePfj15HIP_vector_typeIjLj3EEjjjS8_jjjS8_jjjj
; %bb.0:
	v_bfe_u32 v4, v0, 10, 10
	s_clause 0x5
	s_load_b32 s2, s[0:1], 0x40
	s_load_b96 s[16:18], s[0:1], 0x80
	s_load_b128 s[4:7], s[0:1], 0x50
	s_load_b32 s23, s[0:1], 0x60
	s_load_b128 s[8:11], s[0:1], 0x68
	s_load_b32 s24, s[0:1], 0x78
	v_dual_mov_b32 v3, 0 :: v_dual_and_b32 v2, 0x3ff, v0
	v_lshlrev_b32_e32 v0, 5, v4
	s_and_b32 s19, ttmp7, 0xffff
	s_lshr_b32 s20, ttmp7, 16
	s_mov_b32 s22, exec_lo
	v_mov_b32_e32 v6, 0
	v_add_nc_u16 v0, v0, v2
	s_delay_alu instid0(VALU_DEP_1) | instskip(NEXT) | instid1(VALU_DEP_1)
	v_lshrrev_b16 v0, 1, v0
	v_and_b32_e32 v5, 0xffff, v0
	s_wait_kmcnt 0x0
	s_lshr_b32 s21, s2, 5
	s_delay_alu instid0(VALU_DEP_1) | instid1(SALU_CYCLE_1)
	v_cmpx_gt_u32_e64 s21, v5
	s_cbranch_execz .LBB17_4
; %bb.1:
	s_load_b128 s[12:15], s[0:1], 0x0
	v_lshlrev_b32_e32 v1, 1, v2
	v_dual_mov_b32 v3, 0 :: v_dual_and_b32 v6, 1, v2
	s_mul_i32 s2, s17, s20
	s_mov_b32 s3, 0
	s_mul_hi_u32 s7, s7, s19
	s_mul_hi_u32 s11, s11, s20
	s_mul_u64 s[26:27], s[2:3], 36
	s_mul_i32 s2, s9, s19
	s_add_co_i32 s7, s19, s7
	v_dual_mov_b32 v6, 0 :: v_dual_lshlrev_b32 v7, 3, v6
	v_and_b32_e32 v9, 2, v1
	s_add_co_i32 s9, s20, s11
	s_mul_u64 s[28:29], s[2:3], 36
	s_lshr_b32 s2, s7, s23
	v_and_b32_e32 v0, 0xffff, v0
	s_lshr_b32 s7, s9, s24
	s_mul_i32 s2, s2, s8
	s_wait_kmcnt 0x0
	s_add_nc_u64 s[8:9], s[14:15], s[26:27]
	v_lshlrev_b32_e32 v8, 1, v9
	s_add_nc_u64 s[8:9], s[8:9], s[28:29]
	s_mul_i32 s4, s4, ttmp9
	v_mad_co_u64_u32 v[0:1], null, v0, 36, s[8:9]
	s_delay_alu instid0(VALU_DEP_2) | instskip(SKIP_3) | instid1(SALU_CYCLE_1)
	v_lshlrev_b32_e32 v8, 1, v8
	v_lshlrev_b32_e32 v9, 2, v9
	s_mul_i32 s7, s7, s16
	s_add_co_i32 s2, s2, s4
	s_add_co_i32 s4, s7, s2
.LBB17_2:                               ; =>This Inner Loop Header: Depth=1
	s_delay_alu instid0(SALU_CYCLE_1)
	v_add_nc_u32_e32 v12, s4, v5
	v_add_nc_u32_e32 v14, s5, v5
	v_add_co_u32 v10, vcc_lo, v0, v7
	s_wait_alu 0xfffd
	v_add_co_ci_u32_e64 v11, null, 0, v1, vcc_lo
	v_mad_co_i64_i32 v[12:13], null, v12, 18, s[12:13]
	v_mad_co_u64_u32 v[14:15], null, v14, 36, s[8:9]
	v_add_nc_u32_e32 v5, 16, v5
	s_delay_alu instid0(VALU_DEP_3) | instskip(SKIP_1) | instid1(VALU_DEP_4)
	v_add_co_u32 v16, vcc_lo, v12, v8
	s_wait_alu 0xfffd
	v_add_co_ci_u32_e64 v17, null, 0, v13, vcc_lo
	s_delay_alu instid0(VALU_DEP_4)
	v_add_co_u32 v18, vcc_lo, v14, v9
	s_wait_alu 0xfffd
	v_add_co_ci_u32_e64 v19, null, 0, v15, vcc_lo
	global_load_b64 v[16:17], v[16:17], off offset:2
	global_load_b64 v[20:21], v[10:11], off offset:4
	;; [unrolled: 1-line block ×5, first 2 shown]
	global_load_b32 v24, v[0:1], off
	global_load_b32 v14, v[14:15], off
	global_load_u16 v12, v[12:13], off
	v_add_co_u32 v0, vcc_lo, 0x240, v0
	v_cmp_le_u32_e64 s2, s21, v5
	s_wait_alu 0xfffd
	v_add_co_ci_u32_e64 v1, null, 0, v1, vcc_lo
	s_or_b32 s3, s2, s3
	s_wait_loadcnt 0x7
	v_lshrrev_b32_e32 v13, 4, v16
	v_and_b32_e32 v15, 0xf0f0f0f, v16
	s_delay_alu instid0(VALU_DEP_2) | instskip(SKIP_1) | instid1(VALU_DEP_2)
	v_and_b32_e32 v13, 0xf0f0f0f, v13
	s_wait_loadcnt 0x6
	v_dot4_i32_iu8 v16, v15, v20, 0 neg_lo:[1,1,0]
	s_wait_loadcnt 0x5
	v_dot4_i32_iu8 v15, v15, v22, 0 neg_lo:[1,1,0]
	v_and_b32_e32 v20, 0xf0f0f0f, v17
	v_lshrrev_b32_e32 v17, 4, v17
	s_wait_loadcnt 0x4
	v_dot4_i32_iu8 v10, v13, v10, v16 neg_lo:[1,1,0]
	s_wait_loadcnt 0x3
	v_dot4_i32_iu8 v13, v13, v18, v15 neg_lo:[1,1,0]
	s_wait_loadcnt 0x2
	v_lshrrev_b32_e32 v15, 16, v24
	s_wait_loadcnt 0x1
	v_lshrrev_b32_e32 v16, 16, v14
	v_and_b32_e32 v17, 0xf0f0f0f, v17
	v_dot4_i32_iu8 v10, v20, v21, v10 neg_lo:[1,1,0]
	v_dot4_i32_iu8 v13, v20, v23, v13 neg_lo:[1,1,0]
	v_cvt_f32_f16_e32 v15, v15
	v_cvt_f32_f16_e32 v16, v16
	s_delay_alu instid0(VALU_DEP_4) | instskip(NEXT) | instid1(VALU_DEP_4)
	v_dot4_i32_iu8 v10, v17, v11, v10 neg_lo:[1,1,0]
	v_dot4_i32_iu8 v11, v17, v19, v13 neg_lo:[1,1,0]
	s_delay_alu instid0(VALU_DEP_4) | instskip(NEXT) | instid1(VALU_DEP_4)
	v_mul_f32_e32 v13, 4.0, v15
	v_mul_f32_e32 v15, 4.0, v16
	s_delay_alu instid0(VALU_DEP_4) | instskip(NEXT) | instid1(VALU_DEP_4)
	v_cvt_f32_i32_e32 v10, v10
	v_cvt_f32_i32_e32 v11, v11
	s_delay_alu instid0(VALU_DEP_2) | instskip(NEXT) | instid1(VALU_DEP_2)
	v_fma_mix_f32 v10, v10, v24, -v13 op_sel_hi:[0,1,0]
	v_fma_mix_f32 v11, v11, v14, -v15 op_sel_hi:[0,1,0]
	s_wait_loadcnt 0x0
	s_delay_alu instid0(VALU_DEP_2) | instskip(NEXT) | instid1(VALU_DEP_2)
	v_fma_mix_f32 v6, v10, v12, v6 op_sel_hi:[0,1,0]
	v_fma_mix_f32 v3, v11, v12, v3 op_sel_hi:[0,1,0]
	s_and_not1_b32 exec_lo, exec_lo, s3
	s_cbranch_execnz .LBB17_2
; %bb.3:
	s_or_b32 exec_lo, exec_lo, s3
.LBB17_4:
	s_delay_alu instid0(SALU_CYCLE_1)
	s_or_b32 exec_lo, exec_lo, s22
	s_mov_b32 s3, 0
	; wave barrier
	global_inv scope:SCOPE_SE
	s_mov_b32 s2, exec_lo
	v_cmpx_eq_u32_e32 0, v4
	s_cbranch_execz .LBB17_9
; %bb.5:
	v_mbcnt_lo_u32_b32 v7, -1, 0
	s_load_b64 s[0:1], s[0:1], 0x38
	s_mul_i32 s2, s10, s19
	s_mul_i32 s4, s18, s20
	s_add_co_i32 s2, s2, ttmp9
	v_xor_b32_e32 v0, 16, v7
	v_xor_b32_e32 v1, 8, v7
	s_wait_alu 0xfffe
	s_add_co_i32 s2, s2, s4
	s_delay_alu instid0(SALU_CYCLE_1)
	s_lshl_b64 s[2:3], s[2:3], 2
	v_cmp_gt_i32_e32 vcc_lo, 32, v0
	s_wait_alu 0xfffd
	v_cndmask_b32_e32 v0, v7, v0, vcc_lo
	v_cmp_gt_i32_e32 vcc_lo, 32, v1
	s_wait_alu 0xfffd
	v_cndmask_b32_e32 v1, v7, v1, vcc_lo
	s_wait_kmcnt 0x0
	s_add_nc_u64 s[0:1], s[0:1], s[2:3]
	s_delay_alu instid0(VALU_DEP_1)
	v_lshlrev_b32_e32 v1, 2, v1
	v_lshlrev_b32_e32 v0, 2, v0
	ds_bpermute_b32 v4, v0, v6
	s_wait_dscnt 0x0
	v_add_f32_e32 v5, v6, v4
	v_xor_b32_e32 v4, 4, v7
	ds_bpermute_b32 v6, v1, v5
	v_cmp_gt_i32_e32 vcc_lo, 32, v4
	s_wait_alu 0xfffd
	v_cndmask_b32_e32 v4, v7, v4, vcc_lo
	s_wait_dscnt 0x0
	v_add_f32_e32 v6, v5, v6
	v_xor_b32_e32 v5, 2, v7
	s_delay_alu instid0(VALU_DEP_1) | instskip(SKIP_2) | instid1(VALU_DEP_1)
	v_cmp_gt_i32_e32 vcc_lo, 32, v5
	s_wait_alu 0xfffd
	v_cndmask_b32_e32 v5, v7, v5, vcc_lo
	v_lshlrev_b32_e32 v5, 2, v5
	v_lshlrev_b32_e32 v4, 2, v4
	ds_bpermute_b32 v8, v4, v6
	s_wait_dscnt 0x0
	v_add_f32_e32 v8, v6, v8
	v_xor_b32_e32 v6, 1, v7
	ds_bpermute_b32 v9, v5, v8
	v_cmp_gt_i32_e32 vcc_lo, 32, v6
	s_wait_alu 0xfffd
	v_cndmask_b32_e32 v6, v7, v6, vcc_lo
	v_cmp_eq_u32_e32 vcc_lo, 0, v2
	s_wait_dscnt 0x0
	s_delay_alu instid0(VALU_DEP_2)
	v_dual_add_f32 v7, v8, v9 :: v_dual_lshlrev_b32 v6, 2, v6
	ds_bpermute_b32 v8, v6, v7
	s_and_saveexec_b32 s2, vcc_lo
	s_cbranch_execz .LBB17_7
; %bb.6:
	s_wait_dscnt 0x0
	v_dual_add_f32 v2, v7, v8 :: v_dual_mov_b32 v7, 0
	global_store_b32 v7, v2, s[0:1]
.LBB17_7:
	s_or_b32 exec_lo, exec_lo, s2
	ds_bpermute_b32 v0, v0, v3
	s_wait_dscnt 0x0
	v_add_f32_e32 v0, v3, v0
	ds_bpermute_b32 v1, v1, v0
	s_wait_dscnt 0x0
	v_add_f32_e32 v0, v0, v1
	;; [unrolled: 3-line block ×4, first 2 shown]
	ds_bpermute_b32 v1, v6, v0
	s_and_b32 exec_lo, exec_lo, vcc_lo
	s_cbranch_execz .LBB17_9
; %bb.8:
	s_mov_b32 s7, 0
	s_wait_dscnt 0x0
	v_dual_add_f32 v0, v0, v1 :: v_dual_mov_b32 v1, 0
	s_lshl_b64 s[2:3], s[6:7], 2
	s_delay_alu instid0(SALU_CYCLE_1)
	s_add_nc_u64 s[0:1], s[0:1], s[2:3]
	global_store_b32 v1, v0, s[0:1]
.LBB17_9:
	s_endpgm
	.section	.rodata,"a",@progbits
	.p2align	6, 0x0
	.amdhsa_kernel _ZL13mul_mat_vec_qIL9ggml_type2ELi2ELb0ELb0EEvPKvS2_PKi31ggml_cuda_mm_fusion_args_devicePfj15HIP_vector_typeIjLj3EEjjjS8_jjjS8_jjjj
		.amdhsa_group_segment_fixed_size 0
		.amdhsa_private_segment_fixed_size 0
		.amdhsa_kernarg_size 144
		.amdhsa_user_sgpr_count 2
		.amdhsa_user_sgpr_dispatch_ptr 0
		.amdhsa_user_sgpr_queue_ptr 0
		.amdhsa_user_sgpr_kernarg_segment_ptr 1
		.amdhsa_user_sgpr_dispatch_id 0
		.amdhsa_user_sgpr_private_segment_size 0
		.amdhsa_wavefront_size32 1
		.amdhsa_uses_dynamic_stack 0
		.amdhsa_enable_private_segment 0
		.amdhsa_system_sgpr_workgroup_id_x 1
		.amdhsa_system_sgpr_workgroup_id_y 1
		.amdhsa_system_sgpr_workgroup_id_z 1
		.amdhsa_system_sgpr_workgroup_info 0
		.amdhsa_system_vgpr_workitem_id 1
		.amdhsa_next_free_vgpr 25
		.amdhsa_next_free_sgpr 30
		.amdhsa_reserve_vcc 1
		.amdhsa_float_round_mode_32 0
		.amdhsa_float_round_mode_16_64 0
		.amdhsa_float_denorm_mode_32 3
		.amdhsa_float_denorm_mode_16_64 3
		.amdhsa_fp16_overflow 0
		.amdhsa_workgroup_processor_mode 1
		.amdhsa_memory_ordered 1
		.amdhsa_forward_progress 1
		.amdhsa_inst_pref_size 10
		.amdhsa_round_robin_scheduling 0
		.amdhsa_exception_fp_ieee_invalid_op 0
		.amdhsa_exception_fp_denorm_src 0
		.amdhsa_exception_fp_ieee_div_zero 0
		.amdhsa_exception_fp_ieee_overflow 0
		.amdhsa_exception_fp_ieee_underflow 0
		.amdhsa_exception_fp_ieee_inexact 0
		.amdhsa_exception_int_div_zero 0
	.end_amdhsa_kernel
	.section	.text._ZL13mul_mat_vec_qIL9ggml_type2ELi2ELb0ELb0EEvPKvS2_PKi31ggml_cuda_mm_fusion_args_devicePfj15HIP_vector_typeIjLj3EEjjjS8_jjjS8_jjjj,"axG",@progbits,_ZL13mul_mat_vec_qIL9ggml_type2ELi2ELb0ELb0EEvPKvS2_PKi31ggml_cuda_mm_fusion_args_devicePfj15HIP_vector_typeIjLj3EEjjjS8_jjjS8_jjjj,comdat
.Lfunc_end17:
	.size	_ZL13mul_mat_vec_qIL9ggml_type2ELi2ELb0ELb0EEvPKvS2_PKi31ggml_cuda_mm_fusion_args_devicePfj15HIP_vector_typeIjLj3EEjjjS8_jjjS8_jjjj, .Lfunc_end17-_ZL13mul_mat_vec_qIL9ggml_type2ELi2ELb0ELb0EEvPKvS2_PKi31ggml_cuda_mm_fusion_args_devicePfj15HIP_vector_typeIjLj3EEjjjS8_jjjS8_jjjj
                                        ; -- End function
	.set _ZL13mul_mat_vec_qIL9ggml_type2ELi2ELb0ELb0EEvPKvS2_PKi31ggml_cuda_mm_fusion_args_devicePfj15HIP_vector_typeIjLj3EEjjjS8_jjjS8_jjjj.num_vgpr, 25
	.set _ZL13mul_mat_vec_qIL9ggml_type2ELi2ELb0ELb0EEvPKvS2_PKi31ggml_cuda_mm_fusion_args_devicePfj15HIP_vector_typeIjLj3EEjjjS8_jjjS8_jjjj.num_agpr, 0
	.set _ZL13mul_mat_vec_qIL9ggml_type2ELi2ELb0ELb0EEvPKvS2_PKi31ggml_cuda_mm_fusion_args_devicePfj15HIP_vector_typeIjLj3EEjjjS8_jjjS8_jjjj.numbered_sgpr, 30
	.set _ZL13mul_mat_vec_qIL9ggml_type2ELi2ELb0ELb0EEvPKvS2_PKi31ggml_cuda_mm_fusion_args_devicePfj15HIP_vector_typeIjLj3EEjjjS8_jjjS8_jjjj.num_named_barrier, 0
	.set _ZL13mul_mat_vec_qIL9ggml_type2ELi2ELb0ELb0EEvPKvS2_PKi31ggml_cuda_mm_fusion_args_devicePfj15HIP_vector_typeIjLj3EEjjjS8_jjjS8_jjjj.private_seg_size, 0
	.set _ZL13mul_mat_vec_qIL9ggml_type2ELi2ELb0ELb0EEvPKvS2_PKi31ggml_cuda_mm_fusion_args_devicePfj15HIP_vector_typeIjLj3EEjjjS8_jjjS8_jjjj.uses_vcc, 1
	.set _ZL13mul_mat_vec_qIL9ggml_type2ELi2ELb0ELb0EEvPKvS2_PKi31ggml_cuda_mm_fusion_args_devicePfj15HIP_vector_typeIjLj3EEjjjS8_jjjS8_jjjj.uses_flat_scratch, 0
	.set _ZL13mul_mat_vec_qIL9ggml_type2ELi2ELb0ELb0EEvPKvS2_PKi31ggml_cuda_mm_fusion_args_devicePfj15HIP_vector_typeIjLj3EEjjjS8_jjjS8_jjjj.has_dyn_sized_stack, 0
	.set _ZL13mul_mat_vec_qIL9ggml_type2ELi2ELb0ELb0EEvPKvS2_PKi31ggml_cuda_mm_fusion_args_devicePfj15HIP_vector_typeIjLj3EEjjjS8_jjjS8_jjjj.has_recursion, 0
	.set _ZL13mul_mat_vec_qIL9ggml_type2ELi2ELb0ELb0EEvPKvS2_PKi31ggml_cuda_mm_fusion_args_devicePfj15HIP_vector_typeIjLj3EEjjjS8_jjjS8_jjjj.has_indirect_call, 0
	.section	.AMDGPU.csdata,"",@progbits
; Kernel info:
; codeLenInByte = 1192
; TotalNumSgprs: 32
; NumVgprs: 25
; ScratchSize: 0
; MemoryBound: 0
; FloatMode: 240
; IeeeMode: 1
; LDSByteSize: 0 bytes/workgroup (compile time only)
; SGPRBlocks: 0
; VGPRBlocks: 3
; NumSGPRsForWavesPerEU: 32
; NumVGPRsForWavesPerEU: 25
; Occupancy: 16
; WaveLimiterHint : 0
; COMPUTE_PGM_RSRC2:SCRATCH_EN: 0
; COMPUTE_PGM_RSRC2:USER_SGPR: 2
; COMPUTE_PGM_RSRC2:TRAP_HANDLER: 0
; COMPUTE_PGM_RSRC2:TGID_X_EN: 1
; COMPUTE_PGM_RSRC2:TGID_Y_EN: 1
; COMPUTE_PGM_RSRC2:TGID_Z_EN: 1
; COMPUTE_PGM_RSRC2:TIDIG_COMP_CNT: 1
	.section	.text._ZL13mul_mat_vec_qIL9ggml_type2ELi3ELb0ELb0EEvPKvS2_PKi31ggml_cuda_mm_fusion_args_devicePfj15HIP_vector_typeIjLj3EEjjjS8_jjjS8_jjjj,"axG",@progbits,_ZL13mul_mat_vec_qIL9ggml_type2ELi3ELb0ELb0EEvPKvS2_PKi31ggml_cuda_mm_fusion_args_devicePfj15HIP_vector_typeIjLj3EEjjjS8_jjjS8_jjjj,comdat
	.globl	_ZL13mul_mat_vec_qIL9ggml_type2ELi3ELb0ELb0EEvPKvS2_PKi31ggml_cuda_mm_fusion_args_devicePfj15HIP_vector_typeIjLj3EEjjjS8_jjjS8_jjjj ; -- Begin function _ZL13mul_mat_vec_qIL9ggml_type2ELi3ELb0ELb0EEvPKvS2_PKi31ggml_cuda_mm_fusion_args_devicePfj15HIP_vector_typeIjLj3EEjjjS8_jjjS8_jjjj
	.p2align	8
	.type	_ZL13mul_mat_vec_qIL9ggml_type2ELi3ELb0ELb0EEvPKvS2_PKi31ggml_cuda_mm_fusion_args_devicePfj15HIP_vector_typeIjLj3EEjjjS8_jjjS8_jjjj,@function
_ZL13mul_mat_vec_qIL9ggml_type2ELi3ELb0ELb0EEvPKvS2_PKi31ggml_cuda_mm_fusion_args_devicePfj15HIP_vector_typeIjLj3EEjjjS8_jjjS8_jjjj: ; @_ZL13mul_mat_vec_qIL9ggml_type2ELi3ELb0ELb0EEvPKvS2_PKi31ggml_cuda_mm_fusion_args_devicePfj15HIP_vector_typeIjLj3EEjjjS8_jjjS8_jjjj
; %bb.0:
	v_bfe_u32 v5, v0, 10, 10
	s_clause 0x5
	s_load_b32 s2, s[0:1], 0x40
	s_load_b96 s[16:18], s[0:1], 0x80
	s_load_b128 s[4:7], s[0:1], 0x50
	s_load_b32 s23, s[0:1], 0x60
	s_load_b128 s[8:11], s[0:1], 0x68
	s_load_b32 s24, s[0:1], 0x78
	v_dual_mov_b32 v3, 0 :: v_dual_and_b32 v2, 0x3ff, v0
	v_dual_mov_b32 v7, 0 :: v_dual_lshlrev_b32 v0, 5, v5
	v_mov_b32_e32 v4, 0
	s_and_b32 s19, ttmp7, 0xffff
	s_lshr_b32 s20, ttmp7, 16
	s_delay_alu instid0(VALU_DEP_2) | instskip(SKIP_1) | instid1(VALU_DEP_1)
	v_add_nc_u16 v0, v0, v2
	s_mov_b32 s21, exec_lo
	v_lshrrev_b16 v0, 1, v0
	s_delay_alu instid0(VALU_DEP_1)
	v_and_b32_e32 v6, 0xffff, v0
	s_wait_kmcnt 0x0
	s_lshr_b32 s22, s2, 5
	s_delay_alu instid0(VALU_DEP_1) | instid1(SALU_CYCLE_1)
	v_cmpx_gt_u32_e64 s22, v6
	s_cbranch_execz .LBB18_4
; %bb.1:
	s_load_b128 s[12:15], s[0:1], 0x0
	v_lshlrev_b32_e32 v1, 1, v2
	v_dual_mov_b32 v3, 0 :: v_dual_and_b32 v4, 1, v2
	s_mul_i32 s2, s17, s20
	s_mov_b32 s3, 0
	s_mul_hi_u32 s7, s7, s19
	s_mul_hi_u32 s11, s11, s20
	s_mul_u64 s[26:27], s[2:3], 36
	s_mul_i32 s2, s9, s19
	s_add_co_i32 s7, s19, s7
	v_lshlrev_b32_e32 v8, 3, v4
	v_dual_mov_b32 v4, 0 :: v_dual_and_b32 v7, 2, v1
	s_add_co_i32 s9, s20, s11
	s_mul_u64 s[28:29], s[2:3], 36
	s_lshr_b32 s2, s7, s23
	v_and_b32_e32 v0, 0xffff, v0
	s_lshr_b32 s7, s9, s24
	s_mul_i32 s2, s2, s8
	s_wait_kmcnt 0x0
	s_add_nc_u64 s[8:9], s[14:15], s[26:27]
	v_lshlrev_b32_e32 v9, 1, v7
	s_add_nc_u64 s[8:9], s[8:9], s[28:29]
	v_dual_mov_b32 v7, 0 :: v_dual_lshlrev_b32 v10, 2, v7
	v_mad_co_u64_u32 v[0:1], null, v0, 36, s[8:9]
	s_mul_i32 s4, s4, ttmp9
	v_lshlrev_b32_e32 v9, 1, v9
	s_mul_i32 s7, s7, s16
	s_add_co_i32 s2, s2, s4
	s_lshl_b32 s4, s5, 1
	s_add_co_i32 s2, s7, s2
.LBB18_2:                               ; =>This Inner Loop Header: Depth=1
	s_delay_alu instid0(SALU_CYCLE_1)
	v_add_nc_u32_e32 v13, s2, v6
	v_add_nc_u32_e32 v17, s4, v6
	global_load_b32 v31, v[0:1], off
	v_add_nc_u32_e32 v19, s5, v6
	v_add_co_u32 v11, vcc_lo, v0, v8
	v_mad_co_i64_i32 v[13:14], null, v13, 18, s[12:13]
	v_mad_co_u64_u32 v[17:18], null, v17, 36, s[8:9]
	s_delay_alu instid0(VALU_DEP_4) | instskip(SKIP_2) | instid1(VALU_DEP_4)
	v_mad_co_u64_u32 v[19:20], null, v19, 36, s[8:9]
	s_wait_alu 0xfffd
	v_add_co_ci_u32_e64 v12, null, 0, v1, vcc_lo
	v_add_co_u32 v21, vcc_lo, v13, v9
	s_wait_alu 0xfffd
	v_add_co_ci_u32_e64 v22, null, 0, v14, vcc_lo
	v_add_co_u32 v23, vcc_lo, v17, v10
	;; [unrolled: 3-line block ×3, first 2 shown]
	s_wait_alu 0xfffd
	v_add_co_ci_u32_e64 v26, null, 0, v20, vcc_lo
	s_clause 0x1
	global_load_b64 v[15:16], v[11:12], off offset:4
	global_load_b64 v[11:12], v[11:12], off offset:20
	global_load_b64 v[21:22], v[21:22], off offset:2
	s_clause 0x5
	global_load_b64 v[27:28], v[23:24], off offset:4
	global_load_b64 v[23:24], v[23:24], off offset:20
	;; [unrolled: 1-line block ×4, first 2 shown]
	global_load_b32 v17, v[17:18], off
	global_load_b32 v18, v[19:20], off
	global_load_u16 v13, v[13:14], off
	v_add_co_u32 v0, vcc_lo, 0x240, v0
	s_wait_alu 0xfffd
	v_add_co_ci_u32_e64 v1, null, 0, v1, vcc_lo
	s_wait_loadcnt 0xa
	v_lshrrev_b32_e32 v14, 16, v31
	s_delay_alu instid0(VALU_DEP_1) | instskip(SKIP_1) | instid1(VALU_DEP_1)
	v_cvt_f32_f16_e32 v14, v14
	s_wait_loadcnt 0x7
	v_dual_mul_f32 v14, 4.0, v14 :: v_dual_and_b32 v19, 0xf0f0f0f, v21
	v_lshrrev_b32_e32 v20, 4, v21
	v_and_b32_e32 v21, 0xf0f0f0f, v22
	v_lshrrev_b32_e32 v22, 4, v22
	s_delay_alu instid0(VALU_DEP_4) | instskip(NEXT) | instid1(VALU_DEP_4)
	v_dot4_i32_iu8 v15, v19, v15, 0 neg_lo:[1,1,0]
	v_and_b32_e32 v20, 0xf0f0f0f, v20
	s_wait_loadcnt 0x4
	v_dot4_i32_iu8 v29, v19, v29, 0 neg_lo:[1,1,0]
	v_dot4_i32_iu8 v19, v19, v27, 0 neg_lo:[1,1,0]
	s_wait_loadcnt 0x1
	v_lshrrev_b32_e32 v32, 16, v18
	v_lshrrev_b32_e32 v33, 16, v17
	v_dot4_i32_iu8 v11, v20, v11, v15 neg_lo:[1,1,0]
	v_dot4_i32_iu8 v15, v20, v25, v29 neg_lo:[1,1,0]
	;; [unrolled: 1-line block ×3, first 2 shown]
	v_and_b32_e32 v22, 0xf0f0f0f, v22
	v_cvt_f32_f16_e32 v27, v32
	v_dot4_i32_iu8 v11, v21, v16, v11 neg_lo:[1,1,0]
	v_dot4_i32_iu8 v15, v21, v30, v15 neg_lo:[1,1,0]
	v_dot4_i32_iu8 v16, v21, v28, v19 neg_lo:[1,1,0]
	v_cvt_f32_f16_e32 v20, v33
	v_dual_mul_f32 v19, 4.0, v27 :: v_dual_add_nc_u32 v6, 16, v6
	v_dot4_i32_iu8 v11, v22, v12, v11 neg_lo:[1,1,0]
	v_dot4_i32_iu8 v12, v22, v26, v15 neg_lo:[1,1,0]
	;; [unrolled: 1-line block ×3, first 2 shown]
	v_mul_f32_e32 v16, 4.0, v20
	v_cmp_le_u32_e32 vcc_lo, s22, v6
	v_cvt_f32_i32_e32 v11, v11
	v_cvt_f32_i32_e32 v12, v12
	;; [unrolled: 1-line block ×3, first 2 shown]
	s_or_b32 s3, vcc_lo, s3
	s_delay_alu instid0(VALU_DEP_3) | instskip(NEXT) | instid1(VALU_DEP_3)
	v_fma_mix_f32 v11, v11, v31, -v14 op_sel_hi:[0,1,0]
	v_fma_mix_f32 v12, v12, v18, -v19 op_sel_hi:[0,1,0]
	s_delay_alu instid0(VALU_DEP_3) | instskip(SKIP_1) | instid1(VALU_DEP_3)
	v_fma_mix_f32 v14, v15, v17, -v16 op_sel_hi:[0,1,0]
	s_wait_loadcnt 0x0
	v_fma_mix_f32 v7, v11, v13, v7 op_sel_hi:[0,1,0]
	s_delay_alu instid0(VALU_DEP_3) | instskip(NEXT) | instid1(VALU_DEP_3)
	v_fma_mix_f32 v4, v12, v13, v4 op_sel_hi:[0,1,0]
	v_fma_mix_f32 v3, v14, v13, v3 op_sel_hi:[0,1,0]
	s_wait_alu 0xfffe
	s_and_not1_b32 exec_lo, exec_lo, s3
	s_cbranch_execnz .LBB18_2
; %bb.3:
	s_or_b32 exec_lo, exec_lo, s3
.LBB18_4:
	s_delay_alu instid0(SALU_CYCLE_1)
	s_or_b32 exec_lo, exec_lo, s21
	s_mov_b32 s3, 0
	; wave barrier
	global_inv scope:SCOPE_SE
	s_mov_b32 s2, exec_lo
	v_cmpx_eq_u32_e32 0, v5
	s_cbranch_execz .LBB18_11
; %bb.5:
	v_mbcnt_lo_u32_b32 v8, -1, 0
	s_load_b64 s[0:1], s[0:1], 0x38
	s_mul_i32 s2, s10, s19
	s_mul_i32 s4, s18, s20
	s_wait_alu 0xfffe
	s_add_co_i32 s2, s2, ttmp9
	v_xor_b32_e32 v0, 16, v8
	v_xor_b32_e32 v1, 8, v8
	s_wait_alu 0xfffe
	s_add_co_i32 s2, s2, s4
	s_wait_alu 0xfffe
	s_lshl_b64 s[2:3], s[2:3], 2
	v_cmp_gt_i32_e32 vcc_lo, 32, v0
	s_wait_alu 0xfffd
	v_cndmask_b32_e32 v0, v8, v0, vcc_lo
	v_cmp_gt_i32_e32 vcc_lo, 32, v1
	s_wait_alu 0xfffd
	v_cndmask_b32_e32 v1, v8, v1, vcc_lo
	s_wait_kmcnt 0x0
	s_wait_alu 0xfffe
	s_add_nc_u64 s[0:1], s[0:1], s[2:3]
	s_delay_alu instid0(VALU_DEP_1)
	v_lshlrev_b32_e32 v1, 2, v1
	v_lshlrev_b32_e32 v0, 2, v0
	ds_bpermute_b32 v5, v0, v7
	s_wait_dscnt 0x0
	v_add_f32_e32 v6, v7, v5
	v_xor_b32_e32 v5, 4, v8
	ds_bpermute_b32 v7, v1, v6
	v_cmp_gt_i32_e32 vcc_lo, 32, v5
	s_wait_alu 0xfffd
	v_cndmask_b32_e32 v5, v8, v5, vcc_lo
	s_wait_dscnt 0x0
	v_add_f32_e32 v7, v6, v7
	v_xor_b32_e32 v6, 2, v8
	s_delay_alu instid0(VALU_DEP_1)
	v_cmp_gt_i32_e32 vcc_lo, 32, v6
	s_wait_alu 0xfffd
	v_dual_cndmask_b32 v6, v8, v6 :: v_dual_lshlrev_b32 v5, 2, v5
	ds_bpermute_b32 v9, v5, v7
	s_wait_dscnt 0x0
	v_dual_add_f32 v9, v7, v9 :: v_dual_lshlrev_b32 v6, 2, v6
	v_xor_b32_e32 v7, 1, v8
	ds_bpermute_b32 v10, v6, v9
	v_cmp_gt_i32_e32 vcc_lo, 32, v7
	s_wait_alu 0xfffd
	v_cndmask_b32_e32 v7, v8, v7, vcc_lo
	v_cmp_eq_u32_e32 vcc_lo, 0, v2
	s_wait_dscnt 0x0
	s_delay_alu instid0(VALU_DEP_2)
	v_dual_add_f32 v8, v9, v10 :: v_dual_lshlrev_b32 v7, 2, v7
	ds_bpermute_b32 v9, v7, v8
	s_and_saveexec_b32 s2, vcc_lo
	s_cbranch_execz .LBB18_7
; %bb.6:
	s_wait_dscnt 0x0
	v_add_f32_e32 v2, v8, v9
	v_mov_b32_e32 v8, 0
	global_store_b32 v8, v2, s[0:1]
.LBB18_7:
	s_wait_alu 0xfffe
	s_or_b32 exec_lo, exec_lo, s2
	ds_bpermute_b32 v2, v0, v4
	s_wait_dscnt 0x0
	v_add_f32_e32 v2, v4, v2
	ds_bpermute_b32 v4, v1, v2
	s_wait_dscnt 0x0
	v_add_f32_e32 v2, v2, v4
	;; [unrolled: 3-line block ×4, first 2 shown]
	ds_bpermute_b32 v4, v7, v2
	s_and_saveexec_b32 s2, vcc_lo
	s_cbranch_execz .LBB18_9
; %bb.8:
	s_mov_b32 s7, 0
	s_wait_dscnt 0x0
	v_add_f32_e32 v2, v2, v4
	v_mov_b32_e32 v4, 0
	s_lshl_b64 s[4:5], s[6:7], 2
	s_wait_alu 0xfffe
	s_add_nc_u64 s[4:5], s[0:1], s[4:5]
	global_store_b32 v4, v2, s[4:5]
.LBB18_9:
	s_wait_alu 0xfffe
	s_or_b32 exec_lo, exec_lo, s2
	ds_bpermute_b32 v0, v0, v3
	s_wait_dscnt 0x0
	v_add_f32_e32 v0, v3, v0
	ds_bpermute_b32 v1, v1, v0
	s_wait_dscnt 0x0
	v_add_f32_e32 v0, v0, v1
	;; [unrolled: 3-line block ×4, first 2 shown]
	ds_bpermute_b32 v1, v7, v0
	s_and_b32 exec_lo, exec_lo, vcc_lo
	s_cbranch_execz .LBB18_11
; %bb.10:
	s_lshl_b32 s2, s6, 1
	s_mov_b32 s3, 0
	s_wait_dscnt 0x0
	v_dual_add_f32 v0, v0, v1 :: v_dual_mov_b32 v1, 0
	s_wait_alu 0xfffe
	s_lshl_b64 s[2:3], s[2:3], 2
	s_wait_alu 0xfffe
	s_add_nc_u64 s[0:1], s[0:1], s[2:3]
	global_store_b32 v1, v0, s[0:1]
.LBB18_11:
	s_endpgm
	.section	.rodata,"a",@progbits
	.p2align	6, 0x0
	.amdhsa_kernel _ZL13mul_mat_vec_qIL9ggml_type2ELi3ELb0ELb0EEvPKvS2_PKi31ggml_cuda_mm_fusion_args_devicePfj15HIP_vector_typeIjLj3EEjjjS8_jjjS8_jjjj
		.amdhsa_group_segment_fixed_size 0
		.amdhsa_private_segment_fixed_size 0
		.amdhsa_kernarg_size 144
		.amdhsa_user_sgpr_count 2
		.amdhsa_user_sgpr_dispatch_ptr 0
		.amdhsa_user_sgpr_queue_ptr 0
		.amdhsa_user_sgpr_kernarg_segment_ptr 1
		.amdhsa_user_sgpr_dispatch_id 0
		.amdhsa_user_sgpr_private_segment_size 0
		.amdhsa_wavefront_size32 1
		.amdhsa_uses_dynamic_stack 0
		.amdhsa_enable_private_segment 0
		.amdhsa_system_sgpr_workgroup_id_x 1
		.amdhsa_system_sgpr_workgroup_id_y 1
		.amdhsa_system_sgpr_workgroup_id_z 1
		.amdhsa_system_sgpr_workgroup_info 0
		.amdhsa_system_vgpr_workitem_id 1
		.amdhsa_next_free_vgpr 34
		.amdhsa_next_free_sgpr 30
		.amdhsa_reserve_vcc 1
		.amdhsa_float_round_mode_32 0
		.amdhsa_float_round_mode_16_64 0
		.amdhsa_float_denorm_mode_32 3
		.amdhsa_float_denorm_mode_16_64 3
		.amdhsa_fp16_overflow 0
		.amdhsa_workgroup_processor_mode 1
		.amdhsa_memory_ordered 1
		.amdhsa_forward_progress 1
		.amdhsa_inst_pref_size 12
		.amdhsa_round_robin_scheduling 0
		.amdhsa_exception_fp_ieee_invalid_op 0
		.amdhsa_exception_fp_denorm_src 0
		.amdhsa_exception_fp_ieee_div_zero 0
		.amdhsa_exception_fp_ieee_overflow 0
		.amdhsa_exception_fp_ieee_underflow 0
		.amdhsa_exception_fp_ieee_inexact 0
		.amdhsa_exception_int_div_zero 0
	.end_amdhsa_kernel
	.section	.text._ZL13mul_mat_vec_qIL9ggml_type2ELi3ELb0ELb0EEvPKvS2_PKi31ggml_cuda_mm_fusion_args_devicePfj15HIP_vector_typeIjLj3EEjjjS8_jjjS8_jjjj,"axG",@progbits,_ZL13mul_mat_vec_qIL9ggml_type2ELi3ELb0ELb0EEvPKvS2_PKi31ggml_cuda_mm_fusion_args_devicePfj15HIP_vector_typeIjLj3EEjjjS8_jjjS8_jjjj,comdat
.Lfunc_end18:
	.size	_ZL13mul_mat_vec_qIL9ggml_type2ELi3ELb0ELb0EEvPKvS2_PKi31ggml_cuda_mm_fusion_args_devicePfj15HIP_vector_typeIjLj3EEjjjS8_jjjS8_jjjj, .Lfunc_end18-_ZL13mul_mat_vec_qIL9ggml_type2ELi3ELb0ELb0EEvPKvS2_PKi31ggml_cuda_mm_fusion_args_devicePfj15HIP_vector_typeIjLj3EEjjjS8_jjjS8_jjjj
                                        ; -- End function
	.set _ZL13mul_mat_vec_qIL9ggml_type2ELi3ELb0ELb0EEvPKvS2_PKi31ggml_cuda_mm_fusion_args_devicePfj15HIP_vector_typeIjLj3EEjjjS8_jjjS8_jjjj.num_vgpr, 34
	.set _ZL13mul_mat_vec_qIL9ggml_type2ELi3ELb0ELb0EEvPKvS2_PKi31ggml_cuda_mm_fusion_args_devicePfj15HIP_vector_typeIjLj3EEjjjS8_jjjS8_jjjj.num_agpr, 0
	.set _ZL13mul_mat_vec_qIL9ggml_type2ELi3ELb0ELb0EEvPKvS2_PKi31ggml_cuda_mm_fusion_args_devicePfj15HIP_vector_typeIjLj3EEjjjS8_jjjS8_jjjj.numbered_sgpr, 30
	.set _ZL13mul_mat_vec_qIL9ggml_type2ELi3ELb0ELb0EEvPKvS2_PKi31ggml_cuda_mm_fusion_args_devicePfj15HIP_vector_typeIjLj3EEjjjS8_jjjS8_jjjj.num_named_barrier, 0
	.set _ZL13mul_mat_vec_qIL9ggml_type2ELi3ELb0ELb0EEvPKvS2_PKi31ggml_cuda_mm_fusion_args_devicePfj15HIP_vector_typeIjLj3EEjjjS8_jjjS8_jjjj.private_seg_size, 0
	.set _ZL13mul_mat_vec_qIL9ggml_type2ELi3ELb0ELb0EEvPKvS2_PKi31ggml_cuda_mm_fusion_args_devicePfj15HIP_vector_typeIjLj3EEjjjS8_jjjS8_jjjj.uses_vcc, 1
	.set _ZL13mul_mat_vec_qIL9ggml_type2ELi3ELb0ELb0EEvPKvS2_PKi31ggml_cuda_mm_fusion_args_devicePfj15HIP_vector_typeIjLj3EEjjjS8_jjjS8_jjjj.uses_flat_scratch, 0
	.set _ZL13mul_mat_vec_qIL9ggml_type2ELi3ELb0ELb0EEvPKvS2_PKi31ggml_cuda_mm_fusion_args_devicePfj15HIP_vector_typeIjLj3EEjjjS8_jjjS8_jjjj.has_dyn_sized_stack, 0
	.set _ZL13mul_mat_vec_qIL9ggml_type2ELi3ELb0ELb0EEvPKvS2_PKi31ggml_cuda_mm_fusion_args_devicePfj15HIP_vector_typeIjLj3EEjjjS8_jjjS8_jjjj.has_recursion, 0
	.set _ZL13mul_mat_vec_qIL9ggml_type2ELi3ELb0ELb0EEvPKvS2_PKi31ggml_cuda_mm_fusion_args_devicePfj15HIP_vector_typeIjLj3EEjjjS8_jjjS8_jjjj.has_indirect_call, 0
	.section	.AMDGPU.csdata,"",@progbits
; Kernel info:
; codeLenInByte = 1472
; TotalNumSgprs: 32
; NumVgprs: 34
; ScratchSize: 0
; MemoryBound: 0
; FloatMode: 240
; IeeeMode: 1
; LDSByteSize: 0 bytes/workgroup (compile time only)
; SGPRBlocks: 0
; VGPRBlocks: 4
; NumSGPRsForWavesPerEU: 32
; NumVGPRsForWavesPerEU: 34
; Occupancy: 16
; WaveLimiterHint : 0
; COMPUTE_PGM_RSRC2:SCRATCH_EN: 0
; COMPUTE_PGM_RSRC2:USER_SGPR: 2
; COMPUTE_PGM_RSRC2:TRAP_HANDLER: 0
; COMPUTE_PGM_RSRC2:TGID_X_EN: 1
; COMPUTE_PGM_RSRC2:TGID_Y_EN: 1
; COMPUTE_PGM_RSRC2:TGID_Z_EN: 1
; COMPUTE_PGM_RSRC2:TIDIG_COMP_CNT: 1
	.section	.text._ZL13mul_mat_vec_qIL9ggml_type2ELi4ELb0ELb0EEvPKvS2_PKi31ggml_cuda_mm_fusion_args_devicePfj15HIP_vector_typeIjLj3EEjjjS8_jjjS8_jjjj,"axG",@progbits,_ZL13mul_mat_vec_qIL9ggml_type2ELi4ELb0ELb0EEvPKvS2_PKi31ggml_cuda_mm_fusion_args_devicePfj15HIP_vector_typeIjLj3EEjjjS8_jjjS8_jjjj,comdat
	.globl	_ZL13mul_mat_vec_qIL9ggml_type2ELi4ELb0ELb0EEvPKvS2_PKi31ggml_cuda_mm_fusion_args_devicePfj15HIP_vector_typeIjLj3EEjjjS8_jjjS8_jjjj ; -- Begin function _ZL13mul_mat_vec_qIL9ggml_type2ELi4ELb0ELb0EEvPKvS2_PKi31ggml_cuda_mm_fusion_args_devicePfj15HIP_vector_typeIjLj3EEjjjS8_jjjS8_jjjj
	.p2align	8
	.type	_ZL13mul_mat_vec_qIL9ggml_type2ELi4ELb0ELb0EEvPKvS2_PKi31ggml_cuda_mm_fusion_args_devicePfj15HIP_vector_typeIjLj3EEjjjS8_jjjS8_jjjj,@function
_ZL13mul_mat_vec_qIL9ggml_type2ELi4ELb0ELb0EEvPKvS2_PKi31ggml_cuda_mm_fusion_args_devicePfj15HIP_vector_typeIjLj3EEjjjS8_jjjS8_jjjj: ; @_ZL13mul_mat_vec_qIL9ggml_type2ELi4ELb0ELb0EEvPKvS2_PKi31ggml_cuda_mm_fusion_args_devicePfj15HIP_vector_typeIjLj3EEjjjS8_jjjS8_jjjj
; %bb.0:
	v_bfe_u32 v6, v0, 10, 10
	s_clause 0x5
	s_load_b32 s2, s[0:1], 0x40
	s_load_b96 s[16:18], s[0:1], 0x80
	s_load_b128 s[4:7], s[0:1], 0x50
	s_load_b32 s23, s[0:1], 0x60
	s_load_b128 s[8:11], s[0:1], 0x68
	s_load_b32 s24, s[0:1], 0x78
	v_dual_mov_b32 v2, 0 :: v_dual_and_b32 v3, 0x3ff, v0
	v_dual_mov_b32 v5, 0 :: v_dual_lshlrev_b32 v0, 5, v6
	v_mov_b32_e32 v8, 0
	s_and_b32 s19, ttmp7, 0xffff
	s_lshr_b32 s20, ttmp7, 16
	s_delay_alu instid0(VALU_DEP_2) | instskip(SKIP_2) | instid1(VALU_DEP_2)
	v_add_nc_u16 v0, v0, v3
	s_mov_b32 s21, exec_lo
	v_mov_b32_e32 v4, 0
	v_lshrrev_b16 v0, 1, v0
	s_delay_alu instid0(VALU_DEP_1)
	v_and_b32_e32 v7, 0xffff, v0
	s_wait_kmcnt 0x0
	s_lshr_b32 s22, s2, 5
	s_delay_alu instid0(VALU_DEP_1) | instid1(SALU_CYCLE_1)
	v_cmpx_gt_u32_e64 s22, v7
	s_cbranch_execz .LBB19_4
; %bb.1:
	s_load_b128 s[12:15], s[0:1], 0x0
	v_dual_mov_b32 v2, 0 :: v_dual_lshlrev_b32 v1, 1, v3
	s_mul_i32 s2, s17, s20
	s_mov_b32 s3, 0
	s_mul_hi_u32 s7, s7, s19
	s_mul_hi_u32 s11, s11, s20
	s_mul_u64 s[26:27], s[2:3], 36
	s_mul_i32 s2, s9, s19
	s_add_co_i32 s7, s19, s7
	v_and_b32_e32 v5, 2, v1
	s_add_co_i32 s9, s20, s11
	s_mul_u64 s[28:29], s[2:3], 36
	s_lshr_b32 s2, s7, s23
	v_and_b32_e32 v0, 0xffff, v0
	s_lshr_b32 s7, s9, s24
	s_mul_i32 s2, s2, s8
	v_and_b32_e32 v4, 1, v3
	v_lshlrev_b32_e32 v8, 1, v5
	s_mul_i32 s4, s4, ttmp9
	s_wait_kmcnt 0x0
	s_add_nc_u64 s[8:9], s[14:15], s[26:27]
	v_lshlrev_b32_e32 v11, 2, v5
	s_add_nc_u64 s[8:9], s[8:9], s[28:29]
	v_lshlrev_b32_e32 v10, 1, v8
	v_mad_co_u64_u32 v[0:1], null, v0, 36, s[8:9]
	v_dual_mov_b32 v8, 0 :: v_dual_mov_b32 v5, 0
	v_dual_mov_b32 v4, 0 :: v_dual_lshlrev_b32 v9, 3, v4
	s_mul_i32 s7, s7, s16
	s_add_co_i32 s2, s2, s4
	s_lshl_b32 s4, s5, 1
	s_add_co_i32 s2, s7, s2
	s_mul_i32 s7, s5, 3
.LBB19_2:                               ; =>This Inner Loop Header: Depth=1
	v_add_nc_u32_e32 v14, s2, v7
	v_add_nc_u32_e32 v18, s5, v7
	;; [unrolled: 1-line block ×4, first 2 shown]
	v_add_co_u32 v12, vcc_lo, v0, v9
	v_mad_co_i64_i32 v[14:15], null, v14, 18, s[12:13]
	v_mad_co_u64_u32 v[18:19], null, v18, 36, s[8:9]
	v_mad_co_u64_u32 v[20:21], null, v20, 36, s[8:9]
	v_mad_co_u64_u32 v[22:23], null, v22, 36, s[8:9]
	s_wait_alu 0xfffd
	v_add_co_ci_u32_e64 v13, null, 0, v1, vcc_lo
	v_add_co_u32 v24, vcc_lo, v14, v10
	global_load_b32 v34, v[0:1], off
	s_wait_alu 0xfffd
	v_add_co_ci_u32_e64 v25, null, 0, v15, vcc_lo
	v_add_co_u32 v26, vcc_lo, v18, v11
	s_wait_alu 0xfffd
	v_add_co_ci_u32_e64 v27, null, 0, v19, vcc_lo
	v_add_co_u32 v28, vcc_lo, v20, v11
	s_wait_alu 0xfffd
	v_add_co_ci_u32_e64 v29, null, 0, v21, vcc_lo
	v_add_co_u32 v30, vcc_lo, v22, v11
	s_wait_alu 0xfffd
	v_add_co_ci_u32_e64 v31, null, 0, v23, vcc_lo
	s_clause 0x1
	global_load_b64 v[16:17], v[12:13], off offset:4
	global_load_b64 v[12:13], v[12:13], off offset:20
	;; [unrolled: 1-line block ×3, first 2 shown]
	s_clause 0x8
	global_load_b64 v[32:33], v[26:27], off offset:4
	global_load_b64 v[26:27], v[26:27], off offset:20
	global_load_b32 v35, v[20:21], off
	global_load_b32 v36, v[18:19], off
	global_load_b64 v[18:19], v[30:31], off offset:20
	global_load_b64 v[20:21], v[28:29], off offset:4
	;; [unrolled: 1-line block ×4, first 2 shown]
	global_load_b32 v22, v[22:23], off
	global_load_u16 v14, v[14:15], off
	v_add_co_u32 v0, vcc_lo, 0x240, v0
	s_wait_alu 0xfffd
	v_add_co_ci_u32_e64 v1, null, 0, v1, vcc_lo
	s_wait_loadcnt 0xd
	v_lshrrev_b32_e32 v15, 16, v34
	s_delay_alu instid0(VALU_DEP_1)
	v_cvt_f32_f16_e32 v15, v15
	s_wait_loadcnt 0xa
	v_and_b32_e32 v37, 0xf0f0f0f, v25
	v_lshrrev_b32_e32 v25, 4, v25
	s_wait_loadcnt 0x7
	v_lshrrev_b32_e32 v39, 16, v35
	s_wait_loadcnt 0x6
	v_lshrrev_b32_e32 v38, 16, v36
	v_and_b32_e32 v25, 0xf0f0f0f, v25
	s_delay_alu instid0(VALU_DEP_3)
	v_cvt_f32_f16_e32 v39, v39
	v_and_b32_e32 v23, 0xf0f0f0f, v24
	v_lshrrev_b32_e32 v24, 4, v24
	v_mul_f32_e32 v15, 4.0, v15
	s_wait_loadcnt 0x1
	v_lshrrev_b32_e32 v40, 16, v22
	v_cvt_f32_f16_e32 v38, v38
	v_dot4_i32_iu8 v20, v23, v20, 0 neg_lo:[1,1,0]
	v_and_b32_e32 v24, 0xf0f0f0f, v24
	v_add_nc_u32_e32 v7, 16, v7
	s_delay_alu instid0(VALU_DEP_2)
	v_dot4_i32_iu8 v20, v24, v28, v20 neg_lo:[1,1,0]
	v_mul_f32_e32 v28, 4.0, v39
	v_dot4_i32_iu8 v16, v23, v16, 0 neg_lo:[1,1,0]
	v_dot4_i32_iu8 v32, v23, v32, 0 neg_lo:[1,1,0]
	;; [unrolled: 1-line block ×3, first 2 shown]
	v_cvt_f32_f16_e32 v30, v40
	s_delay_alu instid0(VALU_DEP_4) | instskip(NEXT) | instid1(VALU_DEP_4)
	v_dot4_i32_iu8 v12, v24, v12, v16 neg_lo:[1,1,0]
	v_dot4_i32_iu8 v16, v24, v26, v32 neg_lo:[1,1,0]
	s_delay_alu instid0(VALU_DEP_4)
	v_dot4_i32_iu8 v18, v24, v18, v23 neg_lo:[1,1,0]
	v_mul_f32_e32 v26, 4.0, v38
	v_mul_f32_e32 v23, 4.0, v30
	v_dot4_i32_iu8 v12, v37, v17, v12 neg_lo:[1,1,0]
	v_dot4_i32_iu8 v16, v37, v33, v16 neg_lo:[1,1,0]
	;; [unrolled: 1-line block ×4, first 2 shown]
	v_cmp_le_u32_e32 vcc_lo, s22, v7
	v_dot4_i32_iu8 v12, v25, v13, v12 neg_lo:[1,1,0]
	v_dot4_i32_iu8 v13, v25, v27, v16 neg_lo:[1,1,0]
	;; [unrolled: 1-line block ×4, first 2 shown]
	s_or_b32 s3, vcc_lo, s3
	v_cvt_f32_i32_e32 v12, v12
	v_cvt_f32_i32_e32 v13, v13
	;; [unrolled: 1-line block ×4, first 2 shown]
	s_delay_alu instid0(VALU_DEP_4) | instskip(NEXT) | instid1(VALU_DEP_4)
	v_fma_mix_f32 v12, v12, v34, -v15 op_sel_hi:[0,1,0]
	v_fma_mix_f32 v13, v13, v36, -v26 op_sel_hi:[0,1,0]
	s_delay_alu instid0(VALU_DEP_4) | instskip(NEXT) | instid1(VALU_DEP_4)
	v_fma_mix_f32 v15, v16, v35, -v28 op_sel_hi:[0,1,0]
	v_fma_mix_f32 v16, v17, v22, -v23 op_sel_hi:[0,1,0]
	s_wait_loadcnt 0x0
	v_fma_mix_f32 v8, v12, v14, v8 op_sel_hi:[0,1,0]
	v_fma_mix_f32 v5, v13, v14, v5 op_sel_hi:[0,1,0]
	;; [unrolled: 1-line block ×4, first 2 shown]
	s_wait_alu 0xfffe
	s_and_not1_b32 exec_lo, exec_lo, s3
	s_cbranch_execnz .LBB19_2
; %bb.3:
	s_or_b32 exec_lo, exec_lo, s3
.LBB19_4:
	s_delay_alu instid0(SALU_CYCLE_1)
	s_or_b32 exec_lo, exec_lo, s21
	s_mov_b32 s3, 0
	; wave barrier
	global_inv scope:SCOPE_SE
	s_mov_b32 s2, exec_lo
	v_cmpx_eq_u32_e32 0, v6
	s_cbranch_execz .LBB19_13
; %bb.5:
	v_mbcnt_lo_u32_b32 v9, -1, 0
	s_load_b64 s[0:1], s[0:1], 0x38
	s_mul_i32 s2, s10, s19
	s_mul_i32 s4, s18, s20
	s_wait_alu 0xfffe
	s_add_co_i32 s2, s2, ttmp9
	v_xor_b32_e32 v0, 16, v9
	v_xor_b32_e32 v1, 8, v9
	s_wait_alu 0xfffe
	s_add_co_i32 s2, s2, s4
	s_wait_alu 0xfffe
	s_lshl_b64 s[2:3], s[2:3], 2
	v_cmp_gt_i32_e32 vcc_lo, 32, v0
	s_wait_alu 0xfffd
	v_cndmask_b32_e32 v0, v9, v0, vcc_lo
	v_cmp_gt_i32_e32 vcc_lo, 32, v1
	s_wait_alu 0xfffd
	v_cndmask_b32_e32 v1, v9, v1, vcc_lo
	s_wait_kmcnt 0x0
	s_wait_alu 0xfffe
	s_add_nc_u64 s[0:1], s[0:1], s[2:3]
	s_delay_alu instid0(VALU_DEP_1)
	v_lshlrev_b32_e32 v1, 2, v1
	v_lshlrev_b32_e32 v0, 2, v0
	ds_bpermute_b32 v6, v0, v8
	s_wait_dscnt 0x0
	v_add_f32_e32 v7, v8, v6
	v_xor_b32_e32 v6, 4, v9
	ds_bpermute_b32 v8, v1, v7
	v_cmp_gt_i32_e32 vcc_lo, 32, v6
	s_wait_alu 0xfffd
	v_cndmask_b32_e32 v6, v9, v6, vcc_lo
	s_wait_dscnt 0x0
	v_add_f32_e32 v8, v7, v8
	v_xor_b32_e32 v7, 2, v9
	s_delay_alu instid0(VALU_DEP_1) | instskip(SKIP_2) | instid1(VALU_DEP_1)
	v_cmp_gt_i32_e32 vcc_lo, 32, v7
	s_wait_alu 0xfffd
	v_cndmask_b32_e32 v7, v9, v7, vcc_lo
	v_lshlrev_b32_e32 v7, 2, v7
	v_lshlrev_b32_e32 v6, 2, v6
	ds_bpermute_b32 v10, v6, v8
	s_wait_dscnt 0x0
	v_add_f32_e32 v10, v8, v10
	v_xor_b32_e32 v8, 1, v9
	ds_bpermute_b32 v11, v7, v10
	v_cmp_gt_i32_e32 vcc_lo, 32, v8
	s_wait_alu 0xfffd
	v_cndmask_b32_e32 v8, v9, v8, vcc_lo
	v_cmp_eq_u32_e32 vcc_lo, 0, v3
	s_wait_dscnt 0x0
	s_delay_alu instid0(VALU_DEP_2)
	v_dual_add_f32 v9, v10, v11 :: v_dual_lshlrev_b32 v8, 2, v8
	ds_bpermute_b32 v10, v8, v9
	s_and_saveexec_b32 s2, vcc_lo
	s_cbranch_execz .LBB19_7
; %bb.6:
	s_wait_dscnt 0x0
	v_add_f32_e32 v3, v9, v10
	v_mov_b32_e32 v9, 0
	global_store_b32 v9, v3, s[0:1]
.LBB19_7:
	s_wait_alu 0xfffe
	s_or_b32 exec_lo, exec_lo, s2
	ds_bpermute_b32 v3, v0, v5
	s_wait_dscnt 0x0
	v_add_f32_e32 v3, v5, v3
	ds_bpermute_b32 v5, v1, v3
	s_wait_dscnt 0x0
	v_add_f32_e32 v3, v3, v5
	;; [unrolled: 3-line block ×4, first 2 shown]
	ds_bpermute_b32 v5, v8, v3
	s_and_saveexec_b32 s2, vcc_lo
	s_cbranch_execz .LBB19_9
; %bb.8:
	s_mov_b32 s7, 0
	s_wait_dscnt 0x0
	v_add_f32_e32 v3, v3, v5
	v_mov_b32_e32 v5, 0
	s_wait_alu 0xfffe
	s_lshl_b64 s[4:5], s[6:7], 2
	s_wait_alu 0xfffe
	s_add_nc_u64 s[4:5], s[0:1], s[4:5]
	global_store_b32 v5, v3, s[4:5]
.LBB19_9:
	s_wait_alu 0xfffe
	s_or_b32 exec_lo, exec_lo, s2
	ds_bpermute_b32 v3, v0, v4
	s_wait_dscnt 0x0
	v_add_f32_e32 v3, v4, v3
	ds_bpermute_b32 v4, v1, v3
	s_wait_dscnt 0x0
	v_add_f32_e32 v3, v3, v4
	;; [unrolled: 3-line block ×4, first 2 shown]
	ds_bpermute_b32 v4, v8, v3
	s_and_saveexec_b32 s2, vcc_lo
	s_cbranch_execz .LBB19_11
; %bb.10:
	s_lshl_b32 s4, s6, 1
	s_mov_b32 s5, 0
	s_wait_dscnt 0x0
	v_dual_add_f32 v3, v3, v4 :: v_dual_mov_b32 v4, 0
	s_wait_alu 0xfffe
	s_lshl_b64 s[4:5], s[4:5], 2
	s_wait_alu 0xfffe
	s_add_nc_u64 s[4:5], s[0:1], s[4:5]
	global_store_b32 v4, v3, s[4:5]
.LBB19_11:
	s_wait_alu 0xfffe
	s_or_b32 exec_lo, exec_lo, s2
	ds_bpermute_b32 v0, v0, v2
	s_wait_dscnt 0x0
	v_add_f32_e32 v0, v2, v0
	ds_bpermute_b32 v1, v1, v0
	s_wait_dscnt 0x0
	v_add_f32_e32 v0, v0, v1
	;; [unrolled: 3-line block ×4, first 2 shown]
	ds_bpermute_b32 v1, v8, v0
	s_and_b32 exec_lo, exec_lo, vcc_lo
	s_cbranch_execz .LBB19_13
; %bb.12:
	s_mul_i32 s2, s6, 3
	s_mov_b32 s3, 0
	s_wait_dscnt 0x0
	v_dual_add_f32 v0, v0, v1 :: v_dual_mov_b32 v1, 0
	s_wait_alu 0xfffe
	s_lshl_b64 s[2:3], s[2:3], 2
	s_wait_alu 0xfffe
	s_add_nc_u64 s[0:1], s[0:1], s[2:3]
	global_store_b32 v1, v0, s[0:1]
.LBB19_13:
	s_endpgm
	.section	.rodata,"a",@progbits
	.p2align	6, 0x0
	.amdhsa_kernel _ZL13mul_mat_vec_qIL9ggml_type2ELi4ELb0ELb0EEvPKvS2_PKi31ggml_cuda_mm_fusion_args_devicePfj15HIP_vector_typeIjLj3EEjjjS8_jjjS8_jjjj
		.amdhsa_group_segment_fixed_size 0
		.amdhsa_private_segment_fixed_size 0
		.amdhsa_kernarg_size 144
		.amdhsa_user_sgpr_count 2
		.amdhsa_user_sgpr_dispatch_ptr 0
		.amdhsa_user_sgpr_queue_ptr 0
		.amdhsa_user_sgpr_kernarg_segment_ptr 1
		.amdhsa_user_sgpr_dispatch_id 0
		.amdhsa_user_sgpr_private_segment_size 0
		.amdhsa_wavefront_size32 1
		.amdhsa_uses_dynamic_stack 0
		.amdhsa_enable_private_segment 0
		.amdhsa_system_sgpr_workgroup_id_x 1
		.amdhsa_system_sgpr_workgroup_id_y 1
		.amdhsa_system_sgpr_workgroup_id_z 1
		.amdhsa_system_sgpr_workgroup_info 0
		.amdhsa_system_vgpr_workitem_id 1
		.amdhsa_next_free_vgpr 41
		.amdhsa_next_free_sgpr 30
		.amdhsa_reserve_vcc 1
		.amdhsa_float_round_mode_32 0
		.amdhsa_float_round_mode_16_64 0
		.amdhsa_float_denorm_mode_32 3
		.amdhsa_float_denorm_mode_16_64 3
		.amdhsa_fp16_overflow 0
		.amdhsa_workgroup_processor_mode 1
		.amdhsa_memory_ordered 1
		.amdhsa_forward_progress 1
		.amdhsa_inst_pref_size 14
		.amdhsa_round_robin_scheduling 0
		.amdhsa_exception_fp_ieee_invalid_op 0
		.amdhsa_exception_fp_denorm_src 0
		.amdhsa_exception_fp_ieee_div_zero 0
		.amdhsa_exception_fp_ieee_overflow 0
		.amdhsa_exception_fp_ieee_underflow 0
		.amdhsa_exception_fp_ieee_inexact 0
		.amdhsa_exception_int_div_zero 0
	.end_amdhsa_kernel
	.section	.text._ZL13mul_mat_vec_qIL9ggml_type2ELi4ELb0ELb0EEvPKvS2_PKi31ggml_cuda_mm_fusion_args_devicePfj15HIP_vector_typeIjLj3EEjjjS8_jjjS8_jjjj,"axG",@progbits,_ZL13mul_mat_vec_qIL9ggml_type2ELi4ELb0ELb0EEvPKvS2_PKi31ggml_cuda_mm_fusion_args_devicePfj15HIP_vector_typeIjLj3EEjjjS8_jjjS8_jjjj,comdat
.Lfunc_end19:
	.size	_ZL13mul_mat_vec_qIL9ggml_type2ELi4ELb0ELb0EEvPKvS2_PKi31ggml_cuda_mm_fusion_args_devicePfj15HIP_vector_typeIjLj3EEjjjS8_jjjS8_jjjj, .Lfunc_end19-_ZL13mul_mat_vec_qIL9ggml_type2ELi4ELb0ELb0EEvPKvS2_PKi31ggml_cuda_mm_fusion_args_devicePfj15HIP_vector_typeIjLj3EEjjjS8_jjjS8_jjjj
                                        ; -- End function
	.set _ZL13mul_mat_vec_qIL9ggml_type2ELi4ELb0ELb0EEvPKvS2_PKi31ggml_cuda_mm_fusion_args_devicePfj15HIP_vector_typeIjLj3EEjjjS8_jjjS8_jjjj.num_vgpr, 41
	.set _ZL13mul_mat_vec_qIL9ggml_type2ELi4ELb0ELb0EEvPKvS2_PKi31ggml_cuda_mm_fusion_args_devicePfj15HIP_vector_typeIjLj3EEjjjS8_jjjS8_jjjj.num_agpr, 0
	.set _ZL13mul_mat_vec_qIL9ggml_type2ELi4ELb0ELb0EEvPKvS2_PKi31ggml_cuda_mm_fusion_args_devicePfj15HIP_vector_typeIjLj3EEjjjS8_jjjS8_jjjj.numbered_sgpr, 30
	.set _ZL13mul_mat_vec_qIL9ggml_type2ELi4ELb0ELb0EEvPKvS2_PKi31ggml_cuda_mm_fusion_args_devicePfj15HIP_vector_typeIjLj3EEjjjS8_jjjS8_jjjj.num_named_barrier, 0
	.set _ZL13mul_mat_vec_qIL9ggml_type2ELi4ELb0ELb0EEvPKvS2_PKi31ggml_cuda_mm_fusion_args_devicePfj15HIP_vector_typeIjLj3EEjjjS8_jjjS8_jjjj.private_seg_size, 0
	.set _ZL13mul_mat_vec_qIL9ggml_type2ELi4ELb0ELb0EEvPKvS2_PKi31ggml_cuda_mm_fusion_args_devicePfj15HIP_vector_typeIjLj3EEjjjS8_jjjS8_jjjj.uses_vcc, 1
	.set _ZL13mul_mat_vec_qIL9ggml_type2ELi4ELb0ELb0EEvPKvS2_PKi31ggml_cuda_mm_fusion_args_devicePfj15HIP_vector_typeIjLj3EEjjjS8_jjjS8_jjjj.uses_flat_scratch, 0
	.set _ZL13mul_mat_vec_qIL9ggml_type2ELi4ELb0ELb0EEvPKvS2_PKi31ggml_cuda_mm_fusion_args_devicePfj15HIP_vector_typeIjLj3EEjjjS8_jjjS8_jjjj.has_dyn_sized_stack, 0
	.set _ZL13mul_mat_vec_qIL9ggml_type2ELi4ELb0ELb0EEvPKvS2_PKi31ggml_cuda_mm_fusion_args_devicePfj15HIP_vector_typeIjLj3EEjjjS8_jjjS8_jjjj.has_recursion, 0
	.set _ZL13mul_mat_vec_qIL9ggml_type2ELi4ELb0ELb0EEvPKvS2_PKi31ggml_cuda_mm_fusion_args_devicePfj15HIP_vector_typeIjLj3EEjjjS8_jjjS8_jjjj.has_indirect_call, 0
	.section	.AMDGPU.csdata,"",@progbits
; Kernel info:
; codeLenInByte = 1760
; TotalNumSgprs: 32
; NumVgprs: 41
; ScratchSize: 0
; MemoryBound: 0
; FloatMode: 240
; IeeeMode: 1
; LDSByteSize: 0 bytes/workgroup (compile time only)
; SGPRBlocks: 0
; VGPRBlocks: 5
; NumSGPRsForWavesPerEU: 32
; NumVGPRsForWavesPerEU: 41
; Occupancy: 16
; WaveLimiterHint : 0
; COMPUTE_PGM_RSRC2:SCRATCH_EN: 0
; COMPUTE_PGM_RSRC2:USER_SGPR: 2
; COMPUTE_PGM_RSRC2:TRAP_HANDLER: 0
; COMPUTE_PGM_RSRC2:TGID_X_EN: 1
; COMPUTE_PGM_RSRC2:TGID_Y_EN: 1
; COMPUTE_PGM_RSRC2:TGID_Z_EN: 1
; COMPUTE_PGM_RSRC2:TIDIG_COMP_CNT: 1
	.section	.text._ZL13mul_mat_vec_qIL9ggml_type2ELi5ELb0ELb0EEvPKvS2_PKi31ggml_cuda_mm_fusion_args_devicePfj15HIP_vector_typeIjLj3EEjjjS8_jjjS8_jjjj,"axG",@progbits,_ZL13mul_mat_vec_qIL9ggml_type2ELi5ELb0ELb0EEvPKvS2_PKi31ggml_cuda_mm_fusion_args_devicePfj15HIP_vector_typeIjLj3EEjjjS8_jjjS8_jjjj,comdat
	.globl	_ZL13mul_mat_vec_qIL9ggml_type2ELi5ELb0ELb0EEvPKvS2_PKi31ggml_cuda_mm_fusion_args_devicePfj15HIP_vector_typeIjLj3EEjjjS8_jjjS8_jjjj ; -- Begin function _ZL13mul_mat_vec_qIL9ggml_type2ELi5ELb0ELb0EEvPKvS2_PKi31ggml_cuda_mm_fusion_args_devicePfj15HIP_vector_typeIjLj3EEjjjS8_jjjS8_jjjj
	.p2align	8
	.type	_ZL13mul_mat_vec_qIL9ggml_type2ELi5ELb0ELb0EEvPKvS2_PKi31ggml_cuda_mm_fusion_args_devicePfj15HIP_vector_typeIjLj3EEjjjS8_jjjS8_jjjj,@function
_ZL13mul_mat_vec_qIL9ggml_type2ELi5ELb0ELb0EEvPKvS2_PKi31ggml_cuda_mm_fusion_args_devicePfj15HIP_vector_typeIjLj3EEjjjS8_jjjS8_jjjj: ; @_ZL13mul_mat_vec_qIL9ggml_type2ELi5ELb0ELb0EEvPKvS2_PKi31ggml_cuda_mm_fusion_args_devicePfj15HIP_vector_typeIjLj3EEjjjS8_jjjS8_jjjj
; %bb.0:
	v_bfe_u32 v6, v0, 10, 10
	s_clause 0x5
	s_load_b32 s2, s[0:1], 0x40
	s_load_b96 s[16:18], s[0:1], 0x80
	s_load_b128 s[4:7], s[0:1], 0x50
	s_load_b32 s23, s[0:1], 0x60
	s_load_b128 s[8:11], s[0:1], 0x68
	s_load_b32 s24, s[0:1], 0x78
	v_dual_mov_b32 v2, 0 :: v_dual_and_b32 v3, 0x3ff, v0
	v_dual_mov_b32 v5, 0 :: v_dual_lshlrev_b32 v0, 5, v6
	v_dual_mov_b32 v4, 0 :: v_dual_mov_b32 v9, 0
	s_and_b32 s19, ttmp7, 0xffff
	s_delay_alu instid0(VALU_DEP_2) | instskip(SKIP_3) | instid1(VALU_DEP_2)
	v_add_nc_u16 v0, v0, v3
	s_lshr_b32 s20, ttmp7, 16
	s_mov_b32 s21, exec_lo
	v_mov_b32_e32 v7, 0
	v_lshrrev_b16 v0, 1, v0
	s_delay_alu instid0(VALU_DEP_1)
	v_and_b32_e32 v8, 0xffff, v0
	s_wait_kmcnt 0x0
	s_lshr_b32 s22, s2, 5
	s_delay_alu instid0(VALU_DEP_1) | instid1(SALU_CYCLE_1)
	v_cmpx_gt_u32_e64 s22, v8
	s_cbranch_execz .LBB20_4
; %bb.1:
	s_load_b128 s[12:15], s[0:1], 0x0
	v_dual_mov_b32 v2, 0 :: v_dual_lshlrev_b32 v1, 1, v3
	s_mul_i32 s2, s17, s20
	s_mov_b32 s3, 0
	s_mul_hi_u32 s7, s7, s19
	s_delay_alu instid0(VALU_DEP_1)
	v_and_b32_e32 v5, 2, v1
	s_mul_hi_u32 s11, s11, s20
	s_mul_u64 s[26:27], s[2:3], 36
	s_mul_i32 s2, s9, s19
	s_add_co_i32 s7, s19, s7
	s_add_co_i32 s9, s20, s11
	s_mul_u64 s[28:29], s[2:3], 36
	s_lshr_b32 s2, s7, s23
	v_and_b32_e32 v0, 0xffff, v0
	v_lshlrev_b32_e32 v7, 1, v5
	s_lshr_b32 s7, s9, s24
	s_mul_i32 s2, s2, s8
	v_and_b32_e32 v4, 1, v3
	s_mul_i32 s4, s4, ttmp9
	s_wait_kmcnt 0x0
	s_add_nc_u64 s[8:9], s[14:15], s[26:27]
	v_lshlrev_b32_e32 v11, 1, v7
	s_add_nc_u64 s[8:9], s[8:9], s[28:29]
	v_mov_b32_e32 v7, 0
	v_mad_co_u64_u32 v[0:1], null, v0, 36, s[8:9]
	v_dual_mov_b32 v5, 0 :: v_dual_lshlrev_b32 v12, 2, v5
	v_dual_mov_b32 v9, 0 :: v_dual_lshlrev_b32 v10, 3, v4
	v_mov_b32_e32 v4, 0
	s_mul_i32 s7, s7, s16
	s_add_co_i32 s2, s2, s4
	s_lshl_b32 s4, s5, 1
	s_add_co_i32 s2, s7, s2
	s_mul_i32 s7, s5, 3
	s_lshl_b32 s11, s5, 2
.LBB20_2:                               ; =>This Inner Loop Header: Depth=1
	v_add_nc_u32_e32 v15, s2, v8
	v_add_nc_u32_e32 v19, s5, v8
	;; [unrolled: 1-line block ×5, first 2 shown]
	v_mad_co_i64_i32 v[15:16], null, v15, 18, s[12:13]
	v_mad_co_u64_u32 v[19:20], null, v19, 36, s[8:9]
	v_mad_co_u64_u32 v[21:22], null, v21, 36, s[8:9]
	v_add_co_u32 v13, vcc_lo, v0, v10
	v_mad_co_u64_u32 v[23:24], null, v23, 36, s[8:9]
	s_wait_alu 0xfffd
	v_add_co_ci_u32_e64 v14, null, 0, v1, vcc_lo
	v_mad_co_u64_u32 v[25:26], null, v25, 36, s[8:9]
	v_add_co_u32 v27, vcc_lo, v15, v11
	global_load_b32 v39, v[0:1], off
	s_wait_alu 0xfffd
	v_add_co_ci_u32_e64 v28, null, 0, v16, vcc_lo
	v_add_co_u32 v29, vcc_lo, v19, v12
	s_wait_alu 0xfffd
	v_add_co_ci_u32_e64 v30, null, 0, v20, vcc_lo
	v_add_co_u32 v31, vcc_lo, v21, v12
	;; [unrolled: 3-line block ×4, first 2 shown]
	s_wait_alu 0xfffd
	v_add_co_ci_u32_e64 v36, null, 0, v26, vcc_lo
	s_clause 0x1
	global_load_b64 v[17:18], v[13:14], off offset:4
	global_load_b64 v[13:14], v[13:14], off offset:20
	;; [unrolled: 1-line block ×3, first 2 shown]
	s_clause 0xb
	global_load_b64 v[37:38], v[29:30], off offset:4
	global_load_b64 v[29:30], v[29:30], off offset:20
	global_load_b32 v40, v[21:22], off
	global_load_b32 v41, v[19:20], off
	global_load_b64 v[19:20], v[31:32], off offset:4
	global_load_b64 v[21:22], v[31:32], off offset:20
	;; [unrolled: 1-line block ×3, first 2 shown]
	global_load_b32 v42, v[23:24], off
	global_load_b64 v[23:24], v[33:34], off offset:20
	global_load_b64 v[33:34], v[35:36], off offset:4
	;; [unrolled: 1-line block ×3, first 2 shown]
	global_load_b32 v25, v[25:26], off
	global_load_u16 v15, v[15:16], off
	v_add_co_u32 v0, vcc_lo, 0x240, v0
	s_wait_alu 0xfffd
	v_add_co_ci_u32_e64 v1, null, 0, v1, vcc_lo
	s_wait_loadcnt 0x10
	v_lshrrev_b32_e32 v16, 16, v39
	s_delay_alu instid0(VALU_DEP_1)
	v_cvt_f32_f16_e32 v16, v16
	s_wait_loadcnt 0xd
	v_and_b32_e32 v43, 0xf0f0f0f, v28
	v_lshrrev_b32_e32 v28, 4, v28
	s_wait_loadcnt 0xa
	v_lshrrev_b32_e32 v45, 16, v40
	s_wait_loadcnt 0x9
	;; [unrolled: 2-line block ×3, first 2 shown]
	v_lshrrev_b32_e32 v46, 16, v42
	s_delay_alu instid0(VALU_DEP_2)
	v_cvt_f32_f16_e32 v44, v44
	v_and_b32_e32 v26, 0xf0f0f0f, v27
	v_lshrrev_b32_e32 v27, 4, v27
	v_mul_f32_e32 v16, 4.0, v16
	s_wait_loadcnt 0x1
	v_lshrrev_b32_e32 v47, 16, v25
	v_cvt_f32_f16_e32 v46, v46
	v_dot4_i32_iu8 v17, v26, v17, 0 neg_lo:[1,1,0]
	v_and_b32_e32 v27, 0xf0f0f0f, v27
	v_dot4_i32_iu8 v37, v26, v37, 0 neg_lo:[1,1,0]
	v_and_b32_e32 v28, 0xf0f0f0f, v28
	v_cvt_f32_f16_e32 v45, v45
	v_add_nc_u32_e32 v8, 16, v8
	v_dot4_i32_iu8 v13, v27, v13, v17 neg_lo:[1,1,0]
	v_dot4_i32_iu8 v17, v27, v29, v37 neg_lo:[1,1,0]
	v_mul_f32_e32 v29, 4.0, v44
	v_dot4_i32_iu8 v19, v26, v19, 0 neg_lo:[1,1,0]
	v_dot4_i32_iu8 v31, v26, v31, 0 neg_lo:[1,1,0]
	;; [unrolled: 1-line block ×8, first 2 shown]
	v_cvt_f32_f16_e32 v33, v47
	v_mul_f32_e32 v31, 4.0, v46
	v_dot4_i32_iu8 v18, v43, v20, v19 neg_lo:[1,1,0]
	v_dot4_i32_iu8 v19, v43, v32, v23 neg_lo:[1,1,0]
	;; [unrolled: 1-line block ×8, first 2 shown]
	v_mul_f32_e32 v21, 4.0, v45
	v_mul_f32_e32 v27, 4.0, v33
	v_cvt_f32_i32_e32 v13, v13
	v_cvt_f32_i32_e32 v14, v14
	;; [unrolled: 1-line block ×5, first 2 shown]
	v_fma_mix_f32 v13, v13, v39, -v16 op_sel_hi:[0,1,0]
	v_fma_mix_f32 v14, v14, v41, -v29 op_sel_hi:[0,1,0]
	;; [unrolled: 1-line block ×5, first 2 shown]
	v_cmp_le_u32_e32 vcc_lo, s22, v8
	s_wait_loadcnt 0x0
	v_fma_mix_f32 v9, v13, v15, v9 op_sel_hi:[0,1,0]
	v_fma_mix_f32 v7, v14, v15, v7 op_sel_hi:[0,1,0]
	;; [unrolled: 1-line block ×5, first 2 shown]
	s_or_b32 s3, vcc_lo, s3
	s_wait_alu 0xfffe
	s_and_not1_b32 exec_lo, exec_lo, s3
	s_cbranch_execnz .LBB20_2
; %bb.3:
	s_or_b32 exec_lo, exec_lo, s3
.LBB20_4:
	s_delay_alu instid0(SALU_CYCLE_1)
	s_or_b32 exec_lo, exec_lo, s21
	s_mov_b32 s3, 0
	; wave barrier
	global_inv scope:SCOPE_SE
	s_mov_b32 s2, exec_lo
	v_cmpx_eq_u32_e32 0, v6
	s_cbranch_execz .LBB20_15
; %bb.5:
	v_mbcnt_lo_u32_b32 v10, -1, 0
	s_load_b64 s[0:1], s[0:1], 0x38
	s_mul_i32 s2, s10, s19
	s_mul_i32 s4, s18, s20
	s_wait_alu 0xfffe
	s_add_co_i32 s2, s2, ttmp9
	v_xor_b32_e32 v0, 16, v10
	v_xor_b32_e32 v1, 8, v10
	s_wait_alu 0xfffe
	s_add_co_i32 s2, s2, s4
	s_wait_alu 0xfffe
	s_lshl_b64 s[2:3], s[2:3], 2
	v_cmp_gt_i32_e32 vcc_lo, 32, v0
	s_wait_alu 0xfffd
	v_cndmask_b32_e32 v0, v10, v0, vcc_lo
	v_cmp_gt_i32_e32 vcc_lo, 32, v1
	s_wait_alu 0xfffd
	v_cndmask_b32_e32 v1, v10, v1, vcc_lo
	s_wait_kmcnt 0x0
	s_wait_alu 0xfffe
	s_add_nc_u64 s[0:1], s[0:1], s[2:3]
	s_delay_alu instid0(VALU_DEP_1)
	v_lshlrev_b32_e32 v1, 2, v1
	v_lshlrev_b32_e32 v0, 2, v0
	ds_bpermute_b32 v6, v0, v9
	s_wait_dscnt 0x0
	v_add_f32_e32 v8, v9, v6
	v_xor_b32_e32 v6, 4, v10
	ds_bpermute_b32 v9, v1, v8
	v_cmp_gt_i32_e32 vcc_lo, 32, v6
	s_wait_dscnt 0x0
	s_wait_alu 0xfffd
	v_dual_add_f32 v9, v8, v9 :: v_dual_cndmask_b32 v6, v10, v6
	v_xor_b32_e32 v8, 2, v10
	s_delay_alu instid0(VALU_DEP_2) | instskip(NEXT) | instid1(VALU_DEP_2)
	v_lshlrev_b32_e32 v6, 2, v6
	v_cmp_gt_i32_e32 vcc_lo, 32, v8
	ds_bpermute_b32 v11, v6, v9
	s_wait_dscnt 0x0
	s_wait_alu 0xfffd
	v_dual_cndmask_b32 v8, v10, v8 :: v_dual_add_f32 v11, v9, v11
	v_xor_b32_e32 v9, 1, v10
	s_delay_alu instid0(VALU_DEP_1) | instskip(SKIP_3) | instid1(VALU_DEP_2)
	v_cmp_gt_i32_e32 vcc_lo, 32, v9
	s_wait_alu 0xfffd
	v_cndmask_b32_e32 v9, v10, v9, vcc_lo
	v_cmp_eq_u32_e32 vcc_lo, 0, v3
	v_lshlrev_b32_e32 v9, 2, v9
	v_lshlrev_b32_e32 v8, 2, v8
	ds_bpermute_b32 v12, v8, v11
	s_wait_dscnt 0x0
	v_add_f32_e32 v10, v11, v12
	ds_bpermute_b32 v11, v9, v10
	s_and_saveexec_b32 s2, vcc_lo
	s_cbranch_execz .LBB20_7
; %bb.6:
	s_wait_dscnt 0x0
	v_dual_add_f32 v3, v10, v11 :: v_dual_mov_b32 v10, 0
	global_store_b32 v10, v3, s[0:1]
.LBB20_7:
	s_wait_alu 0xfffe
	s_or_b32 exec_lo, exec_lo, s2
	ds_bpermute_b32 v3, v0, v7
	s_wait_dscnt 0x0
	v_add_f32_e32 v3, v7, v3
	ds_bpermute_b32 v7, v1, v3
	s_wait_dscnt 0x0
	v_add_f32_e32 v3, v3, v7
	;; [unrolled: 3-line block ×4, first 2 shown]
	ds_bpermute_b32 v7, v9, v3
	s_and_saveexec_b32 s2, vcc_lo
	s_cbranch_execz .LBB20_9
; %bb.8:
	s_mov_b32 s7, 0
	s_wait_dscnt 0x0
	v_add_f32_e32 v3, v3, v7
	v_mov_b32_e32 v7, 0
	s_wait_alu 0xfffe
	s_lshl_b64 s[4:5], s[6:7], 2
	s_wait_alu 0xfffe
	s_add_nc_u64 s[4:5], s[0:1], s[4:5]
	global_store_b32 v7, v3, s[4:5]
.LBB20_9:
	s_wait_alu 0xfffe
	s_or_b32 exec_lo, exec_lo, s2
	ds_bpermute_b32 v3, v0, v5
	s_wait_dscnt 0x0
	v_add_f32_e32 v3, v5, v3
	ds_bpermute_b32 v5, v1, v3
	s_wait_dscnt 0x0
	v_add_f32_e32 v3, v3, v5
	;; [unrolled: 3-line block ×4, first 2 shown]
	ds_bpermute_b32 v5, v9, v3
	s_and_saveexec_b32 s2, vcc_lo
	s_cbranch_execz .LBB20_11
; %bb.10:
	s_lshl_b32 s4, s6, 1
	s_mov_b32 s5, 0
	s_wait_dscnt 0x0
	v_add_f32_e32 v3, v3, v5
	v_mov_b32_e32 v5, 0
	s_wait_alu 0xfffe
	s_lshl_b64 s[4:5], s[4:5], 2
	s_wait_alu 0xfffe
	s_add_nc_u64 s[4:5], s[0:1], s[4:5]
	global_store_b32 v5, v3, s[4:5]
.LBB20_11:
	s_wait_alu 0xfffe
	s_or_b32 exec_lo, exec_lo, s2
	ds_bpermute_b32 v3, v0, v4
	s_wait_dscnt 0x0
	v_add_f32_e32 v3, v4, v3
	ds_bpermute_b32 v4, v1, v3
	s_wait_dscnt 0x0
	v_add_f32_e32 v3, v3, v4
	;; [unrolled: 3-line block ×4, first 2 shown]
	ds_bpermute_b32 v4, v9, v3
	s_and_saveexec_b32 s2, vcc_lo
	s_cbranch_execz .LBB20_13
; %bb.12:
	s_mul_i32 s4, s6, 3
	s_mov_b32 s5, 0
	s_wait_dscnt 0x0
	v_dual_add_f32 v3, v3, v4 :: v_dual_mov_b32 v4, 0
	s_wait_alu 0xfffe
	s_lshl_b64 s[4:5], s[4:5], 2
	s_wait_alu 0xfffe
	s_add_nc_u64 s[4:5], s[0:1], s[4:5]
	global_store_b32 v4, v3, s[4:5]
.LBB20_13:
	s_wait_alu 0xfffe
	s_or_b32 exec_lo, exec_lo, s2
	ds_bpermute_b32 v0, v0, v2
	s_wait_dscnt 0x0
	v_add_f32_e32 v0, v2, v0
	ds_bpermute_b32 v1, v1, v0
	s_wait_dscnt 0x0
	v_add_f32_e32 v0, v0, v1
	;; [unrolled: 3-line block ×4, first 2 shown]
	ds_bpermute_b32 v1, v9, v0
	s_and_b32 exec_lo, exec_lo, vcc_lo
	s_cbranch_execz .LBB20_15
; %bb.14:
	s_lshl_b32 s2, s6, 2
	s_mov_b32 s3, 0
	s_wait_dscnt 0x0
	v_dual_add_f32 v0, v0, v1 :: v_dual_mov_b32 v1, 0
	s_wait_alu 0xfffe
	s_lshl_b64 s[2:3], s[2:3], 2
	s_wait_alu 0xfffe
	s_add_nc_u64 s[0:1], s[0:1], s[2:3]
	global_store_b32 v1, v0, s[0:1]
.LBB20_15:
	s_endpgm
	.section	.rodata,"a",@progbits
	.p2align	6, 0x0
	.amdhsa_kernel _ZL13mul_mat_vec_qIL9ggml_type2ELi5ELb0ELb0EEvPKvS2_PKi31ggml_cuda_mm_fusion_args_devicePfj15HIP_vector_typeIjLj3EEjjjS8_jjjS8_jjjj
		.amdhsa_group_segment_fixed_size 0
		.amdhsa_private_segment_fixed_size 0
		.amdhsa_kernarg_size 144
		.amdhsa_user_sgpr_count 2
		.amdhsa_user_sgpr_dispatch_ptr 0
		.amdhsa_user_sgpr_queue_ptr 0
		.amdhsa_user_sgpr_kernarg_segment_ptr 1
		.amdhsa_user_sgpr_dispatch_id 0
		.amdhsa_user_sgpr_private_segment_size 0
		.amdhsa_wavefront_size32 1
		.amdhsa_uses_dynamic_stack 0
		.amdhsa_enable_private_segment 0
		.amdhsa_system_sgpr_workgroup_id_x 1
		.amdhsa_system_sgpr_workgroup_id_y 1
		.amdhsa_system_sgpr_workgroup_id_z 1
		.amdhsa_system_sgpr_workgroup_info 0
		.amdhsa_system_vgpr_workitem_id 1
		.amdhsa_next_free_vgpr 48
		.amdhsa_next_free_sgpr 30
		.amdhsa_reserve_vcc 1
		.amdhsa_float_round_mode_32 0
		.amdhsa_float_round_mode_16_64 0
		.amdhsa_float_denorm_mode_32 3
		.amdhsa_float_denorm_mode_16_64 3
		.amdhsa_fp16_overflow 0
		.amdhsa_workgroup_processor_mode 1
		.amdhsa_memory_ordered 1
		.amdhsa_forward_progress 1
		.amdhsa_inst_pref_size 16
		.amdhsa_round_robin_scheduling 0
		.amdhsa_exception_fp_ieee_invalid_op 0
		.amdhsa_exception_fp_denorm_src 0
		.amdhsa_exception_fp_ieee_div_zero 0
		.amdhsa_exception_fp_ieee_overflow 0
		.amdhsa_exception_fp_ieee_underflow 0
		.amdhsa_exception_fp_ieee_inexact 0
		.amdhsa_exception_int_div_zero 0
	.end_amdhsa_kernel
	.section	.text._ZL13mul_mat_vec_qIL9ggml_type2ELi5ELb0ELb0EEvPKvS2_PKi31ggml_cuda_mm_fusion_args_devicePfj15HIP_vector_typeIjLj3EEjjjS8_jjjS8_jjjj,"axG",@progbits,_ZL13mul_mat_vec_qIL9ggml_type2ELi5ELb0ELb0EEvPKvS2_PKi31ggml_cuda_mm_fusion_args_devicePfj15HIP_vector_typeIjLj3EEjjjS8_jjjS8_jjjj,comdat
.Lfunc_end20:
	.size	_ZL13mul_mat_vec_qIL9ggml_type2ELi5ELb0ELb0EEvPKvS2_PKi31ggml_cuda_mm_fusion_args_devicePfj15HIP_vector_typeIjLj3EEjjjS8_jjjS8_jjjj, .Lfunc_end20-_ZL13mul_mat_vec_qIL9ggml_type2ELi5ELb0ELb0EEvPKvS2_PKi31ggml_cuda_mm_fusion_args_devicePfj15HIP_vector_typeIjLj3EEjjjS8_jjjS8_jjjj
                                        ; -- End function
	.set _ZL13mul_mat_vec_qIL9ggml_type2ELi5ELb0ELb0EEvPKvS2_PKi31ggml_cuda_mm_fusion_args_devicePfj15HIP_vector_typeIjLj3EEjjjS8_jjjS8_jjjj.num_vgpr, 48
	.set _ZL13mul_mat_vec_qIL9ggml_type2ELi5ELb0ELb0EEvPKvS2_PKi31ggml_cuda_mm_fusion_args_devicePfj15HIP_vector_typeIjLj3EEjjjS8_jjjS8_jjjj.num_agpr, 0
	.set _ZL13mul_mat_vec_qIL9ggml_type2ELi5ELb0ELb0EEvPKvS2_PKi31ggml_cuda_mm_fusion_args_devicePfj15HIP_vector_typeIjLj3EEjjjS8_jjjS8_jjjj.numbered_sgpr, 30
	.set _ZL13mul_mat_vec_qIL9ggml_type2ELi5ELb0ELb0EEvPKvS2_PKi31ggml_cuda_mm_fusion_args_devicePfj15HIP_vector_typeIjLj3EEjjjS8_jjjS8_jjjj.num_named_barrier, 0
	.set _ZL13mul_mat_vec_qIL9ggml_type2ELi5ELb0ELb0EEvPKvS2_PKi31ggml_cuda_mm_fusion_args_devicePfj15HIP_vector_typeIjLj3EEjjjS8_jjjS8_jjjj.private_seg_size, 0
	.set _ZL13mul_mat_vec_qIL9ggml_type2ELi5ELb0ELb0EEvPKvS2_PKi31ggml_cuda_mm_fusion_args_devicePfj15HIP_vector_typeIjLj3EEjjjS8_jjjS8_jjjj.uses_vcc, 1
	.set _ZL13mul_mat_vec_qIL9ggml_type2ELi5ELb0ELb0EEvPKvS2_PKi31ggml_cuda_mm_fusion_args_devicePfj15HIP_vector_typeIjLj3EEjjjS8_jjjS8_jjjj.uses_flat_scratch, 0
	.set _ZL13mul_mat_vec_qIL9ggml_type2ELi5ELb0ELb0EEvPKvS2_PKi31ggml_cuda_mm_fusion_args_devicePfj15HIP_vector_typeIjLj3EEjjjS8_jjjS8_jjjj.has_dyn_sized_stack, 0
	.set _ZL13mul_mat_vec_qIL9ggml_type2ELi5ELb0ELb0EEvPKvS2_PKi31ggml_cuda_mm_fusion_args_devicePfj15HIP_vector_typeIjLj3EEjjjS8_jjjS8_jjjj.has_recursion, 0
	.set _ZL13mul_mat_vec_qIL9ggml_type2ELi5ELb0ELb0EEvPKvS2_PKi31ggml_cuda_mm_fusion_args_devicePfj15HIP_vector_typeIjLj3EEjjjS8_jjjS8_jjjj.has_indirect_call, 0
	.section	.AMDGPU.csdata,"",@progbits
; Kernel info:
; codeLenInByte = 2028
; TotalNumSgprs: 32
; NumVgprs: 48
; ScratchSize: 0
; MemoryBound: 0
; FloatMode: 240
; IeeeMode: 1
; LDSByteSize: 0 bytes/workgroup (compile time only)
; SGPRBlocks: 0
; VGPRBlocks: 5
; NumSGPRsForWavesPerEU: 32
; NumVGPRsForWavesPerEU: 48
; Occupancy: 16
; WaveLimiterHint : 0
; COMPUTE_PGM_RSRC2:SCRATCH_EN: 0
; COMPUTE_PGM_RSRC2:USER_SGPR: 2
; COMPUTE_PGM_RSRC2:TRAP_HANDLER: 0
; COMPUTE_PGM_RSRC2:TGID_X_EN: 1
; COMPUTE_PGM_RSRC2:TGID_Y_EN: 1
; COMPUTE_PGM_RSRC2:TGID_Z_EN: 1
; COMPUTE_PGM_RSRC2:TIDIG_COMP_CNT: 1
	.section	.text._ZL13mul_mat_vec_qIL9ggml_type2ELi6ELb0ELb0EEvPKvS2_PKi31ggml_cuda_mm_fusion_args_devicePfj15HIP_vector_typeIjLj3EEjjjS8_jjjS8_jjjj,"axG",@progbits,_ZL13mul_mat_vec_qIL9ggml_type2ELi6ELb0ELb0EEvPKvS2_PKi31ggml_cuda_mm_fusion_args_devicePfj15HIP_vector_typeIjLj3EEjjjS8_jjjS8_jjjj,comdat
	.globl	_ZL13mul_mat_vec_qIL9ggml_type2ELi6ELb0ELb0EEvPKvS2_PKi31ggml_cuda_mm_fusion_args_devicePfj15HIP_vector_typeIjLj3EEjjjS8_jjjS8_jjjj ; -- Begin function _ZL13mul_mat_vec_qIL9ggml_type2ELi6ELb0ELb0EEvPKvS2_PKi31ggml_cuda_mm_fusion_args_devicePfj15HIP_vector_typeIjLj3EEjjjS8_jjjS8_jjjj
	.p2align	8
	.type	_ZL13mul_mat_vec_qIL9ggml_type2ELi6ELb0ELb0EEvPKvS2_PKi31ggml_cuda_mm_fusion_args_devicePfj15HIP_vector_typeIjLj3EEjjjS8_jjjS8_jjjj,@function
_ZL13mul_mat_vec_qIL9ggml_type2ELi6ELb0ELb0EEvPKvS2_PKi31ggml_cuda_mm_fusion_args_devicePfj15HIP_vector_typeIjLj3EEjjjS8_jjjS8_jjjj: ; @_ZL13mul_mat_vec_qIL9ggml_type2ELi6ELb0ELb0EEvPKvS2_PKi31ggml_cuda_mm_fusion_args_devicePfj15HIP_vector_typeIjLj3EEjjjS8_jjjS8_jjjj
; %bb.0:
	v_bfe_u32 v7, v0, 10, 10
	s_clause 0x5
	s_load_b32 s2, s[0:1], 0x40
	s_load_b96 s[16:18], s[0:1], 0x80
	s_load_b128 s[4:7], s[0:1], 0x50
	s_load_b32 s23, s[0:1], 0x60
	s_load_b128 s[8:11], s[0:1], 0x68
	s_load_b32 s24, s[0:1], 0x78
	v_dual_mov_b32 v3, 0 :: v_dual_and_b32 v4, 0x3ff, v0
	v_dual_mov_b32 v5, 0 :: v_dual_lshlrev_b32 v0, 5, v7
	v_mov_b32_e32 v6, 0
	v_mov_b32_e32 v8, 0
	;; [unrolled: 1-line block ×3, first 2 shown]
	s_delay_alu instid0(VALU_DEP_4) | instskip(SKIP_3) | instid1(VALU_DEP_1)
	v_add_nc_u16 v0, v0, v4
	s_and_b32 s19, ttmp7, 0xffff
	s_lshr_b32 s20, ttmp7, 16
	s_mov_b32 s21, exec_lo
	v_lshrrev_b16 v0, 1, v0
	s_delay_alu instid0(VALU_DEP_1)
	v_dual_mov_b32 v2, 0 :: v_dual_and_b32 v9, 0xffff, v0
	s_wait_kmcnt 0x0
	s_lshr_b32 s22, s2, 5
	s_delay_alu instid0(VALU_DEP_1) | instid1(SALU_CYCLE_1)
	v_cmpx_gt_u32_e64 s22, v9
	s_cbranch_execz .LBB21_4
; %bb.1:
	s_load_b128 s[12:15], s[0:1], 0x0
	v_dual_mov_b32 v2, 0 :: v_dual_lshlrev_b32 v1, 1, v4
	s_mul_i32 s2, s17, s20
	s_mov_b32 s3, 0
	s_mul_hi_u32 s7, s7, s19
	s_delay_alu instid0(VALU_DEP_1)
	v_dual_mov_b32 v8, 0 :: v_dual_and_b32 v5, 2, v1
	s_mul_hi_u32 s11, s11, s20
	s_mul_u64 s[26:27], s[2:3], 36
	s_mul_i32 s2, s9, s19
	s_add_co_i32 s7, s19, s7
	s_add_co_i32 s9, s20, s11
	s_mul_u64 s[28:29], s[2:3], 36
	s_lshr_b32 s2, s7, s23
	v_and_b32_e32 v3, 1, v4
	v_and_b32_e32 v0, 0xffff, v0
	v_lshlrev_b32_e32 v6, 1, v5
	s_lshr_b32 s7, s9, s24
	s_mul_i32 s2, s2, s8
	s_wait_kmcnt 0x0
	s_add_nc_u64 s[8:9], s[14:15], s[26:27]
	v_lshlrev_b32_e32 v13, 2, v5
	s_add_nc_u64 s[8:9], s[8:9], s[28:29]
	v_dual_mov_b32 v5, 0 :: v_dual_lshlrev_b32 v12, 1, v6
	v_dual_mov_b32 v6, 0 :: v_dual_lshlrev_b32 v11, 3, v3
	v_dual_mov_b32 v10, 0 :: v_dual_mov_b32 v3, 0
	v_mad_co_u64_u32 v[0:1], null, v0, 36, s[8:9]
	s_mul_i32 s4, s4, ttmp9
	s_mul_i32 s7, s7, s16
	s_add_co_i32 s2, s2, s4
	s_lshl_b32 s4, s5, 1
	s_add_co_i32 s2, s7, s2
	s_mul_i32 s7, s5, 3
	s_lshl_b32 s11, s5, 2
	s_mul_i32 s14, s5, 5
.LBB21_2:                               ; =>This Inner Loop Header: Depth=1
	v_add_nc_u32_e32 v16, s2, v9
	v_add_nc_u32_e32 v20, s5, v9
	;; [unrolled: 1-line block ×5, first 2 shown]
	v_mad_co_i64_i32 v[16:17], null, v16, 18, s[12:13]
	v_mad_co_u64_u32 v[20:21], null, v20, 36, s[8:9]
	v_mad_co_u64_u32 v[22:23], null, v22, 36, s[8:9]
	v_add_nc_u32_e32 v28, s14, v9
	v_add_co_u32 v14, vcc_lo, v0, v11
	v_mad_co_u64_u32 v[24:25], null, v24, 36, s[8:9]
	s_wait_alu 0xfffd
	v_add_co_ci_u32_e64 v15, null, 0, v1, vcc_lo
	global_load_b32 v44, v[0:1], off
	v_mad_co_u64_u32 v[26:27], null, v26, 36, s[8:9]
	v_add_co_u32 v30, vcc_lo, v16, v12
	v_mad_co_u64_u32 v[28:29], null, v28, 36, s[8:9]
	s_wait_alu 0xfffd
	v_add_co_ci_u32_e64 v31, null, 0, v17, vcc_lo
	v_add_co_u32 v32, vcc_lo, v20, v13
	s_wait_alu 0xfffd
	v_add_co_ci_u32_e64 v33, null, 0, v21, vcc_lo
	v_add_co_u32 v34, vcc_lo, v22, v13
	;; [unrolled: 3-line block ×5, first 2 shown]
	s_wait_alu 0xfffd
	v_add_co_ci_u32_e64 v41, null, 0, v29, vcc_lo
	s_clause 0x1
	global_load_b64 v[18:19], v[14:15], off offset:4
	global_load_b64 v[14:15], v[14:15], off offset:20
	;; [unrolled: 1-line block ×3, first 2 shown]
	s_clause 0xe
	global_load_b64 v[42:43], v[32:33], off offset:4
	global_load_b64 v[32:33], v[32:33], off offset:20
	global_load_b32 v45, v[22:23], off
	global_load_b32 v46, v[20:21], off
	global_load_b64 v[20:21], v[34:35], off offset:4
	global_load_b64 v[22:23], v[34:35], off offset:20
	;; [unrolled: 1-line block ×3, first 2 shown]
	global_load_b32 v47, v[24:25], off
	global_load_b64 v[24:25], v[36:37], off offset:20
	global_load_b64 v[36:37], v[38:39], off offset:4
	;; [unrolled: 1-line block ×3, first 2 shown]
	global_load_b32 v48, v[26:27], off
	global_load_b64 v[26:27], v[40:41], off offset:4
	global_load_b64 v[40:41], v[40:41], off offset:20
	global_load_b32 v28, v[28:29], off
	global_load_u16 v16, v[16:17], off
	v_add_co_u32 v0, vcc_lo, 0x240, v0
	s_wait_alu 0xfffd
	v_add_co_ci_u32_e64 v1, null, 0, v1, vcc_lo
	s_wait_loadcnt 0x13
	v_lshrrev_b32_e32 v17, 16, v44
	s_delay_alu instid0(VALU_DEP_1) | instskip(SKIP_4) | instid1(VALU_DEP_2)
	v_cvt_f32_f16_e32 v17, v17
	s_wait_loadcnt 0xd
	v_lshrrev_b32_e32 v51, 16, v45
	s_wait_loadcnt 0xc
	v_lshrrev_b32_e32 v50, 16, v46
	v_cvt_f32_f16_e32 v51, v51
	v_and_b32_e32 v29, 0xf0f0f0f, v30
	v_lshrrev_b32_e32 v30, 4, v30
	v_mul_f32_e32 v17, 4.0, v17
	s_wait_loadcnt 0x8
	v_lshrrev_b32_e32 v52, 16, v47
	s_wait_loadcnt 0x4
	v_lshrrev_b32_e32 v53, 16, v48
	v_dot4_i32_iu8 v20, v29, v20, 0 neg_lo:[1,1,0]
	v_and_b32_e32 v30, 0xf0f0f0f, v30
	s_wait_loadcnt 0x1
	v_lshrrev_b32_e32 v54, 16, v28
	v_cvt_f32_f16_e32 v52, v52
	v_and_b32_e32 v49, 0xf0f0f0f, v31
	v_lshrrev_b32_e32 v31, 4, v31
	v_dot4_i32_iu8 v20, v30, v22, v20 neg_lo:[1,1,0]
	v_mul_f32_e32 v22, 4.0, v51
	v_dot4_i32_iu8 v18, v29, v18, 0 neg_lo:[1,1,0]
	v_dot4_i32_iu8 v42, v29, v42, 0 neg_lo:[1,1,0]
	;; [unrolled: 1-line block ×10, first 2 shown]
	v_cvt_f32_f16_e32 v53, v53
	v_dual_mul_f32 v34, 4.0, v52 :: v_dual_and_b32 v31, 0xf0f0f0f, v31
	v_dot4_i32_iu8 v14, v49, v19, v14 neg_lo:[1,1,0]
	v_dot4_i32_iu8 v18, v49, v43, v18 neg_lo:[1,1,0]
	;; [unrolled: 1-line block ×6, first 2 shown]
	v_cvt_f32_f16_e32 v50, v50
	v_cvt_f32_f16_e32 v29, v54
	v_mul_f32_e32 v38, 4.0, v53
	v_dot4_i32_iu8 v14, v31, v15, v14 neg_lo:[1,1,0]
	v_dot4_i32_iu8 v15, v31, v33, v18 neg_lo:[1,1,0]
	;; [unrolled: 1-line block ×6, first 2 shown]
	v_dual_mul_f32 v32, 4.0, v50 :: v_dual_add_nc_u32 v9, 16, v9
	v_mul_f32_e32 v29, 4.0, v29
	v_cvt_f32_i32_e32 v14, v14
	v_cvt_f32_i32_e32 v15, v15
	v_cvt_f32_i32_e32 v18, v18
	v_cvt_f32_i32_e32 v19, v19
	v_cvt_f32_i32_e32 v20, v20
	v_cvt_f32_i32_e32 v21, v21
	v_fma_mix_f32 v14, v14, v44, -v17 op_sel_hi:[0,1,0]
	v_fma_mix_f32 v15, v15, v46, -v32 op_sel_hi:[0,1,0]
	;; [unrolled: 1-line block ×6, first 2 shown]
	v_cmp_le_u32_e32 vcc_lo, s22, v9
	s_wait_loadcnt 0x0
	v_fma_mix_f32 v10, v14, v16, v10 op_sel_hi:[0,1,0]
	v_fma_mix_f32 v8, v15, v16, v8 op_sel_hi:[0,1,0]
	;; [unrolled: 1-line block ×6, first 2 shown]
	s_or_b32 s3, vcc_lo, s3
	s_wait_alu 0xfffe
	s_and_not1_b32 exec_lo, exec_lo, s3
	s_cbranch_execnz .LBB21_2
; %bb.3:
	s_or_b32 exec_lo, exec_lo, s3
.LBB21_4:
	s_delay_alu instid0(SALU_CYCLE_1)
	s_or_b32 exec_lo, exec_lo, s21
	s_mov_b32 s3, 0
	; wave barrier
	global_inv scope:SCOPE_SE
	s_mov_b32 s2, exec_lo
	v_cmpx_eq_u32_e32 0, v7
	s_cbranch_execz .LBB21_17
; %bb.5:
	v_mbcnt_lo_u32_b32 v11, -1, 0
	s_load_b64 s[0:1], s[0:1], 0x38
	s_mul_i32 s2, s10, s19
	s_mul_i32 s4, s18, s20
	s_wait_alu 0xfffe
	s_add_co_i32 s2, s2, ttmp9
	v_xor_b32_e32 v0, 16, v11
	v_xor_b32_e32 v1, 8, v11
	s_wait_alu 0xfffe
	s_add_co_i32 s2, s2, s4
	s_wait_alu 0xfffe
	s_lshl_b64 s[2:3], s[2:3], 2
	v_cmp_gt_i32_e32 vcc_lo, 32, v0
	s_wait_alu 0xfffd
	v_cndmask_b32_e32 v0, v11, v0, vcc_lo
	v_cmp_gt_i32_e32 vcc_lo, 32, v1
	s_wait_alu 0xfffd
	v_cndmask_b32_e32 v1, v11, v1, vcc_lo
	s_wait_kmcnt 0x0
	s_wait_alu 0xfffe
	s_add_nc_u64 s[0:1], s[0:1], s[2:3]
	s_delay_alu instid0(VALU_DEP_1)
	v_lshlrev_b32_e32 v1, 2, v1
	v_lshlrev_b32_e32 v0, 2, v0
	ds_bpermute_b32 v7, v0, v10
	s_wait_dscnt 0x0
	v_add_f32_e32 v9, v10, v7
	v_xor_b32_e32 v7, 4, v11
	ds_bpermute_b32 v10, v1, v9
	v_cmp_gt_i32_e32 vcc_lo, 32, v7
	s_wait_dscnt 0x0
	s_wait_alu 0xfffd
	v_dual_add_f32 v10, v9, v10 :: v_dual_cndmask_b32 v7, v11, v7
	v_xor_b32_e32 v9, 2, v11
	s_delay_alu instid0(VALU_DEP_2) | instskip(NEXT) | instid1(VALU_DEP_2)
	v_lshlrev_b32_e32 v7, 2, v7
	v_cmp_gt_i32_e32 vcc_lo, 32, v9
	ds_bpermute_b32 v12, v7, v10
	s_wait_dscnt 0x0
	s_wait_alu 0xfffd
	v_dual_cndmask_b32 v9, v11, v9 :: v_dual_add_f32 v12, v10, v12
	v_xor_b32_e32 v10, 1, v11
	s_delay_alu instid0(VALU_DEP_1) | instskip(SKIP_3) | instid1(VALU_DEP_2)
	v_cmp_gt_i32_e32 vcc_lo, 32, v10
	s_wait_alu 0xfffd
	v_cndmask_b32_e32 v10, v11, v10, vcc_lo
	v_cmp_eq_u32_e32 vcc_lo, 0, v4
	v_lshlrev_b32_e32 v10, 2, v10
	v_lshlrev_b32_e32 v9, 2, v9
	ds_bpermute_b32 v13, v9, v12
	s_wait_dscnt 0x0
	v_add_f32_e32 v11, v12, v13
	ds_bpermute_b32 v12, v10, v11
	s_and_saveexec_b32 s2, vcc_lo
	s_cbranch_execz .LBB21_7
; %bb.6:
	s_wait_dscnt 0x0
	v_dual_add_f32 v4, v11, v12 :: v_dual_mov_b32 v11, 0
	global_store_b32 v11, v4, s[0:1]
.LBB21_7:
	s_wait_alu 0xfffe
	s_or_b32 exec_lo, exec_lo, s2
	ds_bpermute_b32 v4, v0, v8
	s_wait_dscnt 0x0
	v_add_f32_e32 v4, v8, v4
	ds_bpermute_b32 v8, v1, v4
	s_wait_dscnt 0x0
	v_add_f32_e32 v4, v4, v8
	ds_bpermute_b32 v8, v7, v4
	s_wait_dscnt 0x0
	v_add_f32_e32 v4, v4, v8
	ds_bpermute_b32 v8, v9, v4
	s_wait_dscnt 0x0
	v_add_f32_e32 v4, v4, v8
	ds_bpermute_b32 v8, v10, v4
	s_and_saveexec_b32 s2, vcc_lo
	s_cbranch_execz .LBB21_9
; %bb.8:
	s_mov_b32 s7, 0
	s_wait_dscnt 0x0
	v_add_f32_e32 v4, v4, v8
	v_mov_b32_e32 v8, 0
	s_wait_alu 0xfffe
	s_lshl_b64 s[4:5], s[6:7], 2
	s_wait_alu 0xfffe
	s_add_nc_u64 s[4:5], s[0:1], s[4:5]
	global_store_b32 v8, v4, s[4:5]
.LBB21_9:
	s_wait_alu 0xfffe
	s_or_b32 exec_lo, exec_lo, s2
	ds_bpermute_b32 v4, v0, v6
	s_wait_dscnt 0x0
	v_add_f32_e32 v4, v6, v4
	ds_bpermute_b32 v6, v1, v4
	s_wait_dscnt 0x0
	v_add_f32_e32 v4, v4, v6
	;; [unrolled: 3-line block ×4, first 2 shown]
	ds_bpermute_b32 v6, v10, v4
	s_and_saveexec_b32 s2, vcc_lo
	s_cbranch_execz .LBB21_11
; %bb.10:
	s_lshl_b32 s4, s6, 1
	s_mov_b32 s5, 0
	s_wait_dscnt 0x0
	v_add_f32_e32 v4, v4, v6
	v_mov_b32_e32 v6, 0
	s_wait_alu 0xfffe
	s_lshl_b64 s[4:5], s[4:5], 2
	s_wait_alu 0xfffe
	s_add_nc_u64 s[4:5], s[0:1], s[4:5]
	global_store_b32 v6, v4, s[4:5]
.LBB21_11:
	s_wait_alu 0xfffe
	s_or_b32 exec_lo, exec_lo, s2
	ds_bpermute_b32 v4, v0, v5
	s_wait_dscnt 0x0
	v_add_f32_e32 v4, v5, v4
	ds_bpermute_b32 v5, v1, v4
	s_wait_dscnt 0x0
	v_add_f32_e32 v4, v4, v5
	ds_bpermute_b32 v5, v7, v4
	s_wait_dscnt 0x0
	v_add_f32_e32 v4, v4, v5
	ds_bpermute_b32 v5, v9, v4
	s_wait_dscnt 0x0
	v_add_f32_e32 v4, v4, v5
	ds_bpermute_b32 v5, v10, v4
	s_and_saveexec_b32 s2, vcc_lo
	s_cbranch_execz .LBB21_13
; %bb.12:
	s_mul_i32 s4, s6, 3
	s_mov_b32 s5, 0
	s_wait_dscnt 0x0
	v_dual_add_f32 v4, v4, v5 :: v_dual_mov_b32 v5, 0
	s_wait_alu 0xfffe
	s_lshl_b64 s[4:5], s[4:5], 2
	s_wait_alu 0xfffe
	s_add_nc_u64 s[4:5], s[0:1], s[4:5]
	global_store_b32 v5, v4, s[4:5]
.LBB21_13:
	s_wait_alu 0xfffe
	s_or_b32 exec_lo, exec_lo, s2
	ds_bpermute_b32 v4, v0, v3
	s_wait_dscnt 0x0
	v_add_f32_e32 v3, v3, v4
	ds_bpermute_b32 v4, v1, v3
	s_wait_dscnt 0x0
	v_add_f32_e32 v3, v3, v4
	;; [unrolled: 3-line block ×4, first 2 shown]
	ds_bpermute_b32 v4, v10, v3
	s_and_saveexec_b32 s2, vcc_lo
	s_cbranch_execz .LBB21_15
; %bb.14:
	s_lshl_b32 s4, s6, 2
	s_mov_b32 s5, 0
	s_wait_dscnt 0x0
	v_dual_add_f32 v3, v3, v4 :: v_dual_mov_b32 v4, 0
	s_wait_alu 0xfffe
	s_lshl_b64 s[4:5], s[4:5], 2
	s_wait_alu 0xfffe
	s_add_nc_u64 s[4:5], s[0:1], s[4:5]
	global_store_b32 v4, v3, s[4:5]
.LBB21_15:
	s_wait_alu 0xfffe
	s_or_b32 exec_lo, exec_lo, s2
	ds_bpermute_b32 v0, v0, v2
	s_wait_dscnt 0x0
	v_add_f32_e32 v0, v2, v0
	ds_bpermute_b32 v1, v1, v0
	s_wait_dscnt 0x0
	v_add_f32_e32 v0, v0, v1
	;; [unrolled: 3-line block ×4, first 2 shown]
	ds_bpermute_b32 v1, v10, v0
	s_and_b32 exec_lo, exec_lo, vcc_lo
	s_cbranch_execz .LBB21_17
; %bb.16:
	s_mul_i32 s2, s6, 5
	s_mov_b32 s3, 0
	s_wait_dscnt 0x0
	v_dual_add_f32 v0, v0, v1 :: v_dual_mov_b32 v1, 0
	s_wait_alu 0xfffe
	s_lshl_b64 s[2:3], s[2:3], 2
	s_wait_alu 0xfffe
	s_add_nc_u64 s[0:1], s[0:1], s[2:3]
	global_store_b32 v1, v0, s[0:1]
.LBB21_17:
	s_endpgm
	.section	.rodata,"a",@progbits
	.p2align	6, 0x0
	.amdhsa_kernel _ZL13mul_mat_vec_qIL9ggml_type2ELi6ELb0ELb0EEvPKvS2_PKi31ggml_cuda_mm_fusion_args_devicePfj15HIP_vector_typeIjLj3EEjjjS8_jjjS8_jjjj
		.amdhsa_group_segment_fixed_size 0
		.amdhsa_private_segment_fixed_size 0
		.amdhsa_kernarg_size 144
		.amdhsa_user_sgpr_count 2
		.amdhsa_user_sgpr_dispatch_ptr 0
		.amdhsa_user_sgpr_queue_ptr 0
		.amdhsa_user_sgpr_kernarg_segment_ptr 1
		.amdhsa_user_sgpr_dispatch_id 0
		.amdhsa_user_sgpr_private_segment_size 0
		.amdhsa_wavefront_size32 1
		.amdhsa_uses_dynamic_stack 0
		.amdhsa_enable_private_segment 0
		.amdhsa_system_sgpr_workgroup_id_x 1
		.amdhsa_system_sgpr_workgroup_id_y 1
		.amdhsa_system_sgpr_workgroup_id_z 1
		.amdhsa_system_sgpr_workgroup_info 0
		.amdhsa_system_vgpr_workitem_id 1
		.amdhsa_next_free_vgpr 55
		.amdhsa_next_free_sgpr 30
		.amdhsa_reserve_vcc 1
		.amdhsa_float_round_mode_32 0
		.amdhsa_float_round_mode_16_64 0
		.amdhsa_float_denorm_mode_32 3
		.amdhsa_float_denorm_mode_16_64 3
		.amdhsa_fp16_overflow 0
		.amdhsa_workgroup_processor_mode 1
		.amdhsa_memory_ordered 1
		.amdhsa_forward_progress 1
		.amdhsa_inst_pref_size 18
		.amdhsa_round_robin_scheduling 0
		.amdhsa_exception_fp_ieee_invalid_op 0
		.amdhsa_exception_fp_denorm_src 0
		.amdhsa_exception_fp_ieee_div_zero 0
		.amdhsa_exception_fp_ieee_overflow 0
		.amdhsa_exception_fp_ieee_underflow 0
		.amdhsa_exception_fp_ieee_inexact 0
		.amdhsa_exception_int_div_zero 0
	.end_amdhsa_kernel
	.section	.text._ZL13mul_mat_vec_qIL9ggml_type2ELi6ELb0ELb0EEvPKvS2_PKi31ggml_cuda_mm_fusion_args_devicePfj15HIP_vector_typeIjLj3EEjjjS8_jjjS8_jjjj,"axG",@progbits,_ZL13mul_mat_vec_qIL9ggml_type2ELi6ELb0ELb0EEvPKvS2_PKi31ggml_cuda_mm_fusion_args_devicePfj15HIP_vector_typeIjLj3EEjjjS8_jjjS8_jjjj,comdat
.Lfunc_end21:
	.size	_ZL13mul_mat_vec_qIL9ggml_type2ELi6ELb0ELb0EEvPKvS2_PKi31ggml_cuda_mm_fusion_args_devicePfj15HIP_vector_typeIjLj3EEjjjS8_jjjS8_jjjj, .Lfunc_end21-_ZL13mul_mat_vec_qIL9ggml_type2ELi6ELb0ELb0EEvPKvS2_PKi31ggml_cuda_mm_fusion_args_devicePfj15HIP_vector_typeIjLj3EEjjjS8_jjjS8_jjjj
                                        ; -- End function
	.set _ZL13mul_mat_vec_qIL9ggml_type2ELi6ELb0ELb0EEvPKvS2_PKi31ggml_cuda_mm_fusion_args_devicePfj15HIP_vector_typeIjLj3EEjjjS8_jjjS8_jjjj.num_vgpr, 55
	.set _ZL13mul_mat_vec_qIL9ggml_type2ELi6ELb0ELb0EEvPKvS2_PKi31ggml_cuda_mm_fusion_args_devicePfj15HIP_vector_typeIjLj3EEjjjS8_jjjS8_jjjj.num_agpr, 0
	.set _ZL13mul_mat_vec_qIL9ggml_type2ELi6ELb0ELb0EEvPKvS2_PKi31ggml_cuda_mm_fusion_args_devicePfj15HIP_vector_typeIjLj3EEjjjS8_jjjS8_jjjj.numbered_sgpr, 30
	.set _ZL13mul_mat_vec_qIL9ggml_type2ELi6ELb0ELb0EEvPKvS2_PKi31ggml_cuda_mm_fusion_args_devicePfj15HIP_vector_typeIjLj3EEjjjS8_jjjS8_jjjj.num_named_barrier, 0
	.set _ZL13mul_mat_vec_qIL9ggml_type2ELi6ELb0ELb0EEvPKvS2_PKi31ggml_cuda_mm_fusion_args_devicePfj15HIP_vector_typeIjLj3EEjjjS8_jjjS8_jjjj.private_seg_size, 0
	.set _ZL13mul_mat_vec_qIL9ggml_type2ELi6ELb0ELb0EEvPKvS2_PKi31ggml_cuda_mm_fusion_args_devicePfj15HIP_vector_typeIjLj3EEjjjS8_jjjS8_jjjj.uses_vcc, 1
	.set _ZL13mul_mat_vec_qIL9ggml_type2ELi6ELb0ELb0EEvPKvS2_PKi31ggml_cuda_mm_fusion_args_devicePfj15HIP_vector_typeIjLj3EEjjjS8_jjjS8_jjjj.uses_flat_scratch, 0
	.set _ZL13mul_mat_vec_qIL9ggml_type2ELi6ELb0ELb0EEvPKvS2_PKi31ggml_cuda_mm_fusion_args_devicePfj15HIP_vector_typeIjLj3EEjjjS8_jjjS8_jjjj.has_dyn_sized_stack, 0
	.set _ZL13mul_mat_vec_qIL9ggml_type2ELi6ELb0ELb0EEvPKvS2_PKi31ggml_cuda_mm_fusion_args_devicePfj15HIP_vector_typeIjLj3EEjjjS8_jjjS8_jjjj.has_recursion, 0
	.set _ZL13mul_mat_vec_qIL9ggml_type2ELi6ELb0ELb0EEvPKvS2_PKi31ggml_cuda_mm_fusion_args_devicePfj15HIP_vector_typeIjLj3EEjjjS8_jjjS8_jjjj.has_indirect_call, 0
	.section	.AMDGPU.csdata,"",@progbits
; Kernel info:
; codeLenInByte = 2304
; TotalNumSgprs: 32
; NumVgprs: 55
; ScratchSize: 0
; MemoryBound: 0
; FloatMode: 240
; IeeeMode: 1
; LDSByteSize: 0 bytes/workgroup (compile time only)
; SGPRBlocks: 0
; VGPRBlocks: 6
; NumSGPRsForWavesPerEU: 32
; NumVGPRsForWavesPerEU: 55
; Occupancy: 16
; WaveLimiterHint : 0
; COMPUTE_PGM_RSRC2:SCRATCH_EN: 0
; COMPUTE_PGM_RSRC2:USER_SGPR: 2
; COMPUTE_PGM_RSRC2:TRAP_HANDLER: 0
; COMPUTE_PGM_RSRC2:TGID_X_EN: 1
; COMPUTE_PGM_RSRC2:TGID_Y_EN: 1
; COMPUTE_PGM_RSRC2:TGID_Z_EN: 1
; COMPUTE_PGM_RSRC2:TIDIG_COMP_CNT: 1
	.section	.text._ZL13mul_mat_vec_qIL9ggml_type2ELi7ELb0ELb0EEvPKvS2_PKi31ggml_cuda_mm_fusion_args_devicePfj15HIP_vector_typeIjLj3EEjjjS8_jjjS8_jjjj,"axG",@progbits,_ZL13mul_mat_vec_qIL9ggml_type2ELi7ELb0ELb0EEvPKvS2_PKi31ggml_cuda_mm_fusion_args_devicePfj15HIP_vector_typeIjLj3EEjjjS8_jjjS8_jjjj,comdat
	.globl	_ZL13mul_mat_vec_qIL9ggml_type2ELi7ELb0ELb0EEvPKvS2_PKi31ggml_cuda_mm_fusion_args_devicePfj15HIP_vector_typeIjLj3EEjjjS8_jjjS8_jjjj ; -- Begin function _ZL13mul_mat_vec_qIL9ggml_type2ELi7ELb0ELb0EEvPKvS2_PKi31ggml_cuda_mm_fusion_args_devicePfj15HIP_vector_typeIjLj3EEjjjS8_jjjS8_jjjj
	.p2align	8
	.type	_ZL13mul_mat_vec_qIL9ggml_type2ELi7ELb0ELb0EEvPKvS2_PKi31ggml_cuda_mm_fusion_args_devicePfj15HIP_vector_typeIjLj3EEjjjS8_jjjS8_jjjj,@function
_ZL13mul_mat_vec_qIL9ggml_type2ELi7ELb0ELb0EEvPKvS2_PKi31ggml_cuda_mm_fusion_args_devicePfj15HIP_vector_typeIjLj3EEjjjS8_jjjS8_jjjj: ; @_ZL13mul_mat_vec_qIL9ggml_type2ELi7ELb0ELb0EEvPKvS2_PKi31ggml_cuda_mm_fusion_args_devicePfj15HIP_vector_typeIjLj3EEjjjS8_jjjS8_jjjj
; %bb.0:
	v_bfe_u32 v8, v0, 10, 10
	s_clause 0x5
	s_load_b32 s2, s[0:1], 0x40
	s_load_b96 s[16:18], s[0:1], 0x80
	s_load_b128 s[4:7], s[0:1], 0x50
	s_load_b32 s23, s[0:1], 0x60
	s_load_b128 s[8:11], s[0:1], 0x68
	s_load_b32 s24, s[0:1], 0x78
	v_dual_mov_b32 v2, 0 :: v_dual_and_b32 v5, 0x3ff, v0
	v_dual_mov_b32 v3, 0 :: v_dual_lshlrev_b32 v0, 5, v8
	v_dual_mov_b32 v4, 0 :: v_dual_mov_b32 v7, 0
	v_dual_mov_b32 v6, 0 :: v_dual_mov_b32 v11, 0
	s_delay_alu instid0(VALU_DEP_3)
	v_add_nc_u16 v0, v0, v5
	s_and_b32 s19, ttmp7, 0xffff
	s_lshr_b32 s20, ttmp7, 16
	s_mov_b32 s21, exec_lo
	v_mov_b32_e32 v9, 0
	v_lshrrev_b16 v0, 1, v0
	s_wait_kmcnt 0x0
	s_lshr_b32 s22, s2, 5
	s_delay_alu instid0(VALU_DEP_1) | instskip(NEXT) | instid1(VALU_DEP_1)
	v_and_b32_e32 v10, 0xffff, v0
	v_cmpx_gt_u32_e64 s22, v10
	s_cbranch_execz .LBB22_4
; %bb.1:
	s_load_b128 s[12:15], s[0:1], 0x0
	v_dual_mov_b32 v2, 0 :: v_dual_lshlrev_b32 v1, 1, v5
	s_mul_i32 s2, s17, s20
	s_mov_b32 s3, 0
	s_mul_hi_u32 s7, s7, s19
	s_mul_hi_u32 s11, s11, s20
	s_mul_u64 s[26:27], s[2:3], 36
	s_mul_i32 s2, s9, s19
	s_add_co_i32 s7, s19, s7
	v_dual_mov_b32 v7, 0 :: v_dual_and_b32 v4, 2, v1
	s_add_co_i32 s9, s20, s11
	s_mul_u64 s[28:29], s[2:3], 36
	s_lshr_b32 s2, s7, s23
	v_and_b32_e32 v3, 1, v5
	v_and_b32_e32 v0, 0xffff, v0
	s_lshr_b32 s7, s9, s24
	s_mul_i32 s2, s2, s8
	v_dual_mov_b32 v9, 0 :: v_dual_lshlrev_b32 v6, 1, v4
	s_wait_kmcnt 0x0
	s_add_nc_u64 s[8:9], s[14:15], s[26:27]
	v_lshlrev_b32_e32 v14, 2, v4
	s_add_nc_u64 s[8:9], s[8:9], s[28:29]
	v_mov_b32_e32 v4, 0
	v_dual_mov_b32 v11, 0 :: v_dual_lshlrev_b32 v12, 3, v3
	v_mov_b32_e32 v3, 0
	v_mad_co_u64_u32 v[0:1], null, v0, 36, s[8:9]
	s_mul_i32 s4, s4, ttmp9
	v_dual_mov_b32 v6, 0 :: v_dual_lshlrev_b32 v13, 1, v6
	s_mul_i32 s7, s7, s16
	s_add_co_i32 s2, s2, s4
	s_lshl_b32 s4, s5, 1
	s_add_co_i32 s2, s7, s2
	s_mul_i32 s7, s5, 3
	s_lshl_b32 s11, s5, 2
	s_mul_i32 s14, s5, 5
	s_mul_i32 s15, s5, 6
.LBB22_2:                               ; =>This Inner Loop Header: Depth=1
	v_add_nc_u32_e32 v17, s2, v10
	v_add_nc_u32_e32 v21, s5, v10
	;; [unrolled: 1-line block ×5, first 2 shown]
	v_mad_co_i64_i32 v[17:18], null, v17, 18, s[12:13]
	v_mad_co_u64_u32 v[21:22], null, v21, 36, s[8:9]
	v_mad_co_u64_u32 v[23:24], null, v23, 36, s[8:9]
	v_add_nc_u32_e32 v29, s14, v10
	v_add_co_u32 v15, vcc_lo, v0, v12
	v_mad_co_u64_u32 v[25:26], null, v25, 36, s[8:9]
	v_add_nc_u32_e32 v31, s15, v10
	s_wait_alu 0xfffd
	v_add_co_ci_u32_e64 v16, null, 0, v1, vcc_lo
	v_mad_co_u64_u32 v[27:28], null, v27, 36, s[8:9]
	v_add_co_u32 v33, vcc_lo, v17, v13
	v_mad_co_u64_u32 v[29:30], null, v29, 36, s[8:9]
	s_wait_alu 0xfffd
	v_add_co_ci_u32_e64 v34, null, 0, v18, vcc_lo
	v_add_co_u32 v35, vcc_lo, v21, v14
	v_mad_co_u64_u32 v[31:32], null, v31, 36, s[8:9]
	s_wait_alu 0xfffd
	v_add_co_ci_u32_e64 v36, null, 0, v22, vcc_lo
	v_add_co_u32 v37, vcc_lo, v23, v14
	s_wait_alu 0xfffd
	v_add_co_ci_u32_e64 v38, null, 0, v24, vcc_lo
	v_add_co_u32 v39, vcc_lo, v25, v14
	;; [unrolled: 3-line block ×5, first 2 shown]
	s_wait_alu 0xfffd
	v_add_co_ci_u32_e64 v46, null, 0, v32, vcc_lo
	s_clause 0x2
	global_load_b32 v51, v[0:1], off
	global_load_b64 v[19:20], v[15:16], off offset:4
	global_load_b64 v[15:16], v[15:16], off offset:20
	;; [unrolled: 1-line block ×3, first 2 shown]
	s_clause 0x11
	global_load_b64 v[47:48], v[35:36], off offset:4
	global_load_b64 v[35:36], v[35:36], off offset:20
	global_load_b32 v52, v[23:24], off
	global_load_b32 v53, v[21:22], off
	global_load_b64 v[21:22], v[37:38], off offset:4
	global_load_b64 v[23:24], v[37:38], off offset:20
	global_load_b64 v[37:38], v[39:40], off offset:4
	global_load_b32 v54, v[25:26], off
	global_load_b64 v[25:26], v[39:40], off offset:20
	global_load_b64 v[39:40], v[41:42], off offset:4
	global_load_b64 v[41:42], v[41:42], off offset:20
	;; [unrolled: 4-line block ×3, first 2 shown]
	global_load_b64 v[43:44], v[43:44], off offset:20
	global_load_b32 v31, v[31:32], off
	global_load_b32 v29, v[29:30], off
	global_load_u16 v17, v[17:18], off
	v_add_co_u32 v0, vcc_lo, 0x240, v0
	s_wait_alu 0xfffd
	v_add_co_ci_u32_e64 v1, null, 0, v1, vcc_lo
	s_wait_loadcnt 0x13
	v_lshrrev_b32_e32 v32, 4, v33
	s_wait_loadcnt 0x10
	v_lshrrev_b32_e32 v57, 16, v52
	;; [unrolled: 2-line block ×4, first 2 shown]
	s_delay_alu instid0(VALU_DEP_2)
	v_cvt_f32_f16_e32 v56, v56
	v_cvt_f32_f16_e32 v57, v57
	v_add_nc_u32_e32 v10, 16, v10
	s_wait_loadcnt 0x7
	v_lshrrev_b32_e32 v59, 16, v55
	v_cvt_f32_f16_e32 v58, v58
	v_and_b32_e32 v30, 0xf0f0f0f, v33
	v_and_b32_e32 v33, 0xf0f0f0f, v34
	v_lshrrev_b32_e32 v34, 4, v34
	v_cvt_f32_f16_e32 v59, v59
	v_and_b32_e32 v32, 0xf0f0f0f, v32
	v_dot4_i32_iu8 v37, v30, v37, 0 neg_lo:[1,1,0]
	s_wait_loadcnt 0x1
	v_lshrrev_b32_e32 v60, 16, v29
	v_lshrrev_b32_e32 v18, 16, v51
	;; [unrolled: 1-line block ×3, first 2 shown]
	v_dot4_i32_iu8 v25, v32, v25, v37 neg_lo:[1,1,0]
	v_mul_f32_e32 v37, 4.0, v58
	v_dot4_i32_iu8 v19, v30, v19, 0 neg_lo:[1,1,0]
	v_dot4_i32_iu8 v47, v30, v47, 0 neg_lo:[1,1,0]
	;; [unrolled: 1-line block ×6, first 2 shown]
	v_cvt_f32_f16_e32 v60, v60
	v_and_b32_e32 v34, 0xf0f0f0f, v34
	v_dot4_i32_iu8 v39, v32, v41, v39 neg_lo:[1,1,0]
	v_mul_f32_e32 v41, 4.0, v59
	v_dot4_i32_iu8 v15, v32, v15, v19 neg_lo:[1,1,0]
	v_dot4_i32_iu8 v19, v32, v35, v47 neg_lo:[1,1,0]
	v_dot4_i32_iu8 v21, v32, v23, v21 neg_lo:[1,1,0]
	v_dot4_i32_iu8 v43, v32, v43, v49 neg_lo:[1,1,0]
	v_dot4_i32_iu8 v27, v32, v45, v27 neg_lo:[1,1,0]
	v_dot4_i32_iu8 v15, v33, v20, v15 neg_lo:[1,1,0]
	v_dot4_i32_iu8 v19, v33, v48, v19 neg_lo:[1,1,0]
	v_dot4_i32_iu8 v20, v33, v22, v21 neg_lo:[1,1,0]
	v_dot4_i32_iu8 v21, v33, v38, v25 neg_lo:[1,1,0]
	v_dot4_i32_iu8 v22, v33, v40, v39 neg_lo:[1,1,0]
	v_dot4_i32_iu8 v25, v33, v50, v43 neg_lo:[1,1,0]
	v_dot4_i32_iu8 v27, v33, v28, v27 neg_lo:[1,1,0]
	v_cvt_f32_f16_e32 v18, v18
	v_cvt_f32_f16_e32 v30, v61
	v_mul_f32_e32 v47, 4.0, v60
	v_dot4_i32_iu8 v15, v34, v16, v15 neg_lo:[1,1,0]
	v_dot4_i32_iu8 v16, v34, v36, v19 neg_lo:[1,1,0]
	;; [unrolled: 1-line block ×7, first 2 shown]
	v_dual_mul_f32 v18, 4.0, v18 :: v_dual_mul_f32 v23, 4.0, v57
	v_dual_mul_f32 v35, 4.0, v56 :: v_dual_mul_f32 v30, 4.0, v30
	v_cvt_f32_i32_e32 v15, v15
	v_cvt_f32_i32_e32 v16, v16
	;; [unrolled: 1-line block ×7, first 2 shown]
	v_fma_mix_f32 v15, v15, v51, -v18 op_sel_hi:[0,1,0]
	v_fma_mix_f32 v16, v16, v53, -v35 op_sel_hi:[0,1,0]
	;; [unrolled: 1-line block ×7, first 2 shown]
	v_cmp_le_u32_e32 vcc_lo, s22, v10
	s_wait_loadcnt 0x0
	v_fma_mix_f32 v11, v15, v17, v11 op_sel_hi:[0,1,0]
	v_fma_mix_f32 v9, v16, v17, v9 op_sel_hi:[0,1,0]
	;; [unrolled: 1-line block ×7, first 2 shown]
	s_or_b32 s3, vcc_lo, s3
	s_wait_alu 0xfffe
	s_and_not1_b32 exec_lo, exec_lo, s3
	s_cbranch_execnz .LBB22_2
; %bb.3:
	s_or_b32 exec_lo, exec_lo, s3
.LBB22_4:
	s_delay_alu instid0(SALU_CYCLE_1)
	s_or_b32 exec_lo, exec_lo, s21
	s_mov_b32 s3, 0
	; wave barrier
	global_inv scope:SCOPE_SE
	s_mov_b32 s2, exec_lo
	v_cmpx_eq_u32_e32 0, v8
	s_cbranch_execz .LBB22_19
; %bb.5:
	v_mbcnt_lo_u32_b32 v12, -1, 0
	s_load_b64 s[0:1], s[0:1], 0x38
	s_mul_i32 s2, s10, s19
	s_mul_i32 s4, s18, s20
	s_wait_alu 0xfffe
	s_add_co_i32 s2, s2, ttmp9
	v_xor_b32_e32 v0, 16, v12
	v_xor_b32_e32 v1, 8, v12
	s_wait_alu 0xfffe
	s_add_co_i32 s2, s2, s4
	s_wait_alu 0xfffe
	s_lshl_b64 s[2:3], s[2:3], 2
	v_cmp_gt_i32_e32 vcc_lo, 32, v0
	s_wait_alu 0xfffd
	v_cndmask_b32_e32 v0, v12, v0, vcc_lo
	v_cmp_gt_i32_e32 vcc_lo, 32, v1
	s_wait_alu 0xfffd
	v_cndmask_b32_e32 v1, v12, v1, vcc_lo
	s_wait_kmcnt 0x0
	s_wait_alu 0xfffe
	s_add_nc_u64 s[0:1], s[0:1], s[2:3]
	s_delay_alu instid0(VALU_DEP_1)
	v_lshlrev_b32_e32 v1, 2, v1
	v_lshlrev_b32_e32 v0, 2, v0
	ds_bpermute_b32 v8, v0, v11
	s_wait_dscnt 0x0
	v_add_f32_e32 v10, v11, v8
	v_xor_b32_e32 v8, 4, v12
	ds_bpermute_b32 v11, v1, v10
	v_cmp_gt_i32_e32 vcc_lo, 32, v8
	s_wait_dscnt 0x0
	s_wait_alu 0xfffd
	v_dual_add_f32 v11, v10, v11 :: v_dual_cndmask_b32 v8, v12, v8
	v_xor_b32_e32 v10, 2, v12
	s_delay_alu instid0(VALU_DEP_2) | instskip(NEXT) | instid1(VALU_DEP_2)
	v_lshlrev_b32_e32 v8, 2, v8
	v_cmp_gt_i32_e32 vcc_lo, 32, v10
	ds_bpermute_b32 v13, v8, v11
	s_wait_dscnt 0x0
	s_wait_alu 0xfffd
	v_dual_cndmask_b32 v10, v12, v10 :: v_dual_add_f32 v13, v11, v13
	v_xor_b32_e32 v11, 1, v12
	s_delay_alu instid0(VALU_DEP_1) | instskip(SKIP_3) | instid1(VALU_DEP_2)
	v_cmp_gt_i32_e32 vcc_lo, 32, v11
	s_wait_alu 0xfffd
	v_cndmask_b32_e32 v11, v12, v11, vcc_lo
	v_cmp_eq_u32_e32 vcc_lo, 0, v5
	v_lshlrev_b32_e32 v11, 2, v11
	v_lshlrev_b32_e32 v10, 2, v10
	ds_bpermute_b32 v14, v10, v13
	s_wait_dscnt 0x0
	v_add_f32_e32 v12, v13, v14
	ds_bpermute_b32 v13, v11, v12
	s_and_saveexec_b32 s2, vcc_lo
	s_cbranch_execz .LBB22_7
; %bb.6:
	s_wait_dscnt 0x0
	v_dual_add_f32 v5, v12, v13 :: v_dual_mov_b32 v12, 0
	global_store_b32 v12, v5, s[0:1]
.LBB22_7:
	s_wait_alu 0xfffe
	s_or_b32 exec_lo, exec_lo, s2
	ds_bpermute_b32 v5, v0, v9
	s_wait_dscnt 0x0
	v_add_f32_e32 v5, v9, v5
	ds_bpermute_b32 v9, v1, v5
	s_wait_dscnt 0x0
	v_add_f32_e32 v5, v5, v9
	;; [unrolled: 3-line block ×4, first 2 shown]
	ds_bpermute_b32 v9, v11, v5
	s_and_saveexec_b32 s2, vcc_lo
	s_cbranch_execz .LBB22_9
; %bb.8:
	s_mov_b32 s7, 0
	s_wait_dscnt 0x0
	v_add_f32_e32 v5, v5, v9
	v_mov_b32_e32 v9, 0
	s_wait_alu 0xfffe
	s_lshl_b64 s[4:5], s[6:7], 2
	s_wait_alu 0xfffe
	s_add_nc_u64 s[4:5], s[0:1], s[4:5]
	global_store_b32 v9, v5, s[4:5]
.LBB22_9:
	s_wait_alu 0xfffe
	s_or_b32 exec_lo, exec_lo, s2
	ds_bpermute_b32 v5, v0, v7
	s_wait_dscnt 0x0
	v_add_f32_e32 v5, v7, v5
	ds_bpermute_b32 v7, v1, v5
	s_wait_dscnt 0x0
	v_add_f32_e32 v5, v5, v7
	;; [unrolled: 3-line block ×4, first 2 shown]
	ds_bpermute_b32 v7, v11, v5
	s_and_saveexec_b32 s2, vcc_lo
	s_cbranch_execz .LBB22_11
; %bb.10:
	s_lshl_b32 s4, s6, 1
	s_mov_b32 s5, 0
	s_wait_dscnt 0x0
	v_add_f32_e32 v5, v5, v7
	v_mov_b32_e32 v7, 0
	s_wait_alu 0xfffe
	s_lshl_b64 s[4:5], s[4:5], 2
	s_wait_alu 0xfffe
	s_add_nc_u64 s[4:5], s[0:1], s[4:5]
	global_store_b32 v7, v5, s[4:5]
.LBB22_11:
	s_wait_alu 0xfffe
	s_or_b32 exec_lo, exec_lo, s2
	ds_bpermute_b32 v5, v0, v6
	s_wait_dscnt 0x0
	v_add_f32_e32 v5, v6, v5
	ds_bpermute_b32 v6, v1, v5
	s_wait_dscnt 0x0
	v_add_f32_e32 v5, v5, v6
	ds_bpermute_b32 v6, v8, v5
	s_wait_dscnt 0x0
	v_add_f32_e32 v5, v5, v6
	ds_bpermute_b32 v6, v10, v5
	s_wait_dscnt 0x0
	v_add_f32_e32 v5, v5, v6
	ds_bpermute_b32 v6, v11, v5
	s_and_saveexec_b32 s2, vcc_lo
	s_cbranch_execz .LBB22_13
; %bb.12:
	s_mul_i32 s4, s6, 3
	s_mov_b32 s5, 0
	s_wait_dscnt 0x0
	v_dual_add_f32 v5, v5, v6 :: v_dual_mov_b32 v6, 0
	s_wait_alu 0xfffe
	s_lshl_b64 s[4:5], s[4:5], 2
	s_wait_alu 0xfffe
	s_add_nc_u64 s[4:5], s[0:1], s[4:5]
	global_store_b32 v6, v5, s[4:5]
.LBB22_13:
	s_wait_alu 0xfffe
	s_or_b32 exec_lo, exec_lo, s2
	ds_bpermute_b32 v5, v0, v4
	s_wait_dscnt 0x0
	v_add_f32_e32 v4, v4, v5
	ds_bpermute_b32 v5, v1, v4
	s_wait_dscnt 0x0
	v_add_f32_e32 v4, v4, v5
	;; [unrolled: 3-line block ×4, first 2 shown]
	ds_bpermute_b32 v5, v11, v4
	s_and_saveexec_b32 s2, vcc_lo
	s_cbranch_execz .LBB22_15
; %bb.14:
	s_lshl_b32 s4, s6, 2
	s_mov_b32 s5, 0
	s_wait_dscnt 0x0
	v_dual_add_f32 v4, v4, v5 :: v_dual_mov_b32 v5, 0
	s_wait_alu 0xfffe
	s_lshl_b64 s[4:5], s[4:5], 2
	s_wait_alu 0xfffe
	s_add_nc_u64 s[4:5], s[0:1], s[4:5]
	global_store_b32 v5, v4, s[4:5]
.LBB22_15:
	s_wait_alu 0xfffe
	s_or_b32 exec_lo, exec_lo, s2
	ds_bpermute_b32 v4, v0, v3
	s_wait_dscnt 0x0
	v_add_f32_e32 v3, v3, v4
	ds_bpermute_b32 v4, v1, v3
	s_wait_dscnt 0x0
	v_add_f32_e32 v3, v3, v4
	;; [unrolled: 3-line block ×4, first 2 shown]
	ds_bpermute_b32 v4, v11, v3
	s_and_saveexec_b32 s2, vcc_lo
	s_cbranch_execz .LBB22_17
; %bb.16:
	s_mul_i32 s4, s6, 5
	s_mov_b32 s5, 0
	s_wait_dscnt 0x0
	v_dual_add_f32 v3, v3, v4 :: v_dual_mov_b32 v4, 0
	s_wait_alu 0xfffe
	s_lshl_b64 s[4:5], s[4:5], 2
	s_wait_alu 0xfffe
	s_add_nc_u64 s[4:5], s[0:1], s[4:5]
	global_store_b32 v4, v3, s[4:5]
.LBB22_17:
	s_wait_alu 0xfffe
	s_or_b32 exec_lo, exec_lo, s2
	ds_bpermute_b32 v0, v0, v2
	s_wait_dscnt 0x0
	v_add_f32_e32 v0, v2, v0
	ds_bpermute_b32 v1, v1, v0
	s_wait_dscnt 0x0
	v_add_f32_e32 v0, v0, v1
	;; [unrolled: 3-line block ×4, first 2 shown]
	ds_bpermute_b32 v1, v11, v0
	s_and_b32 exec_lo, exec_lo, vcc_lo
	s_cbranch_execz .LBB22_19
; %bb.18:
	s_mul_i32 s2, s6, 6
	s_mov_b32 s3, 0
	s_wait_dscnt 0x0
	v_dual_add_f32 v0, v0, v1 :: v_dual_mov_b32 v1, 0
	s_wait_alu 0xfffe
	s_lshl_b64 s[2:3], s[2:3], 2
	s_wait_alu 0xfffe
	s_add_nc_u64 s[0:1], s[0:1], s[2:3]
	global_store_b32 v1, v0, s[0:1]
.LBB22_19:
	s_endpgm
	.section	.rodata,"a",@progbits
	.p2align	6, 0x0
	.amdhsa_kernel _ZL13mul_mat_vec_qIL9ggml_type2ELi7ELb0ELb0EEvPKvS2_PKi31ggml_cuda_mm_fusion_args_devicePfj15HIP_vector_typeIjLj3EEjjjS8_jjjS8_jjjj
		.amdhsa_group_segment_fixed_size 0
		.amdhsa_private_segment_fixed_size 0
		.amdhsa_kernarg_size 144
		.amdhsa_user_sgpr_count 2
		.amdhsa_user_sgpr_dispatch_ptr 0
		.amdhsa_user_sgpr_queue_ptr 0
		.amdhsa_user_sgpr_kernarg_segment_ptr 1
		.amdhsa_user_sgpr_dispatch_id 0
		.amdhsa_user_sgpr_private_segment_size 0
		.amdhsa_wavefront_size32 1
		.amdhsa_uses_dynamic_stack 0
		.amdhsa_enable_private_segment 0
		.amdhsa_system_sgpr_workgroup_id_x 1
		.amdhsa_system_sgpr_workgroup_id_y 1
		.amdhsa_system_sgpr_workgroup_id_z 1
		.amdhsa_system_sgpr_workgroup_info 0
		.amdhsa_system_vgpr_workitem_id 1
		.amdhsa_next_free_vgpr 62
		.amdhsa_next_free_sgpr 30
		.amdhsa_reserve_vcc 1
		.amdhsa_float_round_mode_32 0
		.amdhsa_float_round_mode_16_64 0
		.amdhsa_float_denorm_mode_32 3
		.amdhsa_float_denorm_mode_16_64 3
		.amdhsa_fp16_overflow 0
		.amdhsa_workgroup_processor_mode 1
		.amdhsa_memory_ordered 1
		.amdhsa_forward_progress 1
		.amdhsa_inst_pref_size 21
		.amdhsa_round_robin_scheduling 0
		.amdhsa_exception_fp_ieee_invalid_op 0
		.amdhsa_exception_fp_denorm_src 0
		.amdhsa_exception_fp_ieee_div_zero 0
		.amdhsa_exception_fp_ieee_overflow 0
		.amdhsa_exception_fp_ieee_underflow 0
		.amdhsa_exception_fp_ieee_inexact 0
		.amdhsa_exception_int_div_zero 0
	.end_amdhsa_kernel
	.section	.text._ZL13mul_mat_vec_qIL9ggml_type2ELi7ELb0ELb0EEvPKvS2_PKi31ggml_cuda_mm_fusion_args_devicePfj15HIP_vector_typeIjLj3EEjjjS8_jjjS8_jjjj,"axG",@progbits,_ZL13mul_mat_vec_qIL9ggml_type2ELi7ELb0ELb0EEvPKvS2_PKi31ggml_cuda_mm_fusion_args_devicePfj15HIP_vector_typeIjLj3EEjjjS8_jjjS8_jjjj,comdat
.Lfunc_end22:
	.size	_ZL13mul_mat_vec_qIL9ggml_type2ELi7ELb0ELb0EEvPKvS2_PKi31ggml_cuda_mm_fusion_args_devicePfj15HIP_vector_typeIjLj3EEjjjS8_jjjS8_jjjj, .Lfunc_end22-_ZL13mul_mat_vec_qIL9ggml_type2ELi7ELb0ELb0EEvPKvS2_PKi31ggml_cuda_mm_fusion_args_devicePfj15HIP_vector_typeIjLj3EEjjjS8_jjjS8_jjjj
                                        ; -- End function
	.set _ZL13mul_mat_vec_qIL9ggml_type2ELi7ELb0ELb0EEvPKvS2_PKi31ggml_cuda_mm_fusion_args_devicePfj15HIP_vector_typeIjLj3EEjjjS8_jjjS8_jjjj.num_vgpr, 62
	.set _ZL13mul_mat_vec_qIL9ggml_type2ELi7ELb0ELb0EEvPKvS2_PKi31ggml_cuda_mm_fusion_args_devicePfj15HIP_vector_typeIjLj3EEjjjS8_jjjS8_jjjj.num_agpr, 0
	.set _ZL13mul_mat_vec_qIL9ggml_type2ELi7ELb0ELb0EEvPKvS2_PKi31ggml_cuda_mm_fusion_args_devicePfj15HIP_vector_typeIjLj3EEjjjS8_jjjS8_jjjj.numbered_sgpr, 30
	.set _ZL13mul_mat_vec_qIL9ggml_type2ELi7ELb0ELb0EEvPKvS2_PKi31ggml_cuda_mm_fusion_args_devicePfj15HIP_vector_typeIjLj3EEjjjS8_jjjS8_jjjj.num_named_barrier, 0
	.set _ZL13mul_mat_vec_qIL9ggml_type2ELi7ELb0ELb0EEvPKvS2_PKi31ggml_cuda_mm_fusion_args_devicePfj15HIP_vector_typeIjLj3EEjjjS8_jjjS8_jjjj.private_seg_size, 0
	.set _ZL13mul_mat_vec_qIL9ggml_type2ELi7ELb0ELb0EEvPKvS2_PKi31ggml_cuda_mm_fusion_args_devicePfj15HIP_vector_typeIjLj3EEjjjS8_jjjS8_jjjj.uses_vcc, 1
	.set _ZL13mul_mat_vec_qIL9ggml_type2ELi7ELb0ELb0EEvPKvS2_PKi31ggml_cuda_mm_fusion_args_devicePfj15HIP_vector_typeIjLj3EEjjjS8_jjjS8_jjjj.uses_flat_scratch, 0
	.set _ZL13mul_mat_vec_qIL9ggml_type2ELi7ELb0ELb0EEvPKvS2_PKi31ggml_cuda_mm_fusion_args_devicePfj15HIP_vector_typeIjLj3EEjjjS8_jjjS8_jjjj.has_dyn_sized_stack, 0
	.set _ZL13mul_mat_vec_qIL9ggml_type2ELi7ELb0ELb0EEvPKvS2_PKi31ggml_cuda_mm_fusion_args_devicePfj15HIP_vector_typeIjLj3EEjjjS8_jjjS8_jjjj.has_recursion, 0
	.set _ZL13mul_mat_vec_qIL9ggml_type2ELi7ELb0ELb0EEvPKvS2_PKi31ggml_cuda_mm_fusion_args_devicePfj15HIP_vector_typeIjLj3EEjjjS8_jjjS8_jjjj.has_indirect_call, 0
	.section	.AMDGPU.csdata,"",@progbits
; Kernel info:
; codeLenInByte = 2576
; TotalNumSgprs: 32
; NumVgprs: 62
; ScratchSize: 0
; MemoryBound: 0
; FloatMode: 240
; IeeeMode: 1
; LDSByteSize: 0 bytes/workgroup (compile time only)
; SGPRBlocks: 0
; VGPRBlocks: 7
; NumSGPRsForWavesPerEU: 32
; NumVGPRsForWavesPerEU: 62
; Occupancy: 16
; WaveLimiterHint : 0
; COMPUTE_PGM_RSRC2:SCRATCH_EN: 0
; COMPUTE_PGM_RSRC2:USER_SGPR: 2
; COMPUTE_PGM_RSRC2:TRAP_HANDLER: 0
; COMPUTE_PGM_RSRC2:TGID_X_EN: 1
; COMPUTE_PGM_RSRC2:TGID_Y_EN: 1
; COMPUTE_PGM_RSRC2:TGID_Z_EN: 1
; COMPUTE_PGM_RSRC2:TIDIG_COMP_CNT: 1
	.section	.text._ZL13mul_mat_vec_qIL9ggml_type2ELi8ELb0ELb0EEvPKvS2_PKi31ggml_cuda_mm_fusion_args_devicePfj15HIP_vector_typeIjLj3EEjjjS8_jjjS8_jjjj,"axG",@progbits,_ZL13mul_mat_vec_qIL9ggml_type2ELi8ELb0ELb0EEvPKvS2_PKi31ggml_cuda_mm_fusion_args_devicePfj15HIP_vector_typeIjLj3EEjjjS8_jjjS8_jjjj,comdat
	.globl	_ZL13mul_mat_vec_qIL9ggml_type2ELi8ELb0ELb0EEvPKvS2_PKi31ggml_cuda_mm_fusion_args_devicePfj15HIP_vector_typeIjLj3EEjjjS8_jjjS8_jjjj ; -- Begin function _ZL13mul_mat_vec_qIL9ggml_type2ELi8ELb0ELb0EEvPKvS2_PKi31ggml_cuda_mm_fusion_args_devicePfj15HIP_vector_typeIjLj3EEjjjS8_jjjS8_jjjj
	.p2align	8
	.type	_ZL13mul_mat_vec_qIL9ggml_type2ELi8ELb0ELb0EEvPKvS2_PKi31ggml_cuda_mm_fusion_args_devicePfj15HIP_vector_typeIjLj3EEjjjS8_jjjS8_jjjj,@function
_ZL13mul_mat_vec_qIL9ggml_type2ELi8ELb0ELb0EEvPKvS2_PKi31ggml_cuda_mm_fusion_args_devicePfj15HIP_vector_typeIjLj3EEjjjS8_jjjS8_jjjj: ; @_ZL13mul_mat_vec_qIL9ggml_type2ELi8ELb0ELb0EEvPKvS2_PKi31ggml_cuda_mm_fusion_args_devicePfj15HIP_vector_typeIjLj3EEjjjS8_jjjS8_jjjj
; %bb.0:
	v_bfe_u32 v9, v0, 10, 10
	s_clause 0x5
	s_load_b32 s2, s[0:1], 0x40
	s_load_b96 s[16:18], s[0:1], 0x80
	s_load_b128 s[4:7], s[0:1], 0x50
	s_load_b32 s23, s[0:1], 0x60
	s_load_b128 s[8:11], s[0:1], 0x68
	s_load_b32 s24, s[0:1], 0x78
	v_dual_mov_b32 v3, 0 :: v_dual_and_b32 v6, 0x3ff, v0
	v_dual_mov_b32 v5, 0 :: v_dual_lshlrev_b32 v0, 5, v9
	v_dual_mov_b32 v4, 0 :: v_dual_mov_b32 v7, 0
	v_mov_b32_e32 v8, 0
	s_delay_alu instid0(VALU_DEP_3)
	v_add_nc_u16 v0, v0, v6
	v_mov_b32_e32 v10, 0
	v_mov_b32_e32 v12, 0
	s_and_b32 s19, ttmp7, 0xffff
	s_lshr_b32 s20, ttmp7, 16
	v_lshrrev_b16 v0, 1, v0
	v_mov_b32_e32 v2, 0
	s_mov_b32 s21, exec_lo
	s_delay_alu instid0(VALU_DEP_2)
	v_and_b32_e32 v11, 0xffff, v0
	s_wait_kmcnt 0x0
	s_lshr_b32 s22, s2, 5
	s_delay_alu instid0(VALU_DEP_1) | instid1(SALU_CYCLE_1)
	v_cmpx_gt_u32_e64 s22, v11
	s_cbranch_execz .LBB23_4
; %bb.1:
	s_load_b128 s[12:15], s[0:1], 0x0
	v_dual_mov_b32 v2, 0 :: v_dual_lshlrev_b32 v1, 1, v6
	s_mul_i32 s2, s17, s20
	s_mov_b32 s3, 0
	s_mul_hi_u32 s7, s7, s19
	s_delay_alu instid0(VALU_DEP_1)
	v_and_b32_e32 v4, 2, v1
	s_mul_hi_u32 s11, s11, s20
	s_mul_u64 s[26:27], s[2:3], 36
	s_mul_i32 s2, s9, s19
	s_add_co_i32 s7, s19, s7
	s_add_co_i32 s9, s20, s11
	s_mul_u64 s[28:29], s[2:3], 36
	s_lshr_b32 s2, s7, s23
	v_and_b32_e32 v3, 1, v6
	v_and_b32_e32 v0, 0xffff, v0
	v_dual_mov_b32 v8, 0 :: v_dual_lshlrev_b32 v5, 1, v4
	s_lshr_b32 s7, s9, s24
	s_mul_i32 s2, s2, s8
	s_wait_kmcnt 0x0
	s_add_nc_u64 s[8:9], s[14:15], s[26:27]
	v_dual_mov_b32 v7, 0 :: v_dual_lshlrev_b32 v14, 1, v5
	s_add_nc_u64 s[8:9], s[8:9], s[28:29]
	v_mov_b32_e32 v5, 0
	v_dual_mov_b32 v12, 0 :: v_dual_lshlrev_b32 v15, 2, v4
	v_dual_mov_b32 v4, 0 :: v_dual_lshlrev_b32 v13, 3, v3
	v_dual_mov_b32 v10, 0 :: v_dual_mov_b32 v3, 0
	v_mad_co_u64_u32 v[0:1], null, v0, 36, s[8:9]
	s_mul_i32 s4, s4, ttmp9
	s_mul_i32 s7, s7, s16
	s_add_co_i32 s2, s2, s4
	s_lshl_b32 s4, s5, 1
	s_add_co_i32 s2, s7, s2
	s_mul_i32 s7, s5, 3
	s_lshl_b32 s11, s5, 2
	s_mul_i32 s14, s5, 5
	s_mul_i32 s15, s5, 6
	;; [unrolled: 1-line block ×3, first 2 shown]
.LBB23_2:                               ; =>This Inner Loop Header: Depth=1
	v_add_nc_u32_e32 v18, s2, v11
	v_add_nc_u32_e32 v22, s5, v11
	;; [unrolled: 1-line block ×5, first 2 shown]
	v_mad_co_i64_i32 v[18:19], null, v18, 18, s[12:13]
	v_mad_co_u64_u32 v[22:23], null, v22, 36, s[8:9]
	v_mad_co_u64_u32 v[24:25], null, v24, 36, s[8:9]
	v_add_nc_u32_e32 v30, s14, v11
	v_add_co_u32 v16, vcc_lo, v0, v13
	v_mad_co_u64_u32 v[26:27], null, v26, 36, s[8:9]
	v_add_nc_u32_e32 v32, s15, v11
	s_wait_alu 0xfffd
	v_add_co_ci_u32_e64 v17, null, 0, v1, vcc_lo
	global_load_b32 v54, v[0:1], off
	v_mad_co_u64_u32 v[28:29], null, v28, 36, s[8:9]
	v_add_co_u32 v36, vcc_lo, v18, v14
	v_add_nc_u32_e32 v34, s16, v11
	v_mad_co_u64_u32 v[30:31], null, v30, 36, s[8:9]
	s_wait_alu 0xfffd
	v_add_co_ci_u32_e64 v37, null, 0, v19, vcc_lo
	v_add_co_u32 v38, vcc_lo, v22, v15
	v_mad_co_u64_u32 v[32:33], null, v32, 36, s[8:9]
	s_wait_alu 0xfffd
	v_add_co_ci_u32_e64 v39, null, 0, v23, vcc_lo
	v_add_co_u32 v40, vcc_lo, v24, v15
	;; [unrolled: 4-line block ×3, first 2 shown]
	s_wait_alu 0xfffd
	v_add_co_ci_u32_e64 v43, null, 0, v27, vcc_lo
	v_add_co_u32 v44, vcc_lo, v28, v15
	s_wait_alu 0xfffd
	v_add_co_ci_u32_e64 v45, null, 0, v29, vcc_lo
	v_add_co_u32 v46, vcc_lo, v30, v15
	;; [unrolled: 3-line block ×4, first 2 shown]
	s_clause 0x1
	global_load_b64 v[20:21], v[16:17], off offset:4
	global_load_b64 v[16:17], v[16:17], off offset:20
	s_wait_alu 0xfffd
	v_add_co_ci_u32_e64 v51, null, 0, v35, vcc_lo
	global_load_b64 v[36:37], v[36:37], off offset:2
	s_clause 0x14
	global_load_b64 v[52:53], v[38:39], off offset:4
	global_load_b64 v[38:39], v[38:39], off offset:20
	global_load_b32 v55, v[24:25], off
	global_load_b32 v56, v[22:23], off
	global_load_b64 v[22:23], v[40:41], off offset:4
	global_load_b64 v[24:25], v[40:41], off offset:20
	;; [unrolled: 1-line block ×3, first 2 shown]
	global_load_b32 v57, v[26:27], off
	global_load_b64 v[26:27], v[42:43], off offset:20
	global_load_b64 v[42:43], v[44:45], off offset:4
	;; [unrolled: 1-line block ×3, first 2 shown]
	global_load_b32 v58, v[28:29], off
	global_load_b64 v[28:29], v[46:47], off offset:4
	global_load_b64 v[46:47], v[46:47], off offset:20
	global_load_b32 v59, v[32:33], off
	global_load_b32 v60, v[30:31], off
	global_load_b64 v[30:31], v[50:51], off offset:20
	global_load_b64 v[32:33], v[48:49], off offset:4
	;; [unrolled: 1-line block ×4, first 2 shown]
	global_load_b32 v34, v[34:35], off
	global_load_u16 v18, v[18:19], off
	v_add_co_u32 v0, vcc_lo, 0x240, v0
	s_wait_alu 0xfffd
	v_add_co_ci_u32_e64 v1, null, 0, v1, vcc_lo
	s_wait_loadcnt 0x19
	v_lshrrev_b32_e32 v19, 16, v54
	s_delay_alu instid0(VALU_DEP_1) | instskip(SKIP_4) | instid1(VALU_DEP_2)
	v_cvt_f32_f16_e32 v19, v19
	s_wait_loadcnt 0x13
	v_lshrrev_b32_e32 v63, 16, v55
	s_wait_loadcnt 0x12
	v_lshrrev_b32_e32 v62, 16, v56
	v_cvt_f32_f16_e32 v63, v63
	v_and_b32_e32 v35, 0xf0f0f0f, v36
	v_lshrrev_b32_e32 v36, 4, v36
	v_mul_f32_e32 v19, 4.0, v19
	s_wait_loadcnt 0xe
	v_lshrrev_b32_e32 v64, 16, v57
	s_wait_loadcnt 0xa
	v_lshrrev_b32_e32 v65, 16, v58
	v_dot4_i32_iu8 v22, v35, v22, 0 neg_lo:[1,1,0]
	v_and_b32_e32 v36, 0xf0f0f0f, v36
	s_wait_loadcnt 0x6
	v_lshrrev_b32_e32 v66, 16, v60
	v_cvt_f32_f16_e32 v64, v64
	v_and_b32_e32 v61, 0xf0f0f0f, v37
	v_lshrrev_b32_e32 v37, 4, v37
	v_dot4_i32_iu8 v22, v36, v24, v22 neg_lo:[1,1,0]
	v_mul_f32_e32 v24, 4.0, v63
	v_dot4_i32_iu8 v20, v35, v20, 0 neg_lo:[1,1,0]
	v_dot4_i32_iu8 v52, v35, v52, 0 neg_lo:[1,1,0]
	v_dot4_i32_iu8 v40, v35, v40, 0 neg_lo:[1,1,0]
	v_dot4_i32_iu8 v42, v35, v42, 0 neg_lo:[1,1,0]
	v_dot4_i32_iu8 v28, v35, v28, 0 neg_lo:[1,1,0]
	s_wait_loadcnt 0x4
	v_dot4_i32_iu8 v32, v35, v32, 0 neg_lo:[1,1,0]
	s_wait_loadcnt 0x2
	v_dot4_i32_iu8 v35, v35, v50, 0 neg_lo:[1,1,0]
	v_dot4_i32_iu8 v16, v36, v16, v20 neg_lo:[1,1,0]
	;; [unrolled: 1-line block ×8, first 2 shown]
	v_lshrrev_b32_e32 v67, 16, v59
	s_wait_loadcnt 0x1
	v_lshrrev_b32_e32 v68, 16, v34
	v_cvt_f32_f16_e32 v66, v66
	v_dual_mul_f32 v40, 4.0, v64 :: v_dual_and_b32 v37, 0xf0f0f0f, v37
	v_dot4_i32_iu8 v16, v61, v21, v16 neg_lo:[1,1,0]
	v_dot4_i32_iu8 v20, v61, v53, v20 neg_lo:[1,1,0]
	;; [unrolled: 1-line block ×8, first 2 shown]
	v_cvt_f32_f16_e32 v62, v62
	v_cvt_f32_f16_e32 v65, v65
	;; [unrolled: 1-line block ×4, first 2 shown]
	v_mul_f32_e32 v46, 4.0, v66
	v_dot4_i32_iu8 v16, v37, v17, v16 neg_lo:[1,1,0]
	v_dot4_i32_iu8 v17, v37, v39, v20 neg_lo:[1,1,0]
	;; [unrolled: 1-line block ×8, first 2 shown]
	v_dual_mul_f32 v38, 4.0, v62 :: v_dual_add_nc_u32 v11, 16, v11
	v_mul_f32_e32 v44, 4.0, v65
	v_dual_mul_f32 v48, 4.0, v67 :: v_dual_mul_f32 v35, 4.0, v50
	v_cvt_f32_i32_e32 v16, v16
	v_cvt_f32_i32_e32 v17, v17
	v_cvt_f32_i32_e32 v20, v20
	v_cvt_f32_i32_e32 v21, v21
	v_cvt_f32_i32_e32 v22, v22
	v_cvt_f32_i32_e32 v23, v23
	v_cvt_f32_i32_e32 v25, v25
	v_cvt_f32_i32_e32 v26, v26
	v_fma_mix_f32 v16, v16, v54, -v19 op_sel_hi:[0,1,0]
	v_fma_mix_f32 v17, v17, v56, -v38 op_sel_hi:[0,1,0]
	;; [unrolled: 1-line block ×8, first 2 shown]
	v_cmp_le_u32_e32 vcc_lo, s22, v11
	s_wait_loadcnt 0x0
	v_fma_mix_f32 v12, v16, v18, v12 op_sel_hi:[0,1,0]
	v_fma_mix_f32 v10, v17, v18, v10 op_sel_hi:[0,1,0]
	;; [unrolled: 1-line block ×8, first 2 shown]
	s_or_b32 s3, vcc_lo, s3
	s_wait_alu 0xfffe
	s_and_not1_b32 exec_lo, exec_lo, s3
	s_cbranch_execnz .LBB23_2
; %bb.3:
	s_or_b32 exec_lo, exec_lo, s3
.LBB23_4:
	s_delay_alu instid0(SALU_CYCLE_1)
	s_or_b32 exec_lo, exec_lo, s21
	s_mov_b32 s3, 0
	; wave barrier
	global_inv scope:SCOPE_SE
	s_mov_b32 s2, exec_lo
	v_cmpx_eq_u32_e32 0, v9
	s_cbranch_execz .LBB23_21
; %bb.5:
	v_mbcnt_lo_u32_b32 v13, -1, 0
	s_load_b64 s[0:1], s[0:1], 0x38
	s_mul_i32 s2, s10, s19
	s_mul_i32 s4, s18, s20
	s_wait_alu 0xfffe
	s_add_co_i32 s2, s2, ttmp9
	v_xor_b32_e32 v0, 16, v13
	v_xor_b32_e32 v1, 8, v13
	s_wait_alu 0xfffe
	s_add_co_i32 s2, s2, s4
	s_wait_alu 0xfffe
	s_lshl_b64 s[2:3], s[2:3], 2
	v_cmp_gt_i32_e32 vcc_lo, 32, v0
	s_wait_alu 0xfffd
	v_cndmask_b32_e32 v0, v13, v0, vcc_lo
	v_cmp_gt_i32_e32 vcc_lo, 32, v1
	s_wait_alu 0xfffd
	v_cndmask_b32_e32 v1, v13, v1, vcc_lo
	s_wait_kmcnt 0x0
	s_wait_alu 0xfffe
	s_add_nc_u64 s[0:1], s[0:1], s[2:3]
	s_delay_alu instid0(VALU_DEP_1)
	v_lshlrev_b32_e32 v1, 2, v1
	v_lshlrev_b32_e32 v0, 2, v0
	ds_bpermute_b32 v9, v0, v12
	s_wait_dscnt 0x0
	v_add_f32_e32 v11, v12, v9
	v_xor_b32_e32 v9, 4, v13
	ds_bpermute_b32 v12, v1, v11
	v_cmp_gt_i32_e32 vcc_lo, 32, v9
	s_wait_dscnt 0x0
	s_wait_alu 0xfffd
	v_dual_add_f32 v12, v11, v12 :: v_dual_cndmask_b32 v9, v13, v9
	v_xor_b32_e32 v11, 2, v13
	s_delay_alu instid0(VALU_DEP_2) | instskip(NEXT) | instid1(VALU_DEP_2)
	v_lshlrev_b32_e32 v9, 2, v9
	v_cmp_gt_i32_e32 vcc_lo, 32, v11
	ds_bpermute_b32 v14, v9, v12
	s_wait_dscnt 0x0
	s_wait_alu 0xfffd
	v_dual_cndmask_b32 v11, v13, v11 :: v_dual_add_f32 v14, v12, v14
	v_xor_b32_e32 v12, 1, v13
	s_delay_alu instid0(VALU_DEP_1) | instskip(SKIP_3) | instid1(VALU_DEP_2)
	v_cmp_gt_i32_e32 vcc_lo, 32, v12
	s_wait_alu 0xfffd
	v_cndmask_b32_e32 v12, v13, v12, vcc_lo
	v_cmp_eq_u32_e32 vcc_lo, 0, v6
	v_lshlrev_b32_e32 v12, 2, v12
	v_lshlrev_b32_e32 v11, 2, v11
	ds_bpermute_b32 v15, v11, v14
	s_wait_dscnt 0x0
	v_add_f32_e32 v13, v14, v15
	ds_bpermute_b32 v14, v12, v13
	s_and_saveexec_b32 s2, vcc_lo
	s_cbranch_execz .LBB23_7
; %bb.6:
	s_wait_dscnt 0x0
	v_dual_add_f32 v6, v13, v14 :: v_dual_mov_b32 v13, 0
	global_store_b32 v13, v6, s[0:1]
.LBB23_7:
	s_wait_alu 0xfffe
	s_or_b32 exec_lo, exec_lo, s2
	ds_bpermute_b32 v6, v0, v10
	s_wait_dscnt 0x0
	v_add_f32_e32 v6, v10, v6
	ds_bpermute_b32 v10, v1, v6
	s_wait_dscnt 0x0
	v_add_f32_e32 v6, v6, v10
	;; [unrolled: 3-line block ×4, first 2 shown]
	ds_bpermute_b32 v10, v12, v6
	s_and_saveexec_b32 s2, vcc_lo
	s_cbranch_execz .LBB23_9
; %bb.8:
	s_mov_b32 s7, 0
	s_wait_dscnt 0x0
	v_add_f32_e32 v6, v6, v10
	v_mov_b32_e32 v10, 0
	s_wait_alu 0xfffe
	s_lshl_b64 s[4:5], s[6:7], 2
	s_wait_alu 0xfffe
	s_add_nc_u64 s[4:5], s[0:1], s[4:5]
	global_store_b32 v10, v6, s[4:5]
.LBB23_9:
	s_wait_alu 0xfffe
	s_or_b32 exec_lo, exec_lo, s2
	ds_bpermute_b32 v6, v0, v8
	s_wait_dscnt 0x0
	v_add_f32_e32 v6, v8, v6
	ds_bpermute_b32 v8, v1, v6
	s_wait_dscnt 0x0
	v_add_f32_e32 v6, v6, v8
	;; [unrolled: 3-line block ×4, first 2 shown]
	ds_bpermute_b32 v8, v12, v6
	s_and_saveexec_b32 s2, vcc_lo
	s_cbranch_execz .LBB23_11
; %bb.10:
	s_lshl_b32 s4, s6, 1
	s_mov_b32 s5, 0
	s_wait_dscnt 0x0
	v_add_f32_e32 v6, v6, v8
	v_mov_b32_e32 v8, 0
	s_wait_alu 0xfffe
	s_lshl_b64 s[4:5], s[4:5], 2
	s_wait_alu 0xfffe
	s_add_nc_u64 s[4:5], s[0:1], s[4:5]
	global_store_b32 v8, v6, s[4:5]
.LBB23_11:
	s_wait_alu 0xfffe
	s_or_b32 exec_lo, exec_lo, s2
	ds_bpermute_b32 v6, v0, v7
	s_wait_dscnt 0x0
	v_add_f32_e32 v6, v7, v6
	ds_bpermute_b32 v7, v1, v6
	s_wait_dscnt 0x0
	v_add_f32_e32 v6, v6, v7
	;; [unrolled: 3-line block ×4, first 2 shown]
	ds_bpermute_b32 v7, v12, v6
	s_and_saveexec_b32 s2, vcc_lo
	s_cbranch_execz .LBB23_13
; %bb.12:
	s_mul_i32 s4, s6, 3
	s_mov_b32 s5, 0
	s_wait_dscnt 0x0
	v_dual_add_f32 v6, v6, v7 :: v_dual_mov_b32 v7, 0
	s_wait_alu 0xfffe
	s_lshl_b64 s[4:5], s[4:5], 2
	s_wait_alu 0xfffe
	s_add_nc_u64 s[4:5], s[0:1], s[4:5]
	global_store_b32 v7, v6, s[4:5]
.LBB23_13:
	s_wait_alu 0xfffe
	s_or_b32 exec_lo, exec_lo, s2
	ds_bpermute_b32 v6, v0, v5
	s_wait_dscnt 0x0
	v_add_f32_e32 v5, v5, v6
	ds_bpermute_b32 v6, v1, v5
	s_wait_dscnt 0x0
	v_add_f32_e32 v5, v5, v6
	;; [unrolled: 3-line block ×4, first 2 shown]
	ds_bpermute_b32 v6, v12, v5
	s_and_saveexec_b32 s2, vcc_lo
	s_cbranch_execz .LBB23_15
; %bb.14:
	s_lshl_b32 s4, s6, 2
	s_mov_b32 s5, 0
	s_wait_dscnt 0x0
	v_dual_add_f32 v5, v5, v6 :: v_dual_mov_b32 v6, 0
	s_wait_alu 0xfffe
	s_lshl_b64 s[4:5], s[4:5], 2
	s_wait_alu 0xfffe
	s_add_nc_u64 s[4:5], s[0:1], s[4:5]
	global_store_b32 v6, v5, s[4:5]
.LBB23_15:
	s_wait_alu 0xfffe
	s_or_b32 exec_lo, exec_lo, s2
	ds_bpermute_b32 v5, v0, v4
	s_wait_dscnt 0x0
	v_add_f32_e32 v4, v4, v5
	ds_bpermute_b32 v5, v1, v4
	s_wait_dscnt 0x0
	v_add_f32_e32 v4, v4, v5
	;; [unrolled: 3-line block ×4, first 2 shown]
	ds_bpermute_b32 v5, v12, v4
	s_and_saveexec_b32 s2, vcc_lo
	s_cbranch_execz .LBB23_17
; %bb.16:
	s_mul_i32 s4, s6, 5
	s_mov_b32 s5, 0
	s_wait_dscnt 0x0
	v_dual_add_f32 v4, v4, v5 :: v_dual_mov_b32 v5, 0
	s_wait_alu 0xfffe
	s_lshl_b64 s[4:5], s[4:5], 2
	s_wait_alu 0xfffe
	s_add_nc_u64 s[4:5], s[0:1], s[4:5]
	global_store_b32 v5, v4, s[4:5]
.LBB23_17:
	s_wait_alu 0xfffe
	s_or_b32 exec_lo, exec_lo, s2
	ds_bpermute_b32 v4, v0, v3
	s_wait_dscnt 0x0
	v_add_f32_e32 v3, v3, v4
	ds_bpermute_b32 v4, v1, v3
	s_wait_dscnt 0x0
	v_add_f32_e32 v3, v3, v4
	;; [unrolled: 3-line block ×4, first 2 shown]
	ds_bpermute_b32 v4, v12, v3
	s_and_saveexec_b32 s2, vcc_lo
	s_cbranch_execz .LBB23_19
; %bb.18:
	s_mul_i32 s4, s6, 6
	s_mov_b32 s5, 0
	s_wait_dscnt 0x0
	v_dual_add_f32 v3, v3, v4 :: v_dual_mov_b32 v4, 0
	s_wait_alu 0xfffe
	s_lshl_b64 s[4:5], s[4:5], 2
	s_wait_alu 0xfffe
	s_add_nc_u64 s[4:5], s[0:1], s[4:5]
	global_store_b32 v4, v3, s[4:5]
.LBB23_19:
	s_wait_alu 0xfffe
	s_or_b32 exec_lo, exec_lo, s2
	ds_bpermute_b32 v0, v0, v2
	s_wait_dscnt 0x0
	v_add_f32_e32 v0, v2, v0
	ds_bpermute_b32 v1, v1, v0
	s_wait_dscnt 0x0
	v_add_f32_e32 v0, v0, v1
	;; [unrolled: 3-line block ×4, first 2 shown]
	ds_bpermute_b32 v1, v12, v0
	s_and_b32 exec_lo, exec_lo, vcc_lo
	s_cbranch_execz .LBB23_21
; %bb.20:
	s_mul_i32 s2, s6, 7
	s_mov_b32 s3, 0
	s_wait_dscnt 0x0
	v_dual_add_f32 v0, v0, v1 :: v_dual_mov_b32 v1, 0
	s_wait_alu 0xfffe
	s_lshl_b64 s[2:3], s[2:3], 2
	s_wait_alu 0xfffe
	s_add_nc_u64 s[0:1], s[0:1], s[2:3]
	global_store_b32 v1, v0, s[0:1]
.LBB23_21:
	s_endpgm
	.section	.rodata,"a",@progbits
	.p2align	6, 0x0
	.amdhsa_kernel _ZL13mul_mat_vec_qIL9ggml_type2ELi8ELb0ELb0EEvPKvS2_PKi31ggml_cuda_mm_fusion_args_devicePfj15HIP_vector_typeIjLj3EEjjjS8_jjjS8_jjjj
		.amdhsa_group_segment_fixed_size 0
		.amdhsa_private_segment_fixed_size 0
		.amdhsa_kernarg_size 144
		.amdhsa_user_sgpr_count 2
		.amdhsa_user_sgpr_dispatch_ptr 0
		.amdhsa_user_sgpr_queue_ptr 0
		.amdhsa_user_sgpr_kernarg_segment_ptr 1
		.amdhsa_user_sgpr_dispatch_id 0
		.amdhsa_user_sgpr_private_segment_size 0
		.amdhsa_wavefront_size32 1
		.amdhsa_uses_dynamic_stack 0
		.amdhsa_enable_private_segment 0
		.amdhsa_system_sgpr_workgroup_id_x 1
		.amdhsa_system_sgpr_workgroup_id_y 1
		.amdhsa_system_sgpr_workgroup_id_z 1
		.amdhsa_system_sgpr_workgroup_info 0
		.amdhsa_system_vgpr_workitem_id 1
		.amdhsa_next_free_vgpr 69
		.amdhsa_next_free_sgpr 30
		.amdhsa_reserve_vcc 1
		.amdhsa_float_round_mode_32 0
		.amdhsa_float_round_mode_16_64 0
		.amdhsa_float_denorm_mode_32 3
		.amdhsa_float_denorm_mode_16_64 3
		.amdhsa_fp16_overflow 0
		.amdhsa_workgroup_processor_mode 1
		.amdhsa_memory_ordered 1
		.amdhsa_forward_progress 1
		.amdhsa_inst_pref_size 23
		.amdhsa_round_robin_scheduling 0
		.amdhsa_exception_fp_ieee_invalid_op 0
		.amdhsa_exception_fp_denorm_src 0
		.amdhsa_exception_fp_ieee_div_zero 0
		.amdhsa_exception_fp_ieee_overflow 0
		.amdhsa_exception_fp_ieee_underflow 0
		.amdhsa_exception_fp_ieee_inexact 0
		.amdhsa_exception_int_div_zero 0
	.end_amdhsa_kernel
	.section	.text._ZL13mul_mat_vec_qIL9ggml_type2ELi8ELb0ELb0EEvPKvS2_PKi31ggml_cuda_mm_fusion_args_devicePfj15HIP_vector_typeIjLj3EEjjjS8_jjjS8_jjjj,"axG",@progbits,_ZL13mul_mat_vec_qIL9ggml_type2ELi8ELb0ELb0EEvPKvS2_PKi31ggml_cuda_mm_fusion_args_devicePfj15HIP_vector_typeIjLj3EEjjjS8_jjjS8_jjjj,comdat
.Lfunc_end23:
	.size	_ZL13mul_mat_vec_qIL9ggml_type2ELi8ELb0ELb0EEvPKvS2_PKi31ggml_cuda_mm_fusion_args_devicePfj15HIP_vector_typeIjLj3EEjjjS8_jjjS8_jjjj, .Lfunc_end23-_ZL13mul_mat_vec_qIL9ggml_type2ELi8ELb0ELb0EEvPKvS2_PKi31ggml_cuda_mm_fusion_args_devicePfj15HIP_vector_typeIjLj3EEjjjS8_jjjS8_jjjj
                                        ; -- End function
	.set _ZL13mul_mat_vec_qIL9ggml_type2ELi8ELb0ELb0EEvPKvS2_PKi31ggml_cuda_mm_fusion_args_devicePfj15HIP_vector_typeIjLj3EEjjjS8_jjjS8_jjjj.num_vgpr, 69
	.set _ZL13mul_mat_vec_qIL9ggml_type2ELi8ELb0ELb0EEvPKvS2_PKi31ggml_cuda_mm_fusion_args_devicePfj15HIP_vector_typeIjLj3EEjjjS8_jjjS8_jjjj.num_agpr, 0
	.set _ZL13mul_mat_vec_qIL9ggml_type2ELi8ELb0ELb0EEvPKvS2_PKi31ggml_cuda_mm_fusion_args_devicePfj15HIP_vector_typeIjLj3EEjjjS8_jjjS8_jjjj.numbered_sgpr, 30
	.set _ZL13mul_mat_vec_qIL9ggml_type2ELi8ELb0ELb0EEvPKvS2_PKi31ggml_cuda_mm_fusion_args_devicePfj15HIP_vector_typeIjLj3EEjjjS8_jjjS8_jjjj.num_named_barrier, 0
	.set _ZL13mul_mat_vec_qIL9ggml_type2ELi8ELb0ELb0EEvPKvS2_PKi31ggml_cuda_mm_fusion_args_devicePfj15HIP_vector_typeIjLj3EEjjjS8_jjjS8_jjjj.private_seg_size, 0
	.set _ZL13mul_mat_vec_qIL9ggml_type2ELi8ELb0ELb0EEvPKvS2_PKi31ggml_cuda_mm_fusion_args_devicePfj15HIP_vector_typeIjLj3EEjjjS8_jjjS8_jjjj.uses_vcc, 1
	.set _ZL13mul_mat_vec_qIL9ggml_type2ELi8ELb0ELb0EEvPKvS2_PKi31ggml_cuda_mm_fusion_args_devicePfj15HIP_vector_typeIjLj3EEjjjS8_jjjS8_jjjj.uses_flat_scratch, 0
	.set _ZL13mul_mat_vec_qIL9ggml_type2ELi8ELb0ELb0EEvPKvS2_PKi31ggml_cuda_mm_fusion_args_devicePfj15HIP_vector_typeIjLj3EEjjjS8_jjjS8_jjjj.has_dyn_sized_stack, 0
	.set _ZL13mul_mat_vec_qIL9ggml_type2ELi8ELb0ELb0EEvPKvS2_PKi31ggml_cuda_mm_fusion_args_devicePfj15HIP_vector_typeIjLj3EEjjjS8_jjjS8_jjjj.has_recursion, 0
	.set _ZL13mul_mat_vec_qIL9ggml_type2ELi8ELb0ELb0EEvPKvS2_PKi31ggml_cuda_mm_fusion_args_devicePfj15HIP_vector_typeIjLj3EEjjjS8_jjjS8_jjjj.has_indirect_call, 0
	.section	.AMDGPU.csdata,"",@progbits
; Kernel info:
; codeLenInByte = 2876
; TotalNumSgprs: 32
; NumVgprs: 69
; ScratchSize: 0
; MemoryBound: 0
; FloatMode: 240
; IeeeMode: 1
; LDSByteSize: 0 bytes/workgroup (compile time only)
; SGPRBlocks: 0
; VGPRBlocks: 8
; NumSGPRsForWavesPerEU: 32
; NumVGPRsForWavesPerEU: 69
; Occupancy: 16
; WaveLimiterHint : 0
; COMPUTE_PGM_RSRC2:SCRATCH_EN: 0
; COMPUTE_PGM_RSRC2:USER_SGPR: 2
; COMPUTE_PGM_RSRC2:TRAP_HANDLER: 0
; COMPUTE_PGM_RSRC2:TGID_X_EN: 1
; COMPUTE_PGM_RSRC2:TGID_Y_EN: 1
; COMPUTE_PGM_RSRC2:TGID_Z_EN: 1
; COMPUTE_PGM_RSRC2:TIDIG_COMP_CNT: 1
	.section	.text._ZL17mul_mat_vec_q_moeIL9ggml_type3ELi2EEvPKvS2_PKiPfj15HIP_vector_typeIjLj3EEjjjjjjjjj,"axG",@progbits,_ZL17mul_mat_vec_q_moeIL9ggml_type3ELi2EEvPKvS2_PKiPfj15HIP_vector_typeIjLj3EEjjjjjjjjj,comdat
	.globl	_ZL17mul_mat_vec_q_moeIL9ggml_type3ELi2EEvPKvS2_PKiPfj15HIP_vector_typeIjLj3EEjjjjjjjjj ; -- Begin function _ZL17mul_mat_vec_q_moeIL9ggml_type3ELi2EEvPKvS2_PKiPfj15HIP_vector_typeIjLj3EEjjjjjjjjj
	.p2align	8
	.type	_ZL17mul_mat_vec_q_moeIL9ggml_type3ELi2EEvPKvS2_PKiPfj15HIP_vector_typeIjLj3EEjjjjjjjjj,@function
_ZL17mul_mat_vec_q_moeIL9ggml_type3ELi2EEvPKvS2_PKiPfj15HIP_vector_typeIjLj3EEjjjjjjjjj: ; @_ZL17mul_mat_vec_q_moeIL9ggml_type3ELi2EEvPKvS2_PKiPfj15HIP_vector_typeIjLj3EEjjjjjjjjj
; %bb.0:
	s_load_b256 s[4:11], s[0:1], 0x30
	v_bfe_u32 v6, v0, 10, 10
	s_mov_b32 s2, exec_lo
	s_wait_kmcnt 0x0
	s_delay_alu instid0(VALU_DEP_1)
	v_cmpx_gt_u32_e64 s11, v6
	s_cbranch_execz .LBB24_7
; %bb.1:
	s_clause 0x2
	s_load_b32 s2, s[0:1], 0x20
	s_load_b32 s20, s[0:1], 0x50
	s_load_b256 s[12:19], s[0:1], 0x0
	v_bfe_u32 v8, v0, 1, 9
	v_dual_mov_b32 v0, 0 :: v_dual_and_b32 v7, 0x3ff, v0
	v_mov_b32_e32 v1, 0
	s_mov_b32 s11, exec_lo
	s_wait_kmcnt 0x0
	s_lshr_b32 s3, s2, 5
	s_lshl_b32 s2, ttmp9, 1
	v_cmpx_gt_u32_e64 s3, v8
	s_cbranch_execz .LBB24_5
; %bb.2:
	s_mov_b32 s22, ttmp7
	v_lshrrev_b32_e32 v9, 1, v7
	v_mad_co_u64_u32 v[0:1], null, s20, v6, s[22:23]
	v_dual_mov_b32 v1, 0 :: v_dual_lshlrev_b32 v4, 1, v7
	s_load_b96 s[20:22], s[0:1], 0x24
	s_mov_b32 s1, 0
	v_and_b32_e32 v5, 1, v7
	s_delay_alu instid0(VALU_DEP_2) | instskip(NEXT) | instid1(VALU_DEP_4)
	v_and_b32_e32 v12, 2, v4
	v_lshlrev_b64_e32 v[2:3], 2, v[0:1]
	s_delay_alu instid0(VALU_DEP_1) | instskip(NEXT) | instid1(VALU_DEP_1)
	v_add_co_u32 v2, vcc_lo, s16, v2
	v_add_co_ci_u32_e64 v3, null, s17, v3, vcc_lo
	global_load_b32 v0, v[2:3], off
	v_mul_lo_u32 v2, s6, v6
	s_wait_kmcnt 0x0
	s_mul_hi_u32 s0, s20, ttmp7
	s_add_co_i32 s6, s2, 1
	s_add_co_i32 s0, ttmp7, s0
	s_delay_alu instid0(SALU_CYCLE_1) | instskip(NEXT) | instid1(SALU_CYCLE_1)
	s_lshr_b32 s0, s0, s21
	s_mul_i32 s0, s0, s22
	s_delay_alu instid0(VALU_DEP_1) | instskip(SKIP_1) | instid1(SALU_CYCLE_1)
	v_mad_co_u64_u32 v[2:3], null, v2, 36, 0
	s_sub_co_i32 s0, ttmp7, s0
	s_mul_i32 s0, s0, s9
	v_mad_co_u64_u32 v[10:11], null, v9, 36, v[2:3]
	s_wait_loadcnt 0x0
	v_mul_lo_u32 v0, v0, s8
	s_mul_u64 s[8:9], s[0:1], 36
	s_wait_alu 0xfffe
	s_add_nc_u64 s[8:9], s[14:15], s[8:9]
	s_delay_alu instid0(VALU_DEP_1)
	v_mad_co_u64_u32 v[2:3], null, s2, s5, v[0:1]
	v_mad_co_u64_u32 v[3:4], null, s5, s6, v[0:1]
	s_wait_alu 0xfffe
	v_add_co_u32 v4, vcc_lo, s8, v10
	v_lshlrev_b32_e32 v10, 2, v12
	v_dual_mov_b32 v0, v1 :: v_dual_lshlrev_b32 v9, 3, v5
	s_wait_alu 0xfffd
	v_add_co_ci_u32_e64 v5, null, s9, v11, vcc_lo
.LBB24_3:                               ; =>This Inner Loop Header: Depth=1
	v_add_nc_u32_e32 v13, v2, v8
	v_add_nc_u32_e32 v15, v3, v8
	v_add_co_u32 v11, vcc_lo, v4, v9
	s_wait_alu 0xfffd
	v_add_co_ci_u32_e64 v12, null, 0, v5, vcc_lo
	v_mad_co_i64_i32 v[13:14], null, v13, 20, s[12:13]
	v_mad_co_i64_i32 v[15:16], null, v15, 20, s[12:13]
	s_clause 0x2
	global_load_b32 v23, v[4:5], off
	global_load_b64 v[17:18], v[11:12], off offset:4
	global_load_b64 v[11:12], v[11:12], off offset:20
	v_add_nc_u32_e32 v8, 16, v8
	v_add_co_u32 v19, vcc_lo, v13, v10
	s_wait_alu 0xfffd
	v_add_co_ci_u32_e64 v20, null, 0, v14, vcc_lo
	v_add_co_u32 v21, vcc_lo, v15, v10
	s_wait_alu 0xfffd
	v_add_co_ci_u32_e64 v22, null, 0, v16, vcc_lo
	s_clause 0x3
	global_load_b64 v[19:20], v[19:20], off offset:4
	global_load_b64 v[21:22], v[21:22], off offset:4
	global_load_b32 v15, v[15:16], off
	global_load_b32 v13, v[13:14], off
	v_add_co_u32 v4, vcc_lo, 0x240, v4
	v_cmp_le_u32_e64 s0, s3, v8
	s_wait_alu 0xfffd
	v_add_co_ci_u32_e64 v5, null, 0, v5, vcc_lo
	s_or_b32 s1, s0, s1
	s_wait_loadcnt 0x3
	v_and_b32_e32 v14, 0xf0f0f0f, v19
	v_lshrrev_b32_e32 v16, 4, v19
	s_wait_loadcnt 0x2
	v_lshrrev_b32_e32 v24, 4, v21
	s_wait_loadcnt 0x0
	v_pk_mul_f16 v13, v13, v23
	v_and_b32_e32 v19, 0xf0f0f0f, v20
	v_dot4_i32_iu8 v14, v14, v17, 0 neg_lo:[1,1,0]
	v_and_b32_e32 v16, 0xf0f0f0f, v16
	v_and_b32_e32 v24, 0xf0f0f0f, v24
	v_lshrrev_b32_e32 v20, 4, v20
	v_and_b32_e32 v25, 0xf0f0f0f, v22
	v_pk_mul_f16 v15, v15, v23
	v_dot4_i32_iu8 v14, v16, v11, v14 neg_lo:[1,1,0]
	v_lshrrev_b32_e32 v16, 16, v13
	v_and_b32_e32 v20, 0xf0f0f0f, v20
	s_delay_alu instid0(VALU_DEP_3) | instskip(NEXT) | instid1(VALU_DEP_3)
	v_dot4_i32_iu8 v14, v19, v18, v14 neg_lo:[1,1,0]
	v_cvt_f32_f16_e32 v16, v16
	v_and_b32_e32 v21, 0xf0f0f0f, v21
	s_delay_alu instid0(VALU_DEP_3) | instskip(NEXT) | instid1(VALU_DEP_2)
	v_dot4_i32_iu8 v14, v20, v12, v14 neg_lo:[1,1,0]
	v_dot4_i32_iu8 v17, v21, v17, 0 neg_lo:[1,1,0]
	v_lshrrev_b32_e32 v21, 4, v22
	s_delay_alu instid0(VALU_DEP_3) | instskip(NEXT) | instid1(VALU_DEP_3)
	v_cvt_f32_i32_e32 v14, v14
	v_dot4_i32_iu8 v11, v24, v11, v17 neg_lo:[1,1,0]
	s_delay_alu instid0(VALU_DEP_3) | instskip(SKIP_1) | instid1(VALU_DEP_3)
	v_and_b32_e32 v17, 0xf0f0f0f, v21
	v_lshrrev_b32_e32 v21, 16, v15
	v_dot4_i32_iu8 v11, v25, v18, v11 neg_lo:[1,1,0]
	s_delay_alu instid0(VALU_DEP_2) | instskip(NEXT) | instid1(VALU_DEP_2)
	v_cvt_f32_f16_e32 v18, v21
	v_dot4_i32_iu8 v11, v17, v12, v11 neg_lo:[1,1,0]
	v_mul_f32_e32 v12, 0.5, v16
	s_delay_alu instid0(VALU_DEP_3) | instskip(NEXT) | instid1(VALU_DEP_3)
	v_mul_f32_e32 v16, 0.5, v18
	v_cvt_f32_i32_e32 v11, v11
	s_delay_alu instid0(VALU_DEP_3) | instskip(NEXT) | instid1(VALU_DEP_2)
	v_fma_mix_f32 v12, v14, v13, v12 op_sel_hi:[0,1,0]
	v_fma_mix_f32 v11, v11, v15, v16 op_sel_hi:[0,1,0]
	s_delay_alu instid0(VALU_DEP_1)
	v_dual_add_f32 v1, v1, v12 :: v_dual_add_f32 v0, v0, v11
	s_and_not1_b32 exec_lo, exec_lo, s1
	s_cbranch_execnz .LBB24_3
; %bb.4:
	s_or_b32 exec_lo, exec_lo, s1
.LBB24_5:
	s_wait_alu 0xfffe
	s_or_b32 exec_lo, exec_lo, s11
	v_mbcnt_lo_u32_b32 v2, -1, 0
	s_delay_alu instid0(VALU_DEP_1) | instskip(SKIP_1) | instid1(VALU_DEP_2)
	v_xor_b32_e32 v3, 16, v2
	v_xor_b32_e32 v5, 8, v2
	v_cmp_gt_i32_e32 vcc_lo, 32, v3
	s_wait_alu 0xfffd
	v_cndmask_b32_e32 v3, v2, v3, vcc_lo
	s_delay_alu instid0(VALU_DEP_3) | instskip(NEXT) | instid1(VALU_DEP_2)
	v_cmp_gt_i32_e32 vcc_lo, 32, v5
	v_lshlrev_b32_e32 v3, 2, v3
	ds_bpermute_b32 v4, v3, v1
	ds_bpermute_b32 v3, v3, v0
	s_wait_alu 0xfffd
	v_cndmask_b32_e32 v5, v2, v5, vcc_lo
	s_wait_dscnt 0x0
	v_dual_add_f32 v1, v1, v4 :: v_dual_add_f32 v0, v0, v3
	s_delay_alu instid0(VALU_DEP_2) | instskip(SKIP_3) | instid1(VALU_DEP_1)
	v_lshlrev_b32_e32 v5, 2, v5
	ds_bpermute_b32 v3, v5, v1
	ds_bpermute_b32 v4, v5, v0
	v_xor_b32_e32 v5, 4, v2
	v_cmp_gt_i32_e32 vcc_lo, 32, v5
	s_wait_alu 0xfffd
	v_cndmask_b32_e32 v5, v2, v5, vcc_lo
	s_delay_alu instid0(VALU_DEP_1)
	v_lshlrev_b32_e32 v5, 2, v5
	s_wait_dscnt 0x0
	v_dual_add_f32 v1, v1, v3 :: v_dual_add_f32 v0, v0, v4
	ds_bpermute_b32 v3, v5, v1
	ds_bpermute_b32 v4, v5, v0
	v_xor_b32_e32 v5, 2, v2
	s_delay_alu instid0(VALU_DEP_1) | instskip(SKIP_2) | instid1(VALU_DEP_1)
	v_cmp_gt_i32_e32 vcc_lo, 32, v5
	s_wait_alu 0xfffd
	v_cndmask_b32_e32 v5, v2, v5, vcc_lo
	v_lshlrev_b32_e32 v5, 2, v5
	s_wait_dscnt 0x1
	v_add_f32_e32 v1, v1, v3
	s_wait_dscnt 0x0
	v_add_f32_e32 v3, v0, v4
	ds_bpermute_b32 v0, v5, v1
	ds_bpermute_b32 v4, v5, v3
	v_xor_b32_e32 v5, 1, v2
	s_delay_alu instid0(VALU_DEP_1) | instskip(SKIP_4) | instid1(VALU_DEP_2)
	v_cmp_gt_i32_e32 vcc_lo, 32, v5
	s_wait_alu 0xfffd
	v_cndmask_b32_e32 v2, v2, v5, vcc_lo
	v_cmp_gt_u32_e32 vcc_lo, 2, v7
	s_wait_dscnt 0x1
	v_dual_add_f32 v0, v1, v0 :: v_dual_lshlrev_b32 v5, 2, v2
	s_wait_dscnt 0x0
	v_dual_add_f32 v1, v3, v4 :: v_dual_add_nc_u32 v4, s2, v7
	ds_bpermute_b32 v2, v5, v0
	ds_bpermute_b32 v3, v5, v1
	v_cmp_gt_u32_e64 s0, s4, v4
	s_and_b32 s0, vcc_lo, s0
	s_delay_alu instid0(SALU_CYCLE_1)
	s_and_b32 exec_lo, exec_lo, s0
	s_cbranch_execz .LBB24_7
; %bb.6:
	v_mul_lo_u32 v4, s7, v6
	v_or_b32_e32 v6, s2, v7
	s_mul_i32 s0, s10, ttmp7
	s_wait_dscnt 0x1
	v_dual_mov_b32 v5, 0 :: v_dual_add_f32 v2, v0, v2
	s_wait_dscnt 0x0
	v_add_f32_e32 v3, v1, v3
	v_cmp_eq_u32_e32 vcc_lo, 1, v7
	v_add3_u32 v4, v6, v4, s0
	s_wait_alu 0xfffd
	s_delay_alu instid0(VALU_DEP_3) | instskip(NEXT) | instid1(VALU_DEP_2)
	v_cndmask_b32_e32 v2, v2, v3, vcc_lo
	v_lshlrev_b64_e32 v[0:1], 2, v[4:5]
	s_delay_alu instid0(VALU_DEP_1) | instskip(SKIP_1) | instid1(VALU_DEP_2)
	v_add_co_u32 v0, vcc_lo, s18, v0
	s_wait_alu 0xfffd
	v_add_co_ci_u32_e64 v1, null, s19, v1, vcc_lo
	global_store_b32 v[0:1], v2, off
.LBB24_7:
	s_endpgm
	.section	.rodata,"a",@progbits
	.p2align	6, 0x0
	.amdhsa_kernel _ZL17mul_mat_vec_q_moeIL9ggml_type3ELi2EEvPKvS2_PKiPfj15HIP_vector_typeIjLj3EEjjjjjjjjj
		.amdhsa_group_segment_fixed_size 0
		.amdhsa_private_segment_fixed_size 0
		.amdhsa_kernarg_size 84
		.amdhsa_user_sgpr_count 2
		.amdhsa_user_sgpr_dispatch_ptr 0
		.amdhsa_user_sgpr_queue_ptr 0
		.amdhsa_user_sgpr_kernarg_segment_ptr 1
		.amdhsa_user_sgpr_dispatch_id 0
		.amdhsa_user_sgpr_private_segment_size 0
		.amdhsa_wavefront_size32 1
		.amdhsa_uses_dynamic_stack 0
		.amdhsa_enable_private_segment 0
		.amdhsa_system_sgpr_workgroup_id_x 1
		.amdhsa_system_sgpr_workgroup_id_y 1
		.amdhsa_system_sgpr_workgroup_id_z 0
		.amdhsa_system_sgpr_workgroup_info 0
		.amdhsa_system_vgpr_workitem_id 1
		.amdhsa_next_free_vgpr 26
		.amdhsa_next_free_sgpr 24
		.amdhsa_reserve_vcc 1
		.amdhsa_float_round_mode_32 0
		.amdhsa_float_round_mode_16_64 0
		.amdhsa_float_denorm_mode_32 3
		.amdhsa_float_denorm_mode_16_64 3
		.amdhsa_fp16_overflow 0
		.amdhsa_workgroup_processor_mode 1
		.amdhsa_memory_ordered 1
		.amdhsa_forward_progress 1
		.amdhsa_inst_pref_size 10
		.amdhsa_round_robin_scheduling 0
		.amdhsa_exception_fp_ieee_invalid_op 0
		.amdhsa_exception_fp_denorm_src 0
		.amdhsa_exception_fp_ieee_div_zero 0
		.amdhsa_exception_fp_ieee_overflow 0
		.amdhsa_exception_fp_ieee_underflow 0
		.amdhsa_exception_fp_ieee_inexact 0
		.amdhsa_exception_int_div_zero 0
	.end_amdhsa_kernel
	.section	.text._ZL17mul_mat_vec_q_moeIL9ggml_type3ELi2EEvPKvS2_PKiPfj15HIP_vector_typeIjLj3EEjjjjjjjjj,"axG",@progbits,_ZL17mul_mat_vec_q_moeIL9ggml_type3ELi2EEvPKvS2_PKiPfj15HIP_vector_typeIjLj3EEjjjjjjjjj,comdat
.Lfunc_end24:
	.size	_ZL17mul_mat_vec_q_moeIL9ggml_type3ELi2EEvPKvS2_PKiPfj15HIP_vector_typeIjLj3EEjjjjjjjjj, .Lfunc_end24-_ZL17mul_mat_vec_q_moeIL9ggml_type3ELi2EEvPKvS2_PKiPfj15HIP_vector_typeIjLj3EEjjjjjjjjj
                                        ; -- End function
	.set _ZL17mul_mat_vec_q_moeIL9ggml_type3ELi2EEvPKvS2_PKiPfj15HIP_vector_typeIjLj3EEjjjjjjjjj.num_vgpr, 26
	.set _ZL17mul_mat_vec_q_moeIL9ggml_type3ELi2EEvPKvS2_PKiPfj15HIP_vector_typeIjLj3EEjjjjjjjjj.num_agpr, 0
	.set _ZL17mul_mat_vec_q_moeIL9ggml_type3ELi2EEvPKvS2_PKiPfj15HIP_vector_typeIjLj3EEjjjjjjjjj.numbered_sgpr, 24
	.set _ZL17mul_mat_vec_q_moeIL9ggml_type3ELi2EEvPKvS2_PKiPfj15HIP_vector_typeIjLj3EEjjjjjjjjj.num_named_barrier, 0
	.set _ZL17mul_mat_vec_q_moeIL9ggml_type3ELi2EEvPKvS2_PKiPfj15HIP_vector_typeIjLj3EEjjjjjjjjj.private_seg_size, 0
	.set _ZL17mul_mat_vec_q_moeIL9ggml_type3ELi2EEvPKvS2_PKiPfj15HIP_vector_typeIjLj3EEjjjjjjjjj.uses_vcc, 1
	.set _ZL17mul_mat_vec_q_moeIL9ggml_type3ELi2EEvPKvS2_PKiPfj15HIP_vector_typeIjLj3EEjjjjjjjjj.uses_flat_scratch, 0
	.set _ZL17mul_mat_vec_q_moeIL9ggml_type3ELi2EEvPKvS2_PKiPfj15HIP_vector_typeIjLj3EEjjjjjjjjj.has_dyn_sized_stack, 0
	.set _ZL17mul_mat_vec_q_moeIL9ggml_type3ELi2EEvPKvS2_PKiPfj15HIP_vector_typeIjLj3EEjjjjjjjjj.has_recursion, 0
	.set _ZL17mul_mat_vec_q_moeIL9ggml_type3ELi2EEvPKvS2_PKiPfj15HIP_vector_typeIjLj3EEjjjjjjjjj.has_indirect_call, 0
	.section	.AMDGPU.csdata,"",@progbits
; Kernel info:
; codeLenInByte = 1248
; TotalNumSgprs: 26
; NumVgprs: 26
; ScratchSize: 0
; MemoryBound: 0
; FloatMode: 240
; IeeeMode: 1
; LDSByteSize: 0 bytes/workgroup (compile time only)
; SGPRBlocks: 0
; VGPRBlocks: 3
; NumSGPRsForWavesPerEU: 26
; NumVGPRsForWavesPerEU: 26
; Occupancy: 16
; WaveLimiterHint : 1
; COMPUTE_PGM_RSRC2:SCRATCH_EN: 0
; COMPUTE_PGM_RSRC2:USER_SGPR: 2
; COMPUTE_PGM_RSRC2:TRAP_HANDLER: 0
; COMPUTE_PGM_RSRC2:TGID_X_EN: 1
; COMPUTE_PGM_RSRC2:TGID_Y_EN: 1
; COMPUTE_PGM_RSRC2:TGID_Z_EN: 0
; COMPUTE_PGM_RSRC2:TIDIG_COMP_CNT: 1
	.section	.text._ZL13mul_mat_vec_qIL9ggml_type3ELi1ELb1ELb1EEvPKvS2_PKi31ggml_cuda_mm_fusion_args_devicePfj15HIP_vector_typeIjLj3EEjjjS8_jjjS8_jjjj,"axG",@progbits,_ZL13mul_mat_vec_qIL9ggml_type3ELi1ELb1ELb1EEvPKvS2_PKi31ggml_cuda_mm_fusion_args_devicePfj15HIP_vector_typeIjLj3EEjjjS8_jjjS8_jjjj,comdat
	.globl	_ZL13mul_mat_vec_qIL9ggml_type3ELi1ELb1ELb1EEvPKvS2_PKi31ggml_cuda_mm_fusion_args_devicePfj15HIP_vector_typeIjLj3EEjjjS8_jjjS8_jjjj ; -- Begin function _ZL13mul_mat_vec_qIL9ggml_type3ELi1ELb1ELb1EEvPKvS2_PKi31ggml_cuda_mm_fusion_args_devicePfj15HIP_vector_typeIjLj3EEjjjS8_jjjS8_jjjj
	.p2align	8
	.type	_ZL13mul_mat_vec_qIL9ggml_type3ELi1ELb1ELb1EEvPKvS2_PKi31ggml_cuda_mm_fusion_args_devicePfj15HIP_vector_typeIjLj3EEjjjS8_jjjS8_jjjj,@function
_ZL13mul_mat_vec_qIL9ggml_type3ELi1ELb1ELb1EEvPKvS2_PKi31ggml_cuda_mm_fusion_args_devicePfj15HIP_vector_typeIjLj3EEjjjS8_jjjS8_jjjj: ; @_ZL13mul_mat_vec_qIL9ggml_type3ELi1ELb1ELb1EEvPKvS2_PKi31ggml_cuda_mm_fusion_args_devicePfj15HIP_vector_typeIjLj3EEjjjS8_jjjS8_jjjj
; %bb.0:
	s_clause 0x3
	s_load_b256 s[8:15], s[0:1], 0x0
	s_load_b128 s[16:19], s[0:1], 0x20
	s_load_b128 s[20:23], s[0:1], 0x40
	;; [unrolled: 1-line block ×3, first 2 shown]
	s_and_b32 s27, ttmp7, 0xffff
	s_wait_kmcnt 0x0
	s_cmp_lg_u64 s[12:13], 0
	s_cselect_b32 s2, -1, 0
	s_cmp_eq_u64 s[12:13], 0
	s_cbranch_scc1 .LBB25_42
; %bb.1:
	s_lshl_b32 s3, s27, 2
	s_load_b32 s28, s[12:13], s3 offset:0x0
	s_clause 0x1
	s_load_b32 s29, s[0:1], 0x50
	s_load_b32 s30, s[0:1], 0x78
	s_cbranch_execnz .LBB25_3
.LBB25_2:
	s_load_b64 s[12:13], s[0:1], 0x5c
	s_wait_kmcnt 0x0
	s_mul_hi_u32 s3, s12, s27
	s_delay_alu instid0(SALU_CYCLE_1) | instskip(NEXT) | instid1(SALU_CYCLE_1)
	s_add_co_i32 s3, s27, s3
	s_lshr_b32 s28, s3, s13
.LBB25_3:
	s_and_not1_b32 vcc_lo, exec_lo, s2
	s_mov_b32 s3, s27
	s_mov_b32 s31, s27
	s_cbranch_vccnz .LBB25_5
; %bb.4:
	s_mul_hi_u32 s2, s21, s27
	s_wait_kmcnt 0x0
	s_mov_b32 s3, s28
	s_add_co_i32 s2, s27, s2
	s_delay_alu instid0(SALU_CYCLE_1) | instskip(NEXT) | instid1(SALU_CYCLE_1)
	s_lshr_b32 s2, s2, s22
	s_mul_i32 s2, s2, s23
	s_delay_alu instid0(SALU_CYCLE_1)
	s_sub_co_i32 s31, s27, s2
.LBB25_5:
	s_load_b96 s[24:26], s[0:1], 0x80
	v_bfe_u32 v14, v0, 10, 10
	v_dual_mov_b32 v10, 0 :: v_dual_and_b32 v9, 0x3ff, v0
	s_lshr_b32 s21, ttmp7, 16
	s_cmp_lg_u64 s[14:15], 0
	s_delay_alu instid0(VALU_DEP_1) | instskip(SKIP_4) | instid1(VALU_DEP_1)
	v_dual_mov_b32 v11, 0 :: v_dual_lshlrev_b32 v8, 2, v9
	v_or_b32_e32 v0, v9, v14
	s_cselect_b32 s2, -1, 0
	s_mov_b32 s23, 0
	s_mul_i32 s12, s3, s6
	v_cmp_eq_u32_e32 vcc_lo, 0, v0
	s_and_b32 s13, s2, vcc_lo
	s_delay_alu instid0(SALU_CYCLE_1)
	s_and_saveexec_b32 s3, s13
	s_cbranch_execz .LBB25_7
; %bb.6:
	s_wait_kmcnt 0x0
	s_mul_i32 s22, s26, s21
	s_mov_b32 s13, s23
	s_lshl_b64 s[36:37], s[22:23], 2
	s_mov_b32 s34, ttmp9
	s_add_nc_u64 s[14:15], s[14:15], s[36:37]
	s_lshl_b64 s[22:23], s[12:13], 2
	s_ashr_i32 s35, ttmp9, 31
	s_add_nc_u64 s[14:15], s[14:15], s[22:23]
	s_lshl_b64 s[22:23], s[34:35], 2
	s_delay_alu instid0(SALU_CYCLE_1)
	s_add_nc_u64 s[14:15], s[14:15], s[22:23]
	global_load_b32 v11, v8, s[14:15]
.LBB25_7:
	s_or_b32 exec_lo, exec_lo, s3
	s_cmp_lg_u64 s[16:17], 0
	s_cselect_b32 s14, -1, 0
	s_cmp_lg_u64 s[18:19], 0
	s_cselect_b32 s3, -1, 0
	s_delay_alu instid0(SALU_CYCLE_1) | instskip(NEXT) | instid1(SALU_CYCLE_1)
	s_and_b32 s13, s3, s14
	s_and_b32 s13, s13, vcc_lo
	s_delay_alu instid0(SALU_CYCLE_1)
	s_and_saveexec_b32 s15, s13
	s_cbranch_execz .LBB25_9
; %bb.8:
	s_wait_kmcnt 0x0
	s_mul_i32 s34, s26, s21
	s_mov_b32 s35, 0
	s_mov_b32 s22, ttmp9
	s_lshl_b64 s[36:37], s[34:35], 2
	s_mov_b32 s13, s35
	s_add_nc_u64 s[18:19], s[18:19], s[36:37]
	s_lshl_b64 s[12:13], s[12:13], 2
	s_ashr_i32 s23, ttmp9, 31
	s_add_nc_u64 s[12:13], s[18:19], s[12:13]
	s_lshl_b64 s[18:19], s[22:23], 2
	s_delay_alu instid0(SALU_CYCLE_1)
	s_add_nc_u64 s[12:13], s[12:13], s[18:19]
	global_load_b32 v10, v8, s[12:13]
.LBB25_9:
	s_or_b32 exec_lo, exec_lo, s15
	v_dual_mov_b32 v15, 0 :: v_dual_lshlrev_b32 v0, 5, v14
	v_cndmask_b32_e64 v12, 0, 1, s14
	s_lshr_b32 s15, s20, 5
	s_mov_b32 s18, exec_lo
	s_delay_alu instid0(VALU_DEP_2) | instskip(SKIP_1) | instid1(VALU_DEP_2)
	v_add_nc_u16 v1, v0, v9
	v_mov_b32_e32 v13, 0
	v_lshrrev_b16 v1, 1, v1
	s_delay_alu instid0(VALU_DEP_1) | instskip(SKIP_1) | instid1(VALU_DEP_1)
	v_and_b32_e32 v16, 0xffff, v1
	s_wait_alu 0xfffe
	v_cmpx_gt_u32_e64 s15, v16
	s_cbranch_execz .LBB25_15
; %bb.10:
	s_mul_hi_u32 s7, s7, s21
	v_dual_mov_b32 v15, 0 :: v_dual_add_nc_u32 v0, v0, v9
	s_mul_i32 s22, s31, s5
	s_add_co_i32 s5, s21, s7
	s_wait_kmcnt 0x0
	s_mul_i32 s12, s25, s21
	s_mov_b32 s13, 0
	s_lshr_b32 s5, s5, s30
	v_lshlrev_b32_e32 v1, 1, v9
	s_mov_b32 s23, s13
	s_mul_i32 s7, s28, s4
	s_mul_i32 s19, s5, s24
	s_mul_u64 s[4:5], s[12:13], 36
	v_lshrrev_b32_e32 v0, 1, v0
	s_mul_u64 s[22:23], s[22:23], 36
	s_add_nc_u64 s[4:5], s[10:11], s[4:5]
	v_dual_mov_b32 v13, 0 :: v_dual_and_b32 v2, 2, v1
	v_and_b32_e32 v3, 1, v9
	s_add_nc_u64 s[4:5], s[4:5], s[22:23]
	s_mul_i32 s29, s29, ttmp9
	v_mad_co_u64_u32 v[0:1], null, v0, 36, s[4:5]
	s_delay_alu instid0(VALU_DEP_2) | instskip(SKIP_2) | instid1(SALU_CYCLE_1)
	v_lshlrev_b32_e32 v17, 3, v3
	v_lshlrev_b32_e32 v18, 2, v2
	s_add_co_i32 s19, s19, s29
	s_add_co_i32 s5, s7, s19
	s_branch .LBB25_12
.LBB25_11:                              ;   in Loop: Header=BB25_12 Depth=1
	s_wait_loadcnt 0x4
	v_lshrrev_b32_e32 v21, 4, v6
	v_and_b32_e32 v6, 0xf0f0f0f, v6
	s_wait_loadcnt 0x0
	v_pk_mul_f16 v19, v19, v20
	v_add_nc_u32_e32 v16, 0x80, v16
	v_add_co_u32 v0, s4, 0x1200, v0
	v_and_b32_e32 v21, 0xf0f0f0f, v21
	v_dot4_i32_iu8 v4, v6, v4, 0 neg_lo:[1,1,0]
	v_and_b32_e32 v6, 0xf0f0f0f, v7
	v_lshrrev_b32_e32 v7, 4, v7
	v_cmp_le_u32_e32 vcc_lo, s15, v16
	s_wait_alu 0xf1ff
	v_add_co_ci_u32_e64 v1, null, 0, v1, s4
	v_dot4_i32_iu8 v2, v21, v2, v4 neg_lo:[1,1,0]
	v_and_b32_e32 v4, 0xf0f0f0f, v7
	v_lshrrev_b32_e32 v7, 16, v19
	s_or_b32 s13, vcc_lo, s13
	s_delay_alu instid0(VALU_DEP_3) | instskip(NEXT) | instid1(VALU_DEP_2)
	v_dot4_i32_iu8 v2, v6, v5, v2 neg_lo:[1,1,0]
	v_cvt_f32_f16_e32 v5, v7
	s_delay_alu instid0(VALU_DEP_2) | instskip(NEXT) | instid1(VALU_DEP_2)
	v_dot4_i32_iu8 v2, v4, v3, v2 neg_lo:[1,1,0]
	v_mul_f32_e32 v3, 0.5, v5
	s_delay_alu instid0(VALU_DEP_2) | instskip(NEXT) | instid1(VALU_DEP_1)
	v_cvt_f32_i32_e32 v2, v2
	v_fma_mix_f32 v2, v2, v19, v3 op_sel_hi:[0,1,0]
	s_delay_alu instid0(VALU_DEP_1)
	v_add_f32_e32 v15, v15, v2
	s_and_not1_b32 exec_lo, exec_lo, s13
	s_cbranch_execz .LBB25_14
.LBB25_12:                              ; =>This Inner Loop Header: Depth=1
	s_wait_alu 0xfffe
	v_add_nc_u32_e32 v21, s5, v16
	s_delay_alu instid0(VALU_DEP_1) | instskip(NEXT) | instid1(VALU_DEP_1)
	v_mad_co_i64_i32 v[2:3], null, v21, 20, s[8:9]
	v_add_co_u32 v4, vcc_lo, v2, v18
	s_wait_alu 0xfffd
	s_delay_alu instid0(VALU_DEP_2)
	v_add_co_ci_u32_e64 v5, null, 0, v3, vcc_lo
	v_add_co_u32 v22, vcc_lo, v0, v17
	s_wait_alu 0xfffd
	v_add_co_ci_u32_e64 v23, null, 0, v1, vcc_lo
	s_clause 0x1
	global_load_b64 v[6:7], v[4:5], off offset:4
	global_load_b32 v19, v[2:3], off
	s_clause 0x2
	global_load_b64 v[4:5], v[22:23], off offset:4
	global_load_b64 v[2:3], v[22:23], off offset:20
	global_load_b32 v20, v[0:1], off
	s_and_not1_b32 vcc_lo, exec_lo, s14
	s_wait_alu 0xfffe
	s_cbranch_vccnz .LBB25_11
; %bb.13:                               ;   in Loop: Header=BB25_12 Depth=1
	v_mad_co_i64_i32 v[21:22], null, v21, 20, s[16:17]
	s_delay_alu instid0(VALU_DEP_1) | instskip(SKIP_1) | instid1(VALU_DEP_2)
	v_add_co_u32 v23, vcc_lo, v21, v18
	s_wait_alu 0xfffd
	v_add_co_ci_u32_e64 v24, null, 0, v22, vcc_lo
	s_clause 0x1
	global_load_b64 v[23:24], v[23:24], off offset:4
	global_load_b32 v21, v[21:22], off
	s_wait_loadcnt 0x1
	v_lshrrev_b32_e32 v22, 4, v23
	v_and_b32_e32 v23, 0xf0f0f0f, v23
	v_and_b32_e32 v25, 0xf0f0f0f, v24
	v_lshrrev_b32_e32 v24, 4, v24
	s_wait_loadcnt 0x0
	v_pk_mul_f16 v21, v20, v21
	v_and_b32_e32 v22, 0xf0f0f0f, v22
	v_dot4_i32_iu8 v23, v23, v4, 0 neg_lo:[1,1,0]
	s_delay_alu instid0(VALU_DEP_1) | instskip(SKIP_2) | instid1(VALU_DEP_3)
	v_dot4_i32_iu8 v22, v22, v2, v23 neg_lo:[1,1,0]
	v_and_b32_e32 v23, 0xf0f0f0f, v24
	v_lshrrev_b32_e32 v24, 16, v21
	v_dot4_i32_iu8 v22, v25, v5, v22 neg_lo:[1,1,0]
	s_delay_alu instid0(VALU_DEP_1) | instskip(NEXT) | instid1(VALU_DEP_3)
	v_dot4_i32_iu8 v22, v23, v3, v22 neg_lo:[1,1,0]
	v_cvt_f32_f16_e32 v23, v24
	s_delay_alu instid0(VALU_DEP_2) | instskip(NEXT) | instid1(VALU_DEP_2)
	v_cvt_f32_i32_e32 v22, v22
	v_mul_f32_e32 v23, 0.5, v23
	s_delay_alu instid0(VALU_DEP_1) | instskip(NEXT) | instid1(VALU_DEP_1)
	v_fma_mix_f32 v21, v22, v21, v23 op_sel_hi:[0,1,0]
	v_add_f32_e32 v13, v13, v21
	s_branch .LBB25_11
.LBB25_14:
	s_or_b32 exec_lo, exec_lo, s13
.LBB25_15:
	s_delay_alu instid0(SALU_CYCLE_1)
	s_or_b32 exec_lo, exec_lo, s18
	s_load_b32 s5, s[0:1], 0x30
	v_cmp_eq_u32_e64 s4, 0, v14
	s_mov_b32 s7, exec_lo
	v_cmpx_ne_u32_e32 0, v14
	s_cbranch_execz .LBB25_19
; %bb.16:
	v_add_nc_u32_e32 v0, -1, v14
	s_and_b32 vcc_lo, exec_lo, s14
	s_delay_alu instid0(VALU_DEP_1)
	v_lshlrev_b32_e32 v0, 7, v0
	s_wait_alu 0xfffe
	s_cbranch_vccz .LBB25_18
; %bb.17:
	s_delay_alu instid0(VALU_DEP_1)
	v_lshl_add_u32 v1, v9, 2, v0
	ds_store_b32 v1, v13 offset:896
.LBB25_18:
	s_delay_alu instid0(VALU_DEP_1)
	v_lshl_add_u32 v0, v9, 2, v0
	ds_store_b32 v0, v15
.LBB25_19:
	s_or_b32 exec_lo, exec_lo, s7
	s_wait_loadcnt_dscnt 0x0
	s_barrier_signal -1
	s_barrier_wait -1
	global_inv scope:SCOPE_SE
	s_and_saveexec_b32 s7, s4
	s_cbranch_execz .LBB25_61
; %bb.20:
	ds_load_b32 v0, v8
	v_cmp_ne_u32_e32 vcc_lo, 1, v12
	v_add_nc_u32_e32 v1, 0x380, v8
	s_cbranch_vccnz .LBB25_22
; %bb.21:
	ds_load_b32 v2, v1
	s_wait_dscnt 0x0
	v_add_f32_e32 v13, v13, v2
.LBB25_22:
	ds_load_b32 v2, v8 offset:128
	v_cmp_ne_u32_e32 vcc_lo, 1, v12
	s_cbranch_vccnz .LBB25_24
; %bb.23:
	ds_load_b32 v3, v1 offset:128
	s_wait_dscnt 0x0
	v_add_f32_e32 v13, v13, v3
.LBB25_24:
	ds_load_b32 v3, v8 offset:256
	v_cmp_ne_u32_e32 vcc_lo, 1, v12
	s_cbranch_vccnz .LBB25_26
; %bb.25:
	ds_load_b32 v4, v1 offset:256
	s_wait_dscnt 0x0
	v_add_f32_e32 v13, v13, v4
.LBB25_26:
	;; [unrolled: 8-line block ×6, first 2 shown]
	v_mbcnt_lo_u32_b32 v1, -1, 0
	s_wait_dscnt 0x6
	v_add_f32_e32 v0, v15, v0
	s_wait_dscnt 0x5
	s_delay_alu instid0(VALU_DEP_1) | instskip(SKIP_2) | instid1(VALU_DEP_2)
	v_add_f32_e32 v0, v0, v2
	v_xor_b32_e32 v2, 16, v1
	s_wait_dscnt 0x4
	v_add_f32_e32 v0, v0, v3
	s_delay_alu instid0(VALU_DEP_2) | instskip(SKIP_2) | instid1(VALU_DEP_3)
	v_cmp_gt_i32_e32 vcc_lo, 32, v2
	v_xor_b32_e32 v3, 8, v1
	s_wait_dscnt 0x3
	v_add_f32_e32 v0, v0, v4
	s_wait_alu 0xfffd
	v_cndmask_b32_e32 v2, v1, v2, vcc_lo
	v_cmp_gt_i32_e32 vcc_lo, 32, v3
	s_wait_dscnt 0x2
	s_wait_alu 0xfffd
	v_dual_add_f32 v0, v0, v5 :: v_dual_cndmask_b32 v3, v1, v3
	s_wait_dscnt 0x1
	s_delay_alu instid0(VALU_DEP_1) | instskip(SKIP_1) | instid1(VALU_DEP_1)
	v_dual_add_f32 v0, v0, v6 :: v_dual_lshlrev_b32 v3, 2, v3
	s_wait_dscnt 0x0
	v_add_f32_e32 v4, v0, v7
	v_lshlrev_b32_e32 v0, 2, v2
	ds_bpermute_b32 v2, v0, v4
	s_wait_dscnt 0x0
	v_add_f32_e32 v2, v4, v2
	v_xor_b32_e32 v4, 4, v1
	ds_bpermute_b32 v5, v3, v2
	v_cmp_gt_i32_e32 vcc_lo, 32, v4
	s_wait_alu 0xfffd
	v_cndmask_b32_e32 v4, v1, v4, vcc_lo
	s_delay_alu instid0(VALU_DEP_1)
	v_lshlrev_b32_e32 v4, 2, v4
	s_wait_dscnt 0x0
	v_add_f32_e32 v2, v2, v5
	v_xor_b32_e32 v5, 2, v1
	ds_bpermute_b32 v6, v4, v2
	v_cmp_gt_i32_e32 vcc_lo, 32, v5
	s_wait_alu 0xfffd
	v_cndmask_b32_e32 v5, v1, v5, vcc_lo
	s_wait_dscnt 0x0
	s_delay_alu instid0(VALU_DEP_1)
	v_dual_add_f32 v2, v2, v6 :: v_dual_lshlrev_b32 v5, 2, v5
	v_xor_b32_e32 v6, 1, v1
	ds_bpermute_b32 v7, v5, v2
	v_cmp_gt_i32_e32 vcc_lo, 32, v6
	s_wait_alu 0xfffd
	v_cndmask_b32_e32 v1, v1, v6, vcc_lo
	v_cmp_ne_u32_e32 vcc_lo, 1, v12
	s_delay_alu instid0(VALU_DEP_2)
	v_lshlrev_b32_e32 v6, 2, v1
	s_wait_dscnt 0x0
	v_add_f32_e32 v1, v2, v7
	ds_bpermute_b32 v2, v6, v1
	s_cbranch_vccnz .LBB25_36
; %bb.35:
	ds_bpermute_b32 v0, v0, v13
	s_wait_dscnt 0x0
	v_add_f32_e32 v0, v13, v0
	ds_bpermute_b32 v3, v3, v0
	s_wait_dscnt 0x0
	v_add_f32_e32 v0, v0, v3
	ds_bpermute_b32 v3, v4, v0
	s_wait_dscnt 0x0
	v_add_f32_e32 v0, v0, v3
	ds_bpermute_b32 v3, v5, v0
	s_wait_dscnt 0x0
	v_add_f32_e32 v0, v0, v3
	ds_bpermute_b32 v3, v6, v0
	s_wait_dscnt 0x0
	v_add_f32_e32 v13, v0, v3
.LBB25_36:
	v_cmp_eq_u32_e32 vcc_lo, 0, v9
	s_and_b32 exec_lo, exec_lo, vcc_lo
	s_cbranch_execz .LBB25_61
; %bb.37:
	s_wait_dscnt 0x0
	v_add_f32_e32 v0, v1, v2
	v_cmp_ne_u32_e32 vcc_lo, 1, v12
	s_delay_alu instid0(VALU_DEP_2) | instskip(NEXT) | instid1(VALU_DEP_1)
	v_add_f32_e32 v1, v11, v0
	v_cndmask_b32_e64 v0, v0, v1, s2
	s_cbranch_vccnz .LBB25_60
; %bb.38:
	v_add_f32_e32 v1, v10, v13
	s_wait_kmcnt 0x0
	s_cmp_lt_i32 s5, 2
	s_mov_b32 s2, 0
	s_delay_alu instid0(VALU_DEP_1)
	v_cndmask_b32_e64 v1, v13, v1, s3
	s_cbranch_scc1 .LBB25_43
; %bb.39:
	s_cmp_gt_i32 s5, 2
	s_cbranch_scc0 .LBB25_44
; %bb.40:
	s_cmp_eq_u32 s5, 3
	s_cbranch_scc0 .LBB25_45
; %bb.41:
	v_max_num_f32_e32 v2, v1, v1
	s_mov_b32 s3, 0xc0e00000
	s_delay_alu instid0(VALU_DEP_1) | instskip(NEXT) | instid1(VALU_DEP_1)
	v_min_num_f32_e32 v2, 0x40e00000, v2
	v_mul_f32_e32 v3, 0xbfd9db23, v2
	s_delay_alu instid0(VALU_DEP_1) | instskip(NEXT) | instid1(VALU_DEP_1)
	v_mul_f32_e32 v4, 0x3fb8aa3b, v3
	v_fma_f32 v5, 0x3fb8aa3b, v3, -v4
	v_rndne_f32_e32 v6, v4
	s_delay_alu instid0(VALU_DEP_1) | instskip(NEXT) | instid1(VALU_DEP_1)
	v_dual_fmamk_f32 v5, v3, 0x32a5705f, v5 :: v_dual_sub_f32 v4, v4, v6
	v_add_f32_e32 v4, v4, v5
	v_cvt_i32_f32_e32 v5, v6
	v_cmp_ngt_f32_e32 vcc_lo, 0xc2ce8ed0, v3
	s_delay_alu instid0(VALU_DEP_3) | instskip(NEXT) | instid1(TRANS32_DEP_1)
	v_exp_f32_e32 v4, v4
	v_ldexp_f32 v4, v4, v5
	s_wait_alu 0xfffd
	s_delay_alu instid0(VALU_DEP_1) | instskip(SKIP_2) | instid1(VALU_DEP_2)
	v_cndmask_b32_e32 v4, 0, v4, vcc_lo
	v_cmp_nlt_f32_e32 vcc_lo, 0x42b17218, v3
	s_wait_alu 0xfffd
	v_cndmask_b32_e32 v3, 0x7f800000, v4, vcc_lo
	s_delay_alu instid0(VALU_DEP_1) | instskip(NEXT) | instid1(VALU_DEP_1)
	v_add_f32_e32 v3, 1.0, v3
	v_div_scale_f32 v4, null, v3, v3, v2
	v_div_scale_f32 v7, vcc_lo, v2, v3, v2
	s_delay_alu instid0(VALU_DEP_2) | instskip(NEXT) | instid1(TRANS32_DEP_1)
	v_rcp_f32_e32 v5, v4
	v_fma_f32 v6, -v4, v5, 1.0
	s_delay_alu instid0(VALU_DEP_1) | instskip(NEXT) | instid1(VALU_DEP_1)
	v_fmac_f32_e32 v5, v6, v5
	v_mul_f32_e32 v6, v7, v5
	s_delay_alu instid0(VALU_DEP_1) | instskip(NEXT) | instid1(VALU_DEP_1)
	v_fma_f32 v9, -v4, v6, v7
	v_fmac_f32_e32 v6, v9, v5
	s_delay_alu instid0(VALU_DEP_1) | instskip(SKIP_2) | instid1(VALU_DEP_2)
	v_fma_f32 v4, -v4, v6, v7
	v_max_num_f32_e32 v7, v0, v0
	s_wait_alu 0xfffd
	v_div_fmas_f32 v4, v4, v5, v6
	s_wait_alu 0xfffe
	s_delay_alu instid0(VALU_DEP_2) | instskip(SKIP_1) | instid1(VALU_DEP_2)
	v_minmax_num_f32 v5, v7, 0x40e00000, s3
	s_mov_b32 s3, 0
	v_div_fixup_f32 v2, v4, v3, v2
	s_delay_alu instid0(VALU_DEP_2) | instskip(NEXT) | instid1(VALU_DEP_1)
	v_add_f32_e32 v3, 1.0, v5
	v_mul_f32_e32 v2, v3, v2
	s_branch .LBB25_46
.LBB25_42:
                                        ; implicit-def: $sgpr28
	s_clause 0x1
	s_load_b32 s29, s[0:1], 0x50
	s_load_b32 s30, s[0:1], 0x78
	s_branch .LBB25_2
.LBB25_43:
	s_mov_b32 s3, 0
                                        ; implicit-def: $vgpr2
	s_cbranch_execnz .LBB25_50
	s_branch .LBB25_51
.LBB25_44:
	s_mov_b32 s4, -1
	s_mov_b32 s3, 0
                                        ; implicit-def: $vgpr2
	s_branch .LBB25_47
.LBB25_45:
	s_mov_b32 s3, -1
                                        ; implicit-def: $vgpr2
.LBB25_46:
	s_mov_b32 s4, 0
.LBB25_47:
	s_wait_alu 0xfffe
	s_and_b32 vcc_lo, exec_lo, s4
	s_wait_alu 0xfffe
	s_cbranch_vccz .LBB25_49
; %bb.48:
	v_mul_f32_e32 v2, 0xbfb8aa3b, v1
	v_cmp_nlt_f32_e32 vcc_lo, 0x42ce8ed0, v1
	s_delay_alu instid0(VALU_DEP_2) | instskip(SKIP_1) | instid1(VALU_DEP_2)
	v_rndne_f32_e32 v3, v2
	v_fma_f32 v4, 0xbfb8aa3b, v1, -v2
	v_sub_f32_e32 v2, v2, v3
	s_delay_alu instid0(VALU_DEP_2) | instskip(SKIP_1) | instid1(VALU_DEP_2)
	v_fmamk_f32 v4, v1, 0xb2a5705f, v4
	v_cvt_i32_f32_e32 v3, v3
	v_add_f32_e32 v2, v2, v4
	s_delay_alu instid0(VALU_DEP_1) | instskip(NEXT) | instid1(TRANS32_DEP_1)
	v_exp_f32_e32 v2, v2
	v_ldexp_f32 v2, v2, v3
	s_wait_alu 0xfffd
	s_delay_alu instid0(VALU_DEP_1) | instskip(SKIP_2) | instid1(VALU_DEP_2)
	v_cndmask_b32_e32 v2, 0, v2, vcc_lo
	v_cmp_ngt_f32_e32 vcc_lo, 0xc2b17218, v1
	s_wait_alu 0xfffd
	v_cndmask_b32_e32 v2, 0x7f800000, v2, vcc_lo
	s_delay_alu instid0(VALU_DEP_1) | instskip(NEXT) | instid1(VALU_DEP_1)
	v_add_f32_e32 v2, 1.0, v2
	v_div_scale_f32 v3, null, v2, v2, v1
	s_delay_alu instid0(VALU_DEP_1) | instskip(NEXT) | instid1(TRANS32_DEP_1)
	v_rcp_f32_e32 v4, v3
	v_fma_f32 v5, -v3, v4, 1.0
	s_delay_alu instid0(VALU_DEP_1) | instskip(SKIP_1) | instid1(VALU_DEP_1)
	v_fmac_f32_e32 v4, v5, v4
	v_div_scale_f32 v5, vcc_lo, v1, v2, v1
	v_mul_f32_e32 v6, v5, v4
	s_delay_alu instid0(VALU_DEP_1) | instskip(NEXT) | instid1(VALU_DEP_1)
	v_fma_f32 v7, -v3, v6, v5
	v_fmac_f32_e32 v6, v7, v4
	s_delay_alu instid0(VALU_DEP_1) | instskip(SKIP_1) | instid1(VALU_DEP_1)
	v_fma_f32 v3, -v3, v6, v5
	s_wait_alu 0xfffd
	v_div_fmas_f32 v3, v3, v4, v6
	s_delay_alu instid0(VALU_DEP_1) | instskip(NEXT) | instid1(VALU_DEP_1)
	v_div_fixup_f32 v2, v3, v2, v1
	v_mul_f32_e32 v2, v0, v2
.LBB25_49:
	s_branch .LBB25_51
.LBB25_50:
	s_cmp_lg_u32 s5, 1
	s_mov_b32 s2, -1
	s_cselect_b32 s3, -1, 0
.LBB25_51:
	s_wait_alu 0xfffe
	s_and_not1_b32 vcc_lo, exec_lo, s3
	s_wait_alu 0xfffe
	s_cbranch_vccz .LBB25_53
; %bb.52:
	s_and_not1_b32 vcc_lo, exec_lo, s2
	s_wait_alu 0xfffe
	s_cbranch_vccz .LBB25_54
	s_branch .LBB25_59
.LBB25_53:
	v_mul_f32_e32 v2, v1, v0
	s_cbranch_execnz .LBB25_59
.LBB25_54:
	v_mul_f32_e32 v2, 0x3d372713, v1
	v_mul_f32_e32 v3, 0x3f4c422a, v1
	s_delay_alu instid0(VALU_DEP_2) | instskip(NEXT) | instid1(VALU_DEP_1)
	v_fma_f32 v2, v1, v2, 1.0
	v_mul_f32_e32 v2, v3, v2
                                        ; implicit-def: $vgpr3
	s_delay_alu instid0(VALU_DEP_1)
	v_cmp_ngt_f32_e64 s2, 0x3f200000, |v2|
	s_and_saveexec_b32 s3, s2
	s_wait_alu 0xfffe
	s_xor_b32 s2, exec_lo, s3
	s_cbranch_execz .LBB25_56
; %bb.55:
	v_add_f32_e64 v3, |v2|, |v2|
	s_delay_alu instid0(VALU_DEP_1) | instskip(SKIP_1) | instid1(VALU_DEP_2)
	v_mul_f32_e32 v4, 0x3fb8aa3b, v3
	v_cmp_ngt_f32_e32 vcc_lo, 0xc2ce8ed0, v3
	v_rndne_f32_e32 v5, v4
	v_fma_f32 v6, 0x3fb8aa3b, v3, -v4
	s_delay_alu instid0(VALU_DEP_2) | instskip(NEXT) | instid1(VALU_DEP_2)
	v_sub_f32_e32 v4, v4, v5
	v_fmamk_f32 v6, v3, 0x32a5705f, v6
	v_cvt_i32_f32_e32 v5, v5
	s_delay_alu instid0(VALU_DEP_2) | instskip(NEXT) | instid1(VALU_DEP_1)
	v_add_f32_e32 v4, v4, v6
	v_exp_f32_e32 v4, v4
	s_delay_alu instid0(TRANS32_DEP_1) | instskip(SKIP_1) | instid1(VALU_DEP_1)
	v_ldexp_f32 v4, v4, v5
	s_wait_alu 0xfffd
	v_cndmask_b32_e32 v4, 0, v4, vcc_lo
	v_cmp_nlt_f32_e32 vcc_lo, 0x42b17218, v3
	s_wait_alu 0xfffd
	s_delay_alu instid0(VALU_DEP_2) | instskip(NEXT) | instid1(VALU_DEP_1)
	v_cndmask_b32_e32 v3, 0x7f800000, v4, vcc_lo
	v_add_f32_e32 v3, 1.0, v3
	s_delay_alu instid0(VALU_DEP_1) | instskip(NEXT) | instid1(TRANS32_DEP_1)
	v_rcp_f32_e32 v3, v3
	v_fma_f32 v3, v3, -2.0, 1.0
.LBB25_56:
	s_wait_alu 0xfffe
	s_and_not1_saveexec_b32 s2, s2
	s_cbranch_execz .LBB25_58
; %bb.57:
	v_mul_f32_e32 v3, v2, v2
	s_mov_b32 s3, 0xbbbac73d
	s_wait_alu 0xfffe
	s_delay_alu instid0(VALU_DEP_1) | instskip(NEXT) | instid1(VALU_DEP_1)
	v_fmaak_f32 v4, s3, v3, 0x3ca908c9
	v_fmaak_f32 v4, v3, v4, 0xbd5c1c4e
	s_delay_alu instid0(VALU_DEP_1) | instskip(NEXT) | instid1(VALU_DEP_1)
	v_fmaak_f32 v4, v3, v4, 0x3e088382
	v_fmaak_f32 v4, v3, v4, 0xbeaaaa99
	s_delay_alu instid0(VALU_DEP_1) | instskip(NEXT) | instid1(VALU_DEP_1)
	v_mul_f32_e64 v4, |v2|, v4
	v_fma_f32 v3, v3, v4, |v2|
.LBB25_58:
	s_wait_alu 0xfffe
	s_or_b32 exec_lo, exec_lo, s2
	s_delay_alu instid0(VALU_DEP_1) | instskip(NEXT) | instid1(VALU_DEP_1)
	v_bfi_b32 v2, 0x7fffffff, v3, v2
	v_dual_mul_f32 v1, 0.5, v1 :: v_dual_add_f32 v2, 1.0, v2
	s_delay_alu instid0(VALU_DEP_1) | instskip(NEXT) | instid1(VALU_DEP_1)
	v_mul_f32_e32 v1, v1, v2
	v_mul_f32_e32 v2, v0, v1
.LBB25_59:
	s_delay_alu instid0(VALU_DEP_1)
	v_mov_b32_e32 v0, v2
.LBB25_60:
	s_load_b64 s[0:1], s[0:1], 0x38
	s_mul_i32 s2, s6, s27
	s_wait_kmcnt 0x0
	s_mul_i32 s3, s26, s21
	s_wait_alu 0xfffe
	s_add_co_i32 s2, s2, ttmp9
	s_wait_alu 0xfffe
	s_add_co_i32 s2, s2, s3
	s_mov_b32 s3, 0
	s_wait_alu 0xfffe
	s_lshl_b64 s[2:3], s[2:3], 2
	s_wait_alu 0xfffe
	s_add_nc_u64 s[0:1], s[0:1], s[2:3]
	global_store_b32 v8, v0, s[0:1]
.LBB25_61:
	s_endpgm
	.section	.rodata,"a",@progbits
	.p2align	6, 0x0
	.amdhsa_kernel _ZL13mul_mat_vec_qIL9ggml_type3ELi1ELb1ELb1EEvPKvS2_PKi31ggml_cuda_mm_fusion_args_devicePfj15HIP_vector_typeIjLj3EEjjjS8_jjjS8_jjjj
		.amdhsa_group_segment_fixed_size 1792
		.amdhsa_private_segment_fixed_size 0
		.amdhsa_kernarg_size 144
		.amdhsa_user_sgpr_count 2
		.amdhsa_user_sgpr_dispatch_ptr 0
		.amdhsa_user_sgpr_queue_ptr 0
		.amdhsa_user_sgpr_kernarg_segment_ptr 1
		.amdhsa_user_sgpr_dispatch_id 0
		.amdhsa_user_sgpr_private_segment_size 0
		.amdhsa_wavefront_size32 1
		.amdhsa_uses_dynamic_stack 0
		.amdhsa_enable_private_segment 0
		.amdhsa_system_sgpr_workgroup_id_x 1
		.amdhsa_system_sgpr_workgroup_id_y 1
		.amdhsa_system_sgpr_workgroup_id_z 1
		.amdhsa_system_sgpr_workgroup_info 0
		.amdhsa_system_vgpr_workitem_id 1
		.amdhsa_next_free_vgpr 26
		.amdhsa_next_free_sgpr 38
		.amdhsa_reserve_vcc 1
		.amdhsa_float_round_mode_32 0
		.amdhsa_float_round_mode_16_64 0
		.amdhsa_float_denorm_mode_32 3
		.amdhsa_float_denorm_mode_16_64 3
		.amdhsa_fp16_overflow 0
		.amdhsa_workgroup_processor_mode 1
		.amdhsa_memory_ordered 1
		.amdhsa_forward_progress 1
		.amdhsa_inst_pref_size 24
		.amdhsa_round_robin_scheduling 0
		.amdhsa_exception_fp_ieee_invalid_op 0
		.amdhsa_exception_fp_denorm_src 0
		.amdhsa_exception_fp_ieee_div_zero 0
		.amdhsa_exception_fp_ieee_overflow 0
		.amdhsa_exception_fp_ieee_underflow 0
		.amdhsa_exception_fp_ieee_inexact 0
		.amdhsa_exception_int_div_zero 0
	.end_amdhsa_kernel
	.section	.text._ZL13mul_mat_vec_qIL9ggml_type3ELi1ELb1ELb1EEvPKvS2_PKi31ggml_cuda_mm_fusion_args_devicePfj15HIP_vector_typeIjLj3EEjjjS8_jjjS8_jjjj,"axG",@progbits,_ZL13mul_mat_vec_qIL9ggml_type3ELi1ELb1ELb1EEvPKvS2_PKi31ggml_cuda_mm_fusion_args_devicePfj15HIP_vector_typeIjLj3EEjjjS8_jjjS8_jjjj,comdat
.Lfunc_end25:
	.size	_ZL13mul_mat_vec_qIL9ggml_type3ELi1ELb1ELb1EEvPKvS2_PKi31ggml_cuda_mm_fusion_args_devicePfj15HIP_vector_typeIjLj3EEjjjS8_jjjS8_jjjj, .Lfunc_end25-_ZL13mul_mat_vec_qIL9ggml_type3ELi1ELb1ELb1EEvPKvS2_PKi31ggml_cuda_mm_fusion_args_devicePfj15HIP_vector_typeIjLj3EEjjjS8_jjjS8_jjjj
                                        ; -- End function
	.set _ZL13mul_mat_vec_qIL9ggml_type3ELi1ELb1ELb1EEvPKvS2_PKi31ggml_cuda_mm_fusion_args_devicePfj15HIP_vector_typeIjLj3EEjjjS8_jjjS8_jjjj.num_vgpr, 26
	.set _ZL13mul_mat_vec_qIL9ggml_type3ELi1ELb1ELb1EEvPKvS2_PKi31ggml_cuda_mm_fusion_args_devicePfj15HIP_vector_typeIjLj3EEjjjS8_jjjS8_jjjj.num_agpr, 0
	.set _ZL13mul_mat_vec_qIL9ggml_type3ELi1ELb1ELb1EEvPKvS2_PKi31ggml_cuda_mm_fusion_args_devicePfj15HIP_vector_typeIjLj3EEjjjS8_jjjS8_jjjj.numbered_sgpr, 38
	.set _ZL13mul_mat_vec_qIL9ggml_type3ELi1ELb1ELb1EEvPKvS2_PKi31ggml_cuda_mm_fusion_args_devicePfj15HIP_vector_typeIjLj3EEjjjS8_jjjS8_jjjj.num_named_barrier, 0
	.set _ZL13mul_mat_vec_qIL9ggml_type3ELi1ELb1ELb1EEvPKvS2_PKi31ggml_cuda_mm_fusion_args_devicePfj15HIP_vector_typeIjLj3EEjjjS8_jjjS8_jjjj.private_seg_size, 0
	.set _ZL13mul_mat_vec_qIL9ggml_type3ELi1ELb1ELb1EEvPKvS2_PKi31ggml_cuda_mm_fusion_args_devicePfj15HIP_vector_typeIjLj3EEjjjS8_jjjS8_jjjj.uses_vcc, 1
	.set _ZL13mul_mat_vec_qIL9ggml_type3ELi1ELb1ELb1EEvPKvS2_PKi31ggml_cuda_mm_fusion_args_devicePfj15HIP_vector_typeIjLj3EEjjjS8_jjjS8_jjjj.uses_flat_scratch, 0
	.set _ZL13mul_mat_vec_qIL9ggml_type3ELi1ELb1ELb1EEvPKvS2_PKi31ggml_cuda_mm_fusion_args_devicePfj15HIP_vector_typeIjLj3EEjjjS8_jjjS8_jjjj.has_dyn_sized_stack, 0
	.set _ZL13mul_mat_vec_qIL9ggml_type3ELi1ELb1ELb1EEvPKvS2_PKi31ggml_cuda_mm_fusion_args_devicePfj15HIP_vector_typeIjLj3EEjjjS8_jjjS8_jjjj.has_recursion, 0
	.set _ZL13mul_mat_vec_qIL9ggml_type3ELi1ELb1ELb1EEvPKvS2_PKi31ggml_cuda_mm_fusion_args_devicePfj15HIP_vector_typeIjLj3EEjjjS8_jjjS8_jjjj.has_indirect_call, 0
	.section	.AMDGPU.csdata,"",@progbits
; Kernel info:
; codeLenInByte = 3008
; TotalNumSgprs: 40
; NumVgprs: 26
; ScratchSize: 0
; MemoryBound: 0
; FloatMode: 240
; IeeeMode: 1
; LDSByteSize: 1792 bytes/workgroup (compile time only)
; SGPRBlocks: 0
; VGPRBlocks: 3
; NumSGPRsForWavesPerEU: 40
; NumVGPRsForWavesPerEU: 26
; Occupancy: 16
; WaveLimiterHint : 0
; COMPUTE_PGM_RSRC2:SCRATCH_EN: 0
; COMPUTE_PGM_RSRC2:USER_SGPR: 2
; COMPUTE_PGM_RSRC2:TRAP_HANDLER: 0
; COMPUTE_PGM_RSRC2:TGID_X_EN: 1
; COMPUTE_PGM_RSRC2:TGID_Y_EN: 1
; COMPUTE_PGM_RSRC2:TGID_Z_EN: 1
; COMPUTE_PGM_RSRC2:TIDIG_COMP_CNT: 1
	.section	.text._ZL13mul_mat_vec_qIL9ggml_type3ELi1ELb0ELb1EEvPKvS2_PKi31ggml_cuda_mm_fusion_args_devicePfj15HIP_vector_typeIjLj3EEjjjS8_jjjS8_jjjj,"axG",@progbits,_ZL13mul_mat_vec_qIL9ggml_type3ELi1ELb0ELb1EEvPKvS2_PKi31ggml_cuda_mm_fusion_args_devicePfj15HIP_vector_typeIjLj3EEjjjS8_jjjS8_jjjj,comdat
	.globl	_ZL13mul_mat_vec_qIL9ggml_type3ELi1ELb0ELb1EEvPKvS2_PKi31ggml_cuda_mm_fusion_args_devicePfj15HIP_vector_typeIjLj3EEjjjS8_jjjS8_jjjj ; -- Begin function _ZL13mul_mat_vec_qIL9ggml_type3ELi1ELb0ELb1EEvPKvS2_PKi31ggml_cuda_mm_fusion_args_devicePfj15HIP_vector_typeIjLj3EEjjjS8_jjjS8_jjjj
	.p2align	8
	.type	_ZL13mul_mat_vec_qIL9ggml_type3ELi1ELb0ELb1EEvPKvS2_PKi31ggml_cuda_mm_fusion_args_devicePfj15HIP_vector_typeIjLj3EEjjjS8_jjjS8_jjjj,@function
_ZL13mul_mat_vec_qIL9ggml_type3ELi1ELb0ELb1EEvPKvS2_PKi31ggml_cuda_mm_fusion_args_devicePfj15HIP_vector_typeIjLj3EEjjjS8_jjjS8_jjjj: ; @_ZL13mul_mat_vec_qIL9ggml_type3ELi1ELb0ELb1EEvPKvS2_PKi31ggml_cuda_mm_fusion_args_devicePfj15HIP_vector_typeIjLj3EEjjjS8_jjjS8_jjjj
; %bb.0:
	s_clause 0x1
	s_load_b64 s[2:3], s[0:1], 0x10
	s_load_b128 s[8:11], s[0:1], 0x40
	s_and_b32 s15, ttmp7, 0xffff
	s_wait_kmcnt 0x0
	s_cmp_lg_u64 s[2:3], 0
	s_cselect_b32 s12, -1, 0
	s_cmp_eq_u64 s[2:3], 0
	s_cbranch_scc1 .LBB26_15
; %bb.1:
	s_lshl_b32 s4, s15, 2
	s_load_b32 s19, s[2:3], s4 offset:0x0
	s_clause 0x1
	s_load_b128 s[4:7], s[0:1], 0x68
	s_load_b32 s20, s[0:1], 0x50
	s_cbranch_execnz .LBB26_3
.LBB26_2:
	s_load_b64 s[2:3], s[0:1], 0x5c
	s_wait_kmcnt 0x0
	s_mul_hi_u32 s2, s2, s15
	s_delay_alu instid0(SALU_CYCLE_1) | instskip(NEXT) | instid1(SALU_CYCLE_1)
	s_add_co_i32 s2, s15, s2
	s_lshr_b32 s19, s2, s3
.LBB26_3:
	s_load_b32 s21, s[0:1], 0x78
	s_and_not1_b32 vcc_lo, exec_lo, s12
	s_mov_b32 s22, s15
	s_cbranch_vccnz .LBB26_5
; %bb.4:
	s_mul_hi_u32 s2, s9, s15
	s_delay_alu instid0(SALU_CYCLE_1) | instskip(NEXT) | instid1(SALU_CYCLE_1)
	s_add_co_i32 s2, s15, s2
	s_lshr_b32 s2, s2, s10
	s_delay_alu instid0(SALU_CYCLE_1) | instskip(NEXT) | instid1(SALU_CYCLE_1)
	s_mul_i32 s2, s2, s11
	s_sub_co_i32 s22, s15, s2
.LBB26_5:
	v_bfe_u32 v3, v0, 10, 10
	v_and_b32_e32 v2, 0x3ff, v0
	s_load_b96 s[12:14], s[0:1], 0x80
	s_lshr_b32 s18, s8, 5
	s_lshr_b32 s16, ttmp7, 16
	v_lshlrev_b32_e32 v0, 5, v3
	s_mov_b32 s17, exec_lo
	v_mov_b32_e32 v4, 0
	s_delay_alu instid0(VALU_DEP_2) | instskip(NEXT) | instid1(VALU_DEP_1)
	v_add_nc_u16 v1, v0, v2
	v_lshrrev_b16 v1, 1, v1
	s_delay_alu instid0(VALU_DEP_1) | instskip(NEXT) | instid1(VALU_DEP_1)
	v_and_b32_e32 v5, 0xffff, v1
	v_cmpx_gt_u32_e64 s18, v5
	s_cbranch_execz .LBB26_9
; %bb.6:
	s_load_b128 s[8:11], s[0:1], 0x0
	v_add_nc_u32_e32 v0, v0, v2
	s_wait_kmcnt 0x0
	s_mul_i32 s22, s22, s5
	s_mul_hi_u32 s5, s7, s16
	s_mul_i32 s2, s13, s16
	s_mov_b32 s3, 0
	s_mul_i32 s7, s19, s4
	s_add_co_i32 s4, s16, s5
	v_dual_mov_b32 v4, 0 :: v_dual_lshlrev_b32 v1, 1, v2
	s_mov_b32 s23, s3
	s_lshr_b32 s13, s4, s21
	s_mul_u64 s[4:5], s[2:3], 36
	v_lshrrev_b32_e32 v0, 1, v0
	s_mul_i32 s2, s13, s12
	s_mul_u64 s[12:13], s[22:23], 36
	v_and_b32_e32 v7, 2, v1
	v_and_b32_e32 v6, 1, v2
	s_mul_i32 s20, s20, ttmp9
	s_delay_alu instid0(SALU_CYCLE_1) | instskip(SKIP_1) | instid1(VALU_DEP_1)
	s_add_co_i32 s2, s2, s20
	s_add_nc_u64 s[4:5], s[10:11], s[4:5]
	v_lshlrev_b32_e32 v6, 3, v6
	s_add_nc_u64 s[4:5], s[4:5], s[12:13]
	v_lshlrev_b32_e32 v7, 2, v7
	v_mad_co_u64_u32 v[0:1], null, v0, 36, s[4:5]
	s_add_co_i32 s4, s7, s2
.LBB26_7:                               ; =>This Inner Loop Header: Depth=1
	s_wait_alu 0xfffe
	v_add_nc_u32_e32 v8, s4, v5
	v_add_co_u32 v10, vcc_lo, v0, v6
	s_wait_alu 0xfffd
	v_add_co_ci_u32_e64 v11, null, 0, v1, vcc_lo
	s_delay_alu instid0(VALU_DEP_3) | instskip(SKIP_1) | instid1(VALU_DEP_1)
	v_mad_co_i64_i32 v[8:9], null, v8, 20, s[8:9]
	v_add_nc_u32_e32 v5, 0x80, v5
	v_cmp_le_u32_e32 vcc_lo, s18, v5
	s_delay_alu instid0(VALU_DEP_3) | instskip(SKIP_1) | instid1(VALU_DEP_4)
	v_add_co_u32 v12, s2, v8, v7
	s_wait_alu 0xf1ff
	v_add_co_ci_u32_e64 v13, null, 0, v9, s2
	s_or_b32 s3, vcc_lo, s3
	global_load_b64 v[12:13], v[12:13], off offset:4
	s_clause 0x2
	global_load_b64 v[14:15], v[10:11], off offset:4
	global_load_b64 v[10:11], v[10:11], off offset:20
	global_load_b32 v16, v[0:1], off
	global_load_b32 v8, v[8:9], off
	v_add_co_u32 v0, s2, 0x1200, v0
	s_wait_alu 0xf1ff
	v_add_co_ci_u32_e64 v1, null, 0, v1, s2
	s_wait_loadcnt 0x4
	v_lshrrev_b32_e32 v9, 4, v12
	v_and_b32_e32 v12, 0xf0f0f0f, v12
	s_wait_loadcnt 0x0
	v_pk_mul_f16 v8, v8, v16
	s_delay_alu instid0(VALU_DEP_3) | instskip(NEXT) | instid1(VALU_DEP_3)
	v_and_b32_e32 v9, 0xf0f0f0f, v9
	v_dot4_i32_iu8 v12, v12, v14, 0 neg_lo:[1,1,0]
	s_delay_alu instid0(VALU_DEP_1) | instskip(NEXT) | instid1(VALU_DEP_4)
	v_dot4_i32_iu8 v9, v9, v10, v12 neg_lo:[1,1,0]
	v_lshrrev_b32_e32 v12, 16, v8
	s_delay_alu instid0(VALU_DEP_1) | instskip(SKIP_2) | instid1(VALU_DEP_2)
	v_cvt_f32_f16_e32 v12, v12
	v_and_b32_e32 v17, 0xf0f0f0f, v13
	v_lshrrev_b32_e32 v13, 4, v13
	v_dot4_i32_iu8 v9, v17, v15, v9 neg_lo:[1,1,0]
	s_delay_alu instid0(VALU_DEP_2) | instskip(NEXT) | instid1(VALU_DEP_1)
	v_and_b32_e32 v10, 0xf0f0f0f, v13
	v_dot4_i32_iu8 v9, v10, v11, v9 neg_lo:[1,1,0]
	v_mul_f32_e32 v10, 0.5, v12
	s_delay_alu instid0(VALU_DEP_2) | instskip(NEXT) | instid1(VALU_DEP_1)
	v_cvt_f32_i32_e32 v9, v9
	v_fma_mix_f32 v8, v9, v8, v10 op_sel_hi:[0,1,0]
	s_delay_alu instid0(VALU_DEP_1)
	v_add_f32_e32 v4, v4, v8
	s_wait_alu 0xfffe
	s_and_not1_b32 exec_lo, exec_lo, s3
	s_cbranch_execnz .LBB26_7
; %bb.8:
	s_or_b32 exec_lo, exec_lo, s3
.LBB26_9:
	s_delay_alu instid0(SALU_CYCLE_1)
	s_or_b32 exec_lo, exec_lo, s17
	v_lshlrev_b32_e32 v0, 2, v2
	s_mov_b32 s3, exec_lo
	v_cmp_eq_u32_e32 vcc_lo, 0, v3
	v_cmpx_ne_u32_e32 0, v3
; %bb.10:
	v_lshlrev_b32_e32 v1, 7, v3
	s_delay_alu instid0(VALU_DEP_1)
	v_add3_u32 v1, v1, v0, 0xffffff80
	ds_store_b32 v1, v4
; %bb.11:
	s_wait_alu 0xfffe
	s_or_b32 exec_lo, exec_lo, s3
	s_wait_dscnt 0x0
	s_barrier_signal -1
	s_barrier_wait -1
	global_inv scope:SCOPE_SE
	s_and_saveexec_b32 s2, vcc_lo
	s_cbranch_execz .LBB26_14
; %bb.12:
	ds_load_2addr_b32 v[5:6], v0 offset1:32
	ds_load_2addr_b32 v[7:8], v0 offset0:64 offset1:96
	ds_load_2addr_b32 v[9:10], v0 offset0:128 offset1:160
	v_mbcnt_lo_u32_b32 v3, -1, 0
	ds_load_b32 v0, v0 offset:768
	s_mov_b32 s3, 0
	s_wait_dscnt 0x3
	v_add_f32_e32 v1, v4, v5
	v_xor_b32_e32 v4, 16, v3
	s_delay_alu instid0(VALU_DEP_1) | instskip(SKIP_1) | instid1(VALU_DEP_3)
	v_cmp_gt_i32_e32 vcc_lo, 32, v4
	s_wait_alu 0xfffd
	v_dual_cndmask_b32 v4, v3, v4 :: v_dual_add_f32 v1, v1, v6
	s_wait_dscnt 0x2
	s_delay_alu instid0(VALU_DEP_1) | instskip(NEXT) | instid1(VALU_DEP_1)
	v_add_f32_e32 v1, v1, v7
	v_add_f32_e32 v1, v1, v8
	s_wait_dscnt 0x1
	s_delay_alu instid0(VALU_DEP_1) | instskip(NEXT) | instid1(VALU_DEP_1)
	v_add_f32_e32 v1, v1, v9
	v_add_f32_e32 v1, v1, v10
	s_wait_dscnt 0x0
	s_delay_alu instid0(VALU_DEP_1)
	v_add_f32_e32 v0, v1, v0
	v_lshlrev_b32_e32 v1, 2, v4
	v_xor_b32_e32 v4, 8, v3
	ds_bpermute_b32 v1, v1, v0
	v_cmp_gt_i32_e32 vcc_lo, 32, v4
	s_wait_alu 0xfffd
	v_cndmask_b32_e32 v4, v3, v4, vcc_lo
	s_delay_alu instid0(VALU_DEP_1) | instskip(SKIP_4) | instid1(VALU_DEP_1)
	v_lshlrev_b32_e32 v4, 2, v4
	s_wait_dscnt 0x0
	v_add_f32_e32 v0, v0, v1
	ds_bpermute_b32 v1, v4, v0
	v_xor_b32_e32 v4, 4, v3
	v_cmp_gt_i32_e32 vcc_lo, 32, v4
	s_wait_alu 0xfffd
	v_cndmask_b32_e32 v4, v3, v4, vcc_lo
	s_delay_alu instid0(VALU_DEP_1) | instskip(SKIP_4) | instid1(VALU_DEP_1)
	v_lshlrev_b32_e32 v4, 2, v4
	s_wait_dscnt 0x0
	v_add_f32_e32 v0, v0, v1
	ds_bpermute_b32 v1, v4, v0
	v_xor_b32_e32 v4, 2, v3
	;; [unrolled: 9-line block ×3, first 2 shown]
	v_cmp_gt_i32_e32 vcc_lo, 32, v4
	s_wait_alu 0xfffd
	v_cndmask_b32_e32 v3, v3, v4, vcc_lo
	v_cmp_eq_u32_e32 vcc_lo, 0, v2
	s_wait_dscnt 0x0
	s_delay_alu instid0(VALU_DEP_2)
	v_dual_add_f32 v0, v0, v1 :: v_dual_lshlrev_b32 v3, 2, v3
	ds_bpermute_b32 v1, v3, v0
	s_and_b32 exec_lo, exec_lo, vcc_lo
	s_cbranch_execz .LBB26_14
; %bb.13:
	s_load_b64 s[0:1], s[0:1], 0x38
	s_wait_kmcnt 0x0
	s_mul_i32 s2, s6, s15
	s_mul_i32 s4, s14, s16
	s_wait_alu 0xfffe
	s_add_co_i32 s2, s2, ttmp9
	v_mov_b32_e32 v2, 0
	s_wait_alu 0xfffe
	s_add_co_i32 s2, s2, s4
	s_wait_dscnt 0x0
	v_add_f32_e32 v0, v0, v1
	s_wait_alu 0xfffe
	s_lshl_b64 s[2:3], s[2:3], 2
	s_wait_alu 0xfffe
	s_add_nc_u64 s[0:1], s[0:1], s[2:3]
	global_store_b32 v2, v0, s[0:1]
.LBB26_14:
	s_endpgm
.LBB26_15:
                                        ; implicit-def: $sgpr19
	s_clause 0x1
	s_load_b128 s[4:7], s[0:1], 0x68
	s_load_b32 s20, s[0:1], 0x50
	s_branch .LBB26_2
	.section	.rodata,"a",@progbits
	.p2align	6, 0x0
	.amdhsa_kernel _ZL13mul_mat_vec_qIL9ggml_type3ELi1ELb0ELb1EEvPKvS2_PKi31ggml_cuda_mm_fusion_args_devicePfj15HIP_vector_typeIjLj3EEjjjS8_jjjS8_jjjj
		.amdhsa_group_segment_fixed_size 896
		.amdhsa_private_segment_fixed_size 0
		.amdhsa_kernarg_size 144
		.amdhsa_user_sgpr_count 2
		.amdhsa_user_sgpr_dispatch_ptr 0
		.amdhsa_user_sgpr_queue_ptr 0
		.amdhsa_user_sgpr_kernarg_segment_ptr 1
		.amdhsa_user_sgpr_dispatch_id 0
		.amdhsa_user_sgpr_private_segment_size 0
		.amdhsa_wavefront_size32 1
		.amdhsa_uses_dynamic_stack 0
		.amdhsa_enable_private_segment 0
		.amdhsa_system_sgpr_workgroup_id_x 1
		.amdhsa_system_sgpr_workgroup_id_y 1
		.amdhsa_system_sgpr_workgroup_id_z 1
		.amdhsa_system_sgpr_workgroup_info 0
		.amdhsa_system_vgpr_workitem_id 1
		.amdhsa_next_free_vgpr 18
		.amdhsa_next_free_sgpr 24
		.amdhsa_reserve_vcc 1
		.amdhsa_float_round_mode_32 0
		.amdhsa_float_round_mode_16_64 0
		.amdhsa_float_denorm_mode_32 3
		.amdhsa_float_denorm_mode_16_64 3
		.amdhsa_fp16_overflow 0
		.amdhsa_workgroup_processor_mode 1
		.amdhsa_memory_ordered 1
		.amdhsa_forward_progress 1
		.amdhsa_inst_pref_size 10
		.amdhsa_round_robin_scheduling 0
		.amdhsa_exception_fp_ieee_invalid_op 0
		.amdhsa_exception_fp_denorm_src 0
		.amdhsa_exception_fp_ieee_div_zero 0
		.amdhsa_exception_fp_ieee_overflow 0
		.amdhsa_exception_fp_ieee_underflow 0
		.amdhsa_exception_fp_ieee_inexact 0
		.amdhsa_exception_int_div_zero 0
	.end_amdhsa_kernel
	.section	.text._ZL13mul_mat_vec_qIL9ggml_type3ELi1ELb0ELb1EEvPKvS2_PKi31ggml_cuda_mm_fusion_args_devicePfj15HIP_vector_typeIjLj3EEjjjS8_jjjS8_jjjj,"axG",@progbits,_ZL13mul_mat_vec_qIL9ggml_type3ELi1ELb0ELb1EEvPKvS2_PKi31ggml_cuda_mm_fusion_args_devicePfj15HIP_vector_typeIjLj3EEjjjS8_jjjS8_jjjj,comdat
.Lfunc_end26:
	.size	_ZL13mul_mat_vec_qIL9ggml_type3ELi1ELb0ELb1EEvPKvS2_PKi31ggml_cuda_mm_fusion_args_devicePfj15HIP_vector_typeIjLj3EEjjjS8_jjjS8_jjjj, .Lfunc_end26-_ZL13mul_mat_vec_qIL9ggml_type3ELi1ELb0ELb1EEvPKvS2_PKi31ggml_cuda_mm_fusion_args_devicePfj15HIP_vector_typeIjLj3EEjjjS8_jjjS8_jjjj
                                        ; -- End function
	.set _ZL13mul_mat_vec_qIL9ggml_type3ELi1ELb0ELb1EEvPKvS2_PKi31ggml_cuda_mm_fusion_args_devicePfj15HIP_vector_typeIjLj3EEjjjS8_jjjS8_jjjj.num_vgpr, 18
	.set _ZL13mul_mat_vec_qIL9ggml_type3ELi1ELb0ELb1EEvPKvS2_PKi31ggml_cuda_mm_fusion_args_devicePfj15HIP_vector_typeIjLj3EEjjjS8_jjjS8_jjjj.num_agpr, 0
	.set _ZL13mul_mat_vec_qIL9ggml_type3ELi1ELb0ELb1EEvPKvS2_PKi31ggml_cuda_mm_fusion_args_devicePfj15HIP_vector_typeIjLj3EEjjjS8_jjjS8_jjjj.numbered_sgpr, 24
	.set _ZL13mul_mat_vec_qIL9ggml_type3ELi1ELb0ELb1EEvPKvS2_PKi31ggml_cuda_mm_fusion_args_devicePfj15HIP_vector_typeIjLj3EEjjjS8_jjjS8_jjjj.num_named_barrier, 0
	.set _ZL13mul_mat_vec_qIL9ggml_type3ELi1ELb0ELb1EEvPKvS2_PKi31ggml_cuda_mm_fusion_args_devicePfj15HIP_vector_typeIjLj3EEjjjS8_jjjS8_jjjj.private_seg_size, 0
	.set _ZL13mul_mat_vec_qIL9ggml_type3ELi1ELb0ELb1EEvPKvS2_PKi31ggml_cuda_mm_fusion_args_devicePfj15HIP_vector_typeIjLj3EEjjjS8_jjjS8_jjjj.uses_vcc, 1
	.set _ZL13mul_mat_vec_qIL9ggml_type3ELi1ELb0ELb1EEvPKvS2_PKi31ggml_cuda_mm_fusion_args_devicePfj15HIP_vector_typeIjLj3EEjjjS8_jjjS8_jjjj.uses_flat_scratch, 0
	.set _ZL13mul_mat_vec_qIL9ggml_type3ELi1ELb0ELb1EEvPKvS2_PKi31ggml_cuda_mm_fusion_args_devicePfj15HIP_vector_typeIjLj3EEjjjS8_jjjS8_jjjj.has_dyn_sized_stack, 0
	.set _ZL13mul_mat_vec_qIL9ggml_type3ELi1ELb0ELb1EEvPKvS2_PKi31ggml_cuda_mm_fusion_args_devicePfj15HIP_vector_typeIjLj3EEjjjS8_jjjS8_jjjj.has_recursion, 0
	.set _ZL13mul_mat_vec_qIL9ggml_type3ELi1ELb0ELb1EEvPKvS2_PKi31ggml_cuda_mm_fusion_args_devicePfj15HIP_vector_typeIjLj3EEjjjS8_jjjS8_jjjj.has_indirect_call, 0
	.section	.AMDGPU.csdata,"",@progbits
; Kernel info:
; codeLenInByte = 1192
; TotalNumSgprs: 26
; NumVgprs: 18
; ScratchSize: 0
; MemoryBound: 0
; FloatMode: 240
; IeeeMode: 1
; LDSByteSize: 896 bytes/workgroup (compile time only)
; SGPRBlocks: 0
; VGPRBlocks: 2
; NumSGPRsForWavesPerEU: 26
; NumVGPRsForWavesPerEU: 18
; Occupancy: 16
; WaveLimiterHint : 0
; COMPUTE_PGM_RSRC2:SCRATCH_EN: 0
; COMPUTE_PGM_RSRC2:USER_SGPR: 2
; COMPUTE_PGM_RSRC2:TRAP_HANDLER: 0
; COMPUTE_PGM_RSRC2:TGID_X_EN: 1
; COMPUTE_PGM_RSRC2:TGID_Y_EN: 1
; COMPUTE_PGM_RSRC2:TGID_Z_EN: 1
; COMPUTE_PGM_RSRC2:TIDIG_COMP_CNT: 1
	.section	.text._ZL13mul_mat_vec_qIL9ggml_type3ELi1ELb1ELb0EEvPKvS2_PKi31ggml_cuda_mm_fusion_args_devicePfj15HIP_vector_typeIjLj3EEjjjS8_jjjS8_jjjj,"axG",@progbits,_ZL13mul_mat_vec_qIL9ggml_type3ELi1ELb1ELb0EEvPKvS2_PKi31ggml_cuda_mm_fusion_args_devicePfj15HIP_vector_typeIjLj3EEjjjS8_jjjS8_jjjj,comdat
	.globl	_ZL13mul_mat_vec_qIL9ggml_type3ELi1ELb1ELb0EEvPKvS2_PKi31ggml_cuda_mm_fusion_args_devicePfj15HIP_vector_typeIjLj3EEjjjS8_jjjS8_jjjj ; -- Begin function _ZL13mul_mat_vec_qIL9ggml_type3ELi1ELb1ELb0EEvPKvS2_PKi31ggml_cuda_mm_fusion_args_devicePfj15HIP_vector_typeIjLj3EEjjjS8_jjjS8_jjjj
	.p2align	8
	.type	_ZL13mul_mat_vec_qIL9ggml_type3ELi1ELb1ELb0EEvPKvS2_PKi31ggml_cuda_mm_fusion_args_devicePfj15HIP_vector_typeIjLj3EEjjjS8_jjjS8_jjjj,@function
_ZL13mul_mat_vec_qIL9ggml_type3ELi1ELb1ELb0EEvPKvS2_PKi31ggml_cuda_mm_fusion_args_devicePfj15HIP_vector_typeIjLj3EEjjjS8_jjjS8_jjjj: ; @_ZL13mul_mat_vec_qIL9ggml_type3ELi1ELb1ELb0EEvPKvS2_PKi31ggml_cuda_mm_fusion_args_devicePfj15HIP_vector_typeIjLj3EEjjjS8_jjjS8_jjjj
; %bb.0:
	s_clause 0x3
	s_load_b256 s[8:15], s[0:1], 0x0
	s_load_b128 s[16:19], s[0:1], 0x20
	s_load_b128 s[20:23], s[0:1], 0x40
	;; [unrolled: 1-line block ×3, first 2 shown]
	s_and_b32 s27, ttmp7, 0xffff
	s_wait_kmcnt 0x0
	s_cmp_lg_u64 s[12:13], 0
	s_cselect_b32 s2, -1, 0
	s_cmp_eq_u64 s[12:13], 0
	s_cbranch_scc1 .LBB27_42
; %bb.1:
	s_lshl_b32 s3, s27, 2
	s_load_b32 s28, s[12:13], s3 offset:0x0
	s_clause 0x1
	s_load_b32 s29, s[0:1], 0x50
	s_load_b32 s30, s[0:1], 0x78
	s_cbranch_execnz .LBB27_3
.LBB27_2:
	s_load_b64 s[12:13], s[0:1], 0x5c
	s_wait_kmcnt 0x0
	s_mul_hi_u32 s3, s12, s27
	s_delay_alu instid0(SALU_CYCLE_1) | instskip(NEXT) | instid1(SALU_CYCLE_1)
	s_add_co_i32 s3, s27, s3
	s_lshr_b32 s28, s3, s13
.LBB27_3:
	s_and_not1_b32 vcc_lo, exec_lo, s2
	s_mov_b32 s3, s27
	s_mov_b32 s31, s27
	s_cbranch_vccnz .LBB27_5
; %bb.4:
	s_mul_hi_u32 s2, s21, s27
	s_wait_kmcnt 0x0
	s_mov_b32 s3, s28
	s_add_co_i32 s2, s27, s2
	s_delay_alu instid0(SALU_CYCLE_1) | instskip(NEXT) | instid1(SALU_CYCLE_1)
	s_lshr_b32 s2, s2, s22
	s_mul_i32 s2, s2, s23
	s_delay_alu instid0(SALU_CYCLE_1)
	s_sub_co_i32 s31, s27, s2
.LBB27_5:
	s_load_b96 s[24:26], s[0:1], 0x80
	v_bfe_u32 v14, v0, 10, 10
	v_dual_mov_b32 v10, 0 :: v_dual_and_b32 v9, 0x3ff, v0
	s_lshr_b32 s21, ttmp7, 16
	s_cmp_lg_u64 s[14:15], 0
	s_delay_alu instid0(VALU_DEP_1) | instskip(SKIP_4) | instid1(VALU_DEP_1)
	v_dual_mov_b32 v11, 0 :: v_dual_lshlrev_b32 v8, 2, v9
	v_or_b32_e32 v0, v9, v14
	s_cselect_b32 s2, -1, 0
	s_mov_b32 s23, 0
	s_mul_i32 s12, s3, s6
	v_cmp_eq_u32_e32 vcc_lo, 0, v0
	s_and_b32 s13, s2, vcc_lo
	s_delay_alu instid0(SALU_CYCLE_1)
	s_and_saveexec_b32 s3, s13
	s_cbranch_execz .LBB27_7
; %bb.6:
	s_wait_kmcnt 0x0
	s_mul_i32 s22, s26, s21
	s_mov_b32 s13, s23
	s_lshl_b64 s[36:37], s[22:23], 2
	s_mov_b32 s34, ttmp9
	s_add_nc_u64 s[14:15], s[14:15], s[36:37]
	s_lshl_b64 s[22:23], s[12:13], 2
	s_ashr_i32 s35, ttmp9, 31
	s_add_nc_u64 s[14:15], s[14:15], s[22:23]
	s_lshl_b64 s[22:23], s[34:35], 2
	s_delay_alu instid0(SALU_CYCLE_1)
	s_add_nc_u64 s[14:15], s[14:15], s[22:23]
	global_load_b32 v11, v8, s[14:15]
.LBB27_7:
	s_or_b32 exec_lo, exec_lo, s3
	s_cmp_lg_u64 s[16:17], 0
	s_cselect_b32 s14, -1, 0
	s_cmp_lg_u64 s[18:19], 0
	s_cselect_b32 s3, -1, 0
	s_delay_alu instid0(SALU_CYCLE_1) | instskip(NEXT) | instid1(SALU_CYCLE_1)
	s_and_b32 s13, s3, s14
	s_and_b32 s13, s13, vcc_lo
	s_delay_alu instid0(SALU_CYCLE_1)
	s_and_saveexec_b32 s15, s13
	s_cbranch_execz .LBB27_9
; %bb.8:
	s_wait_kmcnt 0x0
	s_mul_i32 s34, s26, s21
	s_mov_b32 s35, 0
	s_mov_b32 s22, ttmp9
	s_lshl_b64 s[36:37], s[34:35], 2
	s_mov_b32 s13, s35
	s_add_nc_u64 s[18:19], s[18:19], s[36:37]
	s_lshl_b64 s[12:13], s[12:13], 2
	s_ashr_i32 s23, ttmp9, 31
	s_add_nc_u64 s[12:13], s[18:19], s[12:13]
	s_lshl_b64 s[18:19], s[22:23], 2
	s_delay_alu instid0(SALU_CYCLE_1)
	s_add_nc_u64 s[12:13], s[12:13], s[18:19]
	global_load_b32 v10, v8, s[12:13]
.LBB27_9:
	s_or_b32 exec_lo, exec_lo, s15
	v_dual_mov_b32 v15, 0 :: v_dual_lshlrev_b32 v0, 5, v14
	v_cndmask_b32_e64 v12, 0, 1, s14
	s_lshr_b32 s15, s20, 5
	s_mov_b32 s18, exec_lo
	s_delay_alu instid0(VALU_DEP_2) | instskip(SKIP_1) | instid1(VALU_DEP_2)
	v_add_nc_u16 v1, v0, v9
	v_mov_b32_e32 v13, 0
	v_lshrrev_b16 v1, 1, v1
	s_delay_alu instid0(VALU_DEP_1) | instskip(SKIP_1) | instid1(VALU_DEP_1)
	v_and_b32_e32 v16, 0xffff, v1
	s_wait_alu 0xfffe
	v_cmpx_gt_u32_e64 s15, v16
	s_cbranch_execz .LBB27_15
; %bb.10:
	s_mul_hi_u32 s7, s7, s21
	v_dual_mov_b32 v15, 0 :: v_dual_add_nc_u32 v0, v0, v9
	s_mul_i32 s22, s31, s5
	s_add_co_i32 s5, s21, s7
	s_wait_kmcnt 0x0
	s_mul_i32 s12, s25, s21
	s_mov_b32 s13, 0
	s_lshr_b32 s5, s5, s30
	v_lshlrev_b32_e32 v1, 1, v9
	s_mov_b32 s23, s13
	s_mul_i32 s7, s28, s4
	s_mul_i32 s19, s5, s24
	s_mul_u64 s[4:5], s[12:13], 36
	v_lshrrev_b32_e32 v0, 1, v0
	s_mul_u64 s[22:23], s[22:23], 36
	s_add_nc_u64 s[4:5], s[10:11], s[4:5]
	v_dual_mov_b32 v13, 0 :: v_dual_and_b32 v2, 2, v1
	v_and_b32_e32 v3, 1, v9
	s_add_nc_u64 s[4:5], s[4:5], s[22:23]
	s_mul_i32 s29, s29, ttmp9
	v_mad_co_u64_u32 v[0:1], null, v0, 36, s[4:5]
	s_delay_alu instid0(VALU_DEP_2) | instskip(SKIP_2) | instid1(SALU_CYCLE_1)
	v_lshlrev_b32_e32 v17, 3, v3
	v_lshlrev_b32_e32 v18, 2, v2
	s_add_co_i32 s19, s19, s29
	s_add_co_i32 s5, s7, s19
	s_branch .LBB27_12
.LBB27_11:                              ;   in Loop: Header=BB27_12 Depth=1
	s_wait_loadcnt 0x4
	v_lshrrev_b32_e32 v21, 4, v6
	v_and_b32_e32 v6, 0xf0f0f0f, v6
	s_wait_loadcnt 0x0
	v_pk_mul_f16 v19, v19, v20
	v_add_nc_u32_e32 v16, 0x80, v16
	v_add_co_u32 v0, s4, 0x1200, v0
	v_and_b32_e32 v21, 0xf0f0f0f, v21
	v_dot4_i32_iu8 v4, v6, v4, 0 neg_lo:[1,1,0]
	v_and_b32_e32 v6, 0xf0f0f0f, v7
	v_lshrrev_b32_e32 v7, 4, v7
	v_cmp_le_u32_e32 vcc_lo, s15, v16
	s_wait_alu 0xf1ff
	v_add_co_ci_u32_e64 v1, null, 0, v1, s4
	v_dot4_i32_iu8 v2, v21, v2, v4 neg_lo:[1,1,0]
	v_and_b32_e32 v4, 0xf0f0f0f, v7
	v_lshrrev_b32_e32 v7, 16, v19
	s_or_b32 s13, vcc_lo, s13
	s_delay_alu instid0(VALU_DEP_3) | instskip(NEXT) | instid1(VALU_DEP_2)
	v_dot4_i32_iu8 v2, v6, v5, v2 neg_lo:[1,1,0]
	v_cvt_f32_f16_e32 v5, v7
	s_delay_alu instid0(VALU_DEP_2) | instskip(NEXT) | instid1(VALU_DEP_2)
	v_dot4_i32_iu8 v2, v4, v3, v2 neg_lo:[1,1,0]
	v_mul_f32_e32 v3, 0.5, v5
	s_delay_alu instid0(VALU_DEP_2) | instskip(NEXT) | instid1(VALU_DEP_1)
	v_cvt_f32_i32_e32 v2, v2
	v_fma_mix_f32 v2, v2, v19, v3 op_sel_hi:[0,1,0]
	s_delay_alu instid0(VALU_DEP_1)
	v_add_f32_e32 v15, v15, v2
	s_and_not1_b32 exec_lo, exec_lo, s13
	s_cbranch_execz .LBB27_14
.LBB27_12:                              ; =>This Inner Loop Header: Depth=1
	s_wait_alu 0xfffe
	v_add_nc_u32_e32 v21, s5, v16
	s_delay_alu instid0(VALU_DEP_1) | instskip(NEXT) | instid1(VALU_DEP_1)
	v_mad_co_i64_i32 v[2:3], null, v21, 20, s[8:9]
	v_add_co_u32 v4, vcc_lo, v2, v18
	s_wait_alu 0xfffd
	s_delay_alu instid0(VALU_DEP_2)
	v_add_co_ci_u32_e64 v5, null, 0, v3, vcc_lo
	v_add_co_u32 v22, vcc_lo, v0, v17
	s_wait_alu 0xfffd
	v_add_co_ci_u32_e64 v23, null, 0, v1, vcc_lo
	s_clause 0x1
	global_load_b64 v[6:7], v[4:5], off offset:4
	global_load_b32 v19, v[2:3], off
	s_clause 0x2
	global_load_b64 v[4:5], v[22:23], off offset:4
	global_load_b64 v[2:3], v[22:23], off offset:20
	global_load_b32 v20, v[0:1], off
	s_and_not1_b32 vcc_lo, exec_lo, s14
	s_wait_alu 0xfffe
	s_cbranch_vccnz .LBB27_11
; %bb.13:                               ;   in Loop: Header=BB27_12 Depth=1
	v_mad_co_i64_i32 v[21:22], null, v21, 20, s[16:17]
	s_delay_alu instid0(VALU_DEP_1) | instskip(SKIP_1) | instid1(VALU_DEP_2)
	v_add_co_u32 v23, vcc_lo, v21, v18
	s_wait_alu 0xfffd
	v_add_co_ci_u32_e64 v24, null, 0, v22, vcc_lo
	s_clause 0x1
	global_load_b64 v[23:24], v[23:24], off offset:4
	global_load_b32 v21, v[21:22], off
	s_wait_loadcnt 0x1
	v_lshrrev_b32_e32 v22, 4, v23
	v_and_b32_e32 v23, 0xf0f0f0f, v23
	v_and_b32_e32 v25, 0xf0f0f0f, v24
	v_lshrrev_b32_e32 v24, 4, v24
	s_wait_loadcnt 0x0
	v_pk_mul_f16 v21, v20, v21
	v_and_b32_e32 v22, 0xf0f0f0f, v22
	v_dot4_i32_iu8 v23, v23, v4, 0 neg_lo:[1,1,0]
	s_delay_alu instid0(VALU_DEP_1) | instskip(SKIP_2) | instid1(VALU_DEP_3)
	v_dot4_i32_iu8 v22, v22, v2, v23 neg_lo:[1,1,0]
	v_and_b32_e32 v23, 0xf0f0f0f, v24
	v_lshrrev_b32_e32 v24, 16, v21
	v_dot4_i32_iu8 v22, v25, v5, v22 neg_lo:[1,1,0]
	s_delay_alu instid0(VALU_DEP_1) | instskip(NEXT) | instid1(VALU_DEP_3)
	v_dot4_i32_iu8 v22, v23, v3, v22 neg_lo:[1,1,0]
	v_cvt_f32_f16_e32 v23, v24
	s_delay_alu instid0(VALU_DEP_2) | instskip(NEXT) | instid1(VALU_DEP_2)
	v_cvt_f32_i32_e32 v22, v22
	v_mul_f32_e32 v23, 0.5, v23
	s_delay_alu instid0(VALU_DEP_1) | instskip(NEXT) | instid1(VALU_DEP_1)
	v_fma_mix_f32 v21, v22, v21, v23 op_sel_hi:[0,1,0]
	v_add_f32_e32 v13, v13, v21
	s_branch .LBB27_11
.LBB27_14:
	s_or_b32 exec_lo, exec_lo, s13
.LBB27_15:
	s_delay_alu instid0(SALU_CYCLE_1)
	s_or_b32 exec_lo, exec_lo, s18
	s_load_b32 s5, s[0:1], 0x30
	v_cmp_eq_u32_e64 s4, 0, v14
	s_mov_b32 s7, exec_lo
	v_cmpx_ne_u32_e32 0, v14
	s_cbranch_execz .LBB27_19
; %bb.16:
	v_add_nc_u32_e32 v0, -1, v14
	s_and_b32 vcc_lo, exec_lo, s14
	s_delay_alu instid0(VALU_DEP_1)
	v_lshlrev_b32_e32 v0, 7, v0
	s_wait_alu 0xfffe
	s_cbranch_vccz .LBB27_18
; %bb.17:
	s_delay_alu instid0(VALU_DEP_1)
	v_lshl_add_u32 v1, v9, 2, v0
	ds_store_b32 v1, v13 offset:896
.LBB27_18:
	s_delay_alu instid0(VALU_DEP_1)
	v_lshl_add_u32 v0, v9, 2, v0
	ds_store_b32 v0, v15
.LBB27_19:
	s_or_b32 exec_lo, exec_lo, s7
	s_wait_loadcnt_dscnt 0x0
	s_barrier_signal -1
	s_barrier_wait -1
	global_inv scope:SCOPE_SE
	s_and_saveexec_b32 s7, s4
	s_cbranch_execz .LBB27_61
; %bb.20:
	ds_load_b32 v0, v8
	v_cmp_ne_u32_e32 vcc_lo, 1, v12
	v_add_nc_u32_e32 v1, 0x380, v8
	s_cbranch_vccnz .LBB27_22
; %bb.21:
	ds_load_b32 v2, v1
	s_wait_dscnt 0x0
	v_add_f32_e32 v13, v13, v2
.LBB27_22:
	ds_load_b32 v2, v8 offset:128
	v_cmp_ne_u32_e32 vcc_lo, 1, v12
	s_cbranch_vccnz .LBB27_24
; %bb.23:
	ds_load_b32 v3, v1 offset:128
	s_wait_dscnt 0x0
	v_add_f32_e32 v13, v13, v3
.LBB27_24:
	ds_load_b32 v3, v8 offset:256
	v_cmp_ne_u32_e32 vcc_lo, 1, v12
	s_cbranch_vccnz .LBB27_26
; %bb.25:
	ds_load_b32 v4, v1 offset:256
	s_wait_dscnt 0x0
	v_add_f32_e32 v13, v13, v4
.LBB27_26:
	;; [unrolled: 8-line block ×6, first 2 shown]
	v_mbcnt_lo_u32_b32 v1, -1, 0
	s_wait_dscnt 0x6
	v_add_f32_e32 v0, v15, v0
	s_wait_dscnt 0x5
	s_delay_alu instid0(VALU_DEP_1) | instskip(SKIP_2) | instid1(VALU_DEP_2)
	v_add_f32_e32 v0, v0, v2
	v_xor_b32_e32 v2, 16, v1
	s_wait_dscnt 0x4
	v_add_f32_e32 v0, v0, v3
	s_delay_alu instid0(VALU_DEP_2) | instskip(SKIP_2) | instid1(VALU_DEP_3)
	v_cmp_gt_i32_e32 vcc_lo, 32, v2
	v_xor_b32_e32 v3, 8, v1
	s_wait_dscnt 0x3
	v_add_f32_e32 v0, v0, v4
	s_wait_alu 0xfffd
	v_cndmask_b32_e32 v2, v1, v2, vcc_lo
	v_cmp_gt_i32_e32 vcc_lo, 32, v3
	s_wait_dscnt 0x2
	s_wait_alu 0xfffd
	v_dual_add_f32 v0, v0, v5 :: v_dual_cndmask_b32 v3, v1, v3
	s_wait_dscnt 0x1
	s_delay_alu instid0(VALU_DEP_1) | instskip(SKIP_1) | instid1(VALU_DEP_1)
	v_dual_add_f32 v0, v0, v6 :: v_dual_lshlrev_b32 v3, 2, v3
	s_wait_dscnt 0x0
	v_add_f32_e32 v4, v0, v7
	v_lshlrev_b32_e32 v0, 2, v2
	ds_bpermute_b32 v2, v0, v4
	s_wait_dscnt 0x0
	v_add_f32_e32 v2, v4, v2
	v_xor_b32_e32 v4, 4, v1
	ds_bpermute_b32 v5, v3, v2
	v_cmp_gt_i32_e32 vcc_lo, 32, v4
	s_wait_alu 0xfffd
	v_cndmask_b32_e32 v4, v1, v4, vcc_lo
	s_delay_alu instid0(VALU_DEP_1)
	v_lshlrev_b32_e32 v4, 2, v4
	s_wait_dscnt 0x0
	v_add_f32_e32 v2, v2, v5
	v_xor_b32_e32 v5, 2, v1
	ds_bpermute_b32 v6, v4, v2
	v_cmp_gt_i32_e32 vcc_lo, 32, v5
	s_wait_alu 0xfffd
	v_cndmask_b32_e32 v5, v1, v5, vcc_lo
	s_wait_dscnt 0x0
	s_delay_alu instid0(VALU_DEP_1)
	v_dual_add_f32 v2, v2, v6 :: v_dual_lshlrev_b32 v5, 2, v5
	v_xor_b32_e32 v6, 1, v1
	ds_bpermute_b32 v7, v5, v2
	v_cmp_gt_i32_e32 vcc_lo, 32, v6
	s_wait_alu 0xfffd
	v_cndmask_b32_e32 v1, v1, v6, vcc_lo
	v_cmp_ne_u32_e32 vcc_lo, 1, v12
	s_delay_alu instid0(VALU_DEP_2)
	v_lshlrev_b32_e32 v6, 2, v1
	s_wait_dscnt 0x0
	v_add_f32_e32 v1, v2, v7
	ds_bpermute_b32 v2, v6, v1
	s_cbranch_vccnz .LBB27_36
; %bb.35:
	ds_bpermute_b32 v0, v0, v13
	s_wait_dscnt 0x0
	v_add_f32_e32 v0, v13, v0
	ds_bpermute_b32 v3, v3, v0
	s_wait_dscnt 0x0
	v_add_f32_e32 v0, v0, v3
	;; [unrolled: 3-line block ×5, first 2 shown]
.LBB27_36:
	v_cmp_eq_u32_e32 vcc_lo, 0, v9
	s_and_b32 exec_lo, exec_lo, vcc_lo
	s_cbranch_execz .LBB27_61
; %bb.37:
	s_wait_dscnt 0x0
	v_add_f32_e32 v0, v1, v2
	v_cmp_ne_u32_e32 vcc_lo, 1, v12
	s_delay_alu instid0(VALU_DEP_2) | instskip(NEXT) | instid1(VALU_DEP_1)
	v_add_f32_e32 v1, v11, v0
	v_cndmask_b32_e64 v0, v0, v1, s2
	s_cbranch_vccnz .LBB27_60
; %bb.38:
	v_add_f32_e32 v1, v10, v13
	s_wait_kmcnt 0x0
	s_cmp_lt_i32 s5, 2
	s_mov_b32 s2, 0
	s_delay_alu instid0(VALU_DEP_1)
	v_cndmask_b32_e64 v1, v13, v1, s3
	s_cbranch_scc1 .LBB27_43
; %bb.39:
	s_cmp_gt_i32 s5, 2
	s_cbranch_scc0 .LBB27_44
; %bb.40:
	s_cmp_eq_u32 s5, 3
	s_cbranch_scc0 .LBB27_45
; %bb.41:
	v_max_num_f32_e32 v2, v1, v1
	s_mov_b32 s3, 0xc0e00000
	s_delay_alu instid0(VALU_DEP_1) | instskip(NEXT) | instid1(VALU_DEP_1)
	v_min_num_f32_e32 v2, 0x40e00000, v2
	v_mul_f32_e32 v3, 0xbfd9db23, v2
	s_delay_alu instid0(VALU_DEP_1) | instskip(NEXT) | instid1(VALU_DEP_1)
	v_mul_f32_e32 v4, 0x3fb8aa3b, v3
	v_fma_f32 v5, 0x3fb8aa3b, v3, -v4
	v_rndne_f32_e32 v6, v4
	s_delay_alu instid0(VALU_DEP_1) | instskip(NEXT) | instid1(VALU_DEP_1)
	v_dual_fmamk_f32 v5, v3, 0x32a5705f, v5 :: v_dual_sub_f32 v4, v4, v6
	v_add_f32_e32 v4, v4, v5
	v_cvt_i32_f32_e32 v5, v6
	v_cmp_ngt_f32_e32 vcc_lo, 0xc2ce8ed0, v3
	s_delay_alu instid0(VALU_DEP_3) | instskip(NEXT) | instid1(TRANS32_DEP_1)
	v_exp_f32_e32 v4, v4
	v_ldexp_f32 v4, v4, v5
	s_wait_alu 0xfffd
	s_delay_alu instid0(VALU_DEP_1) | instskip(SKIP_2) | instid1(VALU_DEP_2)
	v_cndmask_b32_e32 v4, 0, v4, vcc_lo
	v_cmp_nlt_f32_e32 vcc_lo, 0x42b17218, v3
	s_wait_alu 0xfffd
	v_cndmask_b32_e32 v3, 0x7f800000, v4, vcc_lo
	s_delay_alu instid0(VALU_DEP_1) | instskip(NEXT) | instid1(VALU_DEP_1)
	v_add_f32_e32 v3, 1.0, v3
	v_div_scale_f32 v4, null, v3, v3, v2
	v_div_scale_f32 v7, vcc_lo, v2, v3, v2
	s_delay_alu instid0(VALU_DEP_2) | instskip(NEXT) | instid1(TRANS32_DEP_1)
	v_rcp_f32_e32 v5, v4
	v_fma_f32 v6, -v4, v5, 1.0
	s_delay_alu instid0(VALU_DEP_1) | instskip(NEXT) | instid1(VALU_DEP_1)
	v_fmac_f32_e32 v5, v6, v5
	v_mul_f32_e32 v6, v7, v5
	s_delay_alu instid0(VALU_DEP_1) | instskip(NEXT) | instid1(VALU_DEP_1)
	v_fma_f32 v9, -v4, v6, v7
	v_fmac_f32_e32 v6, v9, v5
	s_delay_alu instid0(VALU_DEP_1) | instskip(SKIP_2) | instid1(VALU_DEP_2)
	v_fma_f32 v4, -v4, v6, v7
	v_max_num_f32_e32 v7, v0, v0
	s_wait_alu 0xfffd
	v_div_fmas_f32 v4, v4, v5, v6
	s_wait_alu 0xfffe
	s_delay_alu instid0(VALU_DEP_2) | instskip(SKIP_1) | instid1(VALU_DEP_2)
	v_minmax_num_f32 v5, v7, 0x40e00000, s3
	s_mov_b32 s3, 0
	v_div_fixup_f32 v2, v4, v3, v2
	s_delay_alu instid0(VALU_DEP_2) | instskip(NEXT) | instid1(VALU_DEP_1)
	v_add_f32_e32 v3, 1.0, v5
	v_mul_f32_e32 v2, v3, v2
	s_branch .LBB27_46
.LBB27_42:
                                        ; implicit-def: $sgpr28
	s_clause 0x1
	s_load_b32 s29, s[0:1], 0x50
	s_load_b32 s30, s[0:1], 0x78
	s_branch .LBB27_2
.LBB27_43:
	s_mov_b32 s3, 0
                                        ; implicit-def: $vgpr2
	s_cbranch_execnz .LBB27_50
	s_branch .LBB27_51
.LBB27_44:
	s_mov_b32 s4, -1
	s_mov_b32 s3, 0
                                        ; implicit-def: $vgpr2
	s_branch .LBB27_47
.LBB27_45:
	s_mov_b32 s3, -1
                                        ; implicit-def: $vgpr2
.LBB27_46:
	s_mov_b32 s4, 0
.LBB27_47:
	s_wait_alu 0xfffe
	s_and_b32 vcc_lo, exec_lo, s4
	s_wait_alu 0xfffe
	s_cbranch_vccz .LBB27_49
; %bb.48:
	v_mul_f32_e32 v2, 0xbfb8aa3b, v1
	v_cmp_nlt_f32_e32 vcc_lo, 0x42ce8ed0, v1
	s_delay_alu instid0(VALU_DEP_2) | instskip(SKIP_1) | instid1(VALU_DEP_2)
	v_rndne_f32_e32 v3, v2
	v_fma_f32 v4, 0xbfb8aa3b, v1, -v2
	v_sub_f32_e32 v2, v2, v3
	s_delay_alu instid0(VALU_DEP_2) | instskip(SKIP_1) | instid1(VALU_DEP_2)
	v_fmamk_f32 v4, v1, 0xb2a5705f, v4
	v_cvt_i32_f32_e32 v3, v3
	v_add_f32_e32 v2, v2, v4
	s_delay_alu instid0(VALU_DEP_1) | instskip(NEXT) | instid1(TRANS32_DEP_1)
	v_exp_f32_e32 v2, v2
	v_ldexp_f32 v2, v2, v3
	s_wait_alu 0xfffd
	s_delay_alu instid0(VALU_DEP_1) | instskip(SKIP_2) | instid1(VALU_DEP_2)
	v_cndmask_b32_e32 v2, 0, v2, vcc_lo
	v_cmp_ngt_f32_e32 vcc_lo, 0xc2b17218, v1
	s_wait_alu 0xfffd
	v_cndmask_b32_e32 v2, 0x7f800000, v2, vcc_lo
	s_delay_alu instid0(VALU_DEP_1) | instskip(NEXT) | instid1(VALU_DEP_1)
	v_add_f32_e32 v2, 1.0, v2
	v_div_scale_f32 v3, null, v2, v2, v1
	s_delay_alu instid0(VALU_DEP_1) | instskip(NEXT) | instid1(TRANS32_DEP_1)
	v_rcp_f32_e32 v4, v3
	v_fma_f32 v5, -v3, v4, 1.0
	s_delay_alu instid0(VALU_DEP_1) | instskip(SKIP_1) | instid1(VALU_DEP_1)
	v_fmac_f32_e32 v4, v5, v4
	v_div_scale_f32 v5, vcc_lo, v1, v2, v1
	v_mul_f32_e32 v6, v5, v4
	s_delay_alu instid0(VALU_DEP_1) | instskip(NEXT) | instid1(VALU_DEP_1)
	v_fma_f32 v7, -v3, v6, v5
	v_fmac_f32_e32 v6, v7, v4
	s_delay_alu instid0(VALU_DEP_1) | instskip(SKIP_1) | instid1(VALU_DEP_1)
	v_fma_f32 v3, -v3, v6, v5
	s_wait_alu 0xfffd
	v_div_fmas_f32 v3, v3, v4, v6
	s_delay_alu instid0(VALU_DEP_1) | instskip(NEXT) | instid1(VALU_DEP_1)
	v_div_fixup_f32 v2, v3, v2, v1
	v_mul_f32_e32 v2, v0, v2
.LBB27_49:
	s_branch .LBB27_51
.LBB27_50:
	s_cmp_lg_u32 s5, 1
	s_mov_b32 s2, -1
	s_cselect_b32 s3, -1, 0
.LBB27_51:
	s_wait_alu 0xfffe
	s_and_not1_b32 vcc_lo, exec_lo, s3
	s_wait_alu 0xfffe
	s_cbranch_vccz .LBB27_53
; %bb.52:
	s_and_not1_b32 vcc_lo, exec_lo, s2
	s_wait_alu 0xfffe
	s_cbranch_vccz .LBB27_54
	s_branch .LBB27_59
.LBB27_53:
	v_mul_f32_e32 v2, v1, v0
	s_cbranch_execnz .LBB27_59
.LBB27_54:
	v_mul_f32_e32 v2, 0x3d372713, v1
	v_mul_f32_e32 v3, 0x3f4c422a, v1
	s_delay_alu instid0(VALU_DEP_2) | instskip(NEXT) | instid1(VALU_DEP_1)
	v_fma_f32 v2, v1, v2, 1.0
	v_mul_f32_e32 v2, v3, v2
                                        ; implicit-def: $vgpr3
	s_delay_alu instid0(VALU_DEP_1)
	v_cmp_ngt_f32_e64 s2, 0x3f200000, |v2|
	s_and_saveexec_b32 s3, s2
	s_wait_alu 0xfffe
	s_xor_b32 s2, exec_lo, s3
	s_cbranch_execz .LBB27_56
; %bb.55:
	v_add_f32_e64 v3, |v2|, |v2|
	s_delay_alu instid0(VALU_DEP_1) | instskip(SKIP_1) | instid1(VALU_DEP_2)
	v_mul_f32_e32 v4, 0x3fb8aa3b, v3
	v_cmp_ngt_f32_e32 vcc_lo, 0xc2ce8ed0, v3
	v_rndne_f32_e32 v5, v4
	v_fma_f32 v6, 0x3fb8aa3b, v3, -v4
	s_delay_alu instid0(VALU_DEP_2) | instskip(NEXT) | instid1(VALU_DEP_2)
	v_sub_f32_e32 v4, v4, v5
	v_fmamk_f32 v6, v3, 0x32a5705f, v6
	v_cvt_i32_f32_e32 v5, v5
	s_delay_alu instid0(VALU_DEP_2) | instskip(NEXT) | instid1(VALU_DEP_1)
	v_add_f32_e32 v4, v4, v6
	v_exp_f32_e32 v4, v4
	s_delay_alu instid0(TRANS32_DEP_1) | instskip(SKIP_1) | instid1(VALU_DEP_1)
	v_ldexp_f32 v4, v4, v5
	s_wait_alu 0xfffd
	v_cndmask_b32_e32 v4, 0, v4, vcc_lo
	v_cmp_nlt_f32_e32 vcc_lo, 0x42b17218, v3
	s_wait_alu 0xfffd
	s_delay_alu instid0(VALU_DEP_2) | instskip(NEXT) | instid1(VALU_DEP_1)
	v_cndmask_b32_e32 v3, 0x7f800000, v4, vcc_lo
	v_add_f32_e32 v3, 1.0, v3
	s_delay_alu instid0(VALU_DEP_1) | instskip(NEXT) | instid1(TRANS32_DEP_1)
	v_rcp_f32_e32 v3, v3
	v_fma_f32 v3, v3, -2.0, 1.0
.LBB27_56:
	s_wait_alu 0xfffe
	s_and_not1_saveexec_b32 s2, s2
	s_cbranch_execz .LBB27_58
; %bb.57:
	v_mul_f32_e32 v3, v2, v2
	s_mov_b32 s3, 0xbbbac73d
	s_wait_alu 0xfffe
	s_delay_alu instid0(VALU_DEP_1) | instskip(NEXT) | instid1(VALU_DEP_1)
	v_fmaak_f32 v4, s3, v3, 0x3ca908c9
	v_fmaak_f32 v4, v3, v4, 0xbd5c1c4e
	s_delay_alu instid0(VALU_DEP_1) | instskip(NEXT) | instid1(VALU_DEP_1)
	v_fmaak_f32 v4, v3, v4, 0x3e088382
	v_fmaak_f32 v4, v3, v4, 0xbeaaaa99
	s_delay_alu instid0(VALU_DEP_1) | instskip(NEXT) | instid1(VALU_DEP_1)
	v_mul_f32_e64 v4, |v2|, v4
	v_fma_f32 v3, v3, v4, |v2|
.LBB27_58:
	s_wait_alu 0xfffe
	s_or_b32 exec_lo, exec_lo, s2
	s_delay_alu instid0(VALU_DEP_1) | instskip(NEXT) | instid1(VALU_DEP_1)
	v_bfi_b32 v2, 0x7fffffff, v3, v2
	v_dual_mul_f32 v1, 0.5, v1 :: v_dual_add_f32 v2, 1.0, v2
	s_delay_alu instid0(VALU_DEP_1) | instskip(NEXT) | instid1(VALU_DEP_1)
	v_mul_f32_e32 v1, v1, v2
	v_mul_f32_e32 v2, v0, v1
.LBB27_59:
	s_delay_alu instid0(VALU_DEP_1)
	v_mov_b32_e32 v0, v2
.LBB27_60:
	s_load_b64 s[0:1], s[0:1], 0x38
	s_mul_i32 s2, s6, s27
	s_wait_kmcnt 0x0
	s_mul_i32 s3, s26, s21
	s_wait_alu 0xfffe
	s_add_co_i32 s2, s2, ttmp9
	s_wait_alu 0xfffe
	s_add_co_i32 s2, s2, s3
	s_mov_b32 s3, 0
	s_wait_alu 0xfffe
	s_lshl_b64 s[2:3], s[2:3], 2
	s_wait_alu 0xfffe
	s_add_nc_u64 s[0:1], s[0:1], s[2:3]
	global_store_b32 v8, v0, s[0:1]
.LBB27_61:
	s_endpgm
	.section	.rodata,"a",@progbits
	.p2align	6, 0x0
	.amdhsa_kernel _ZL13mul_mat_vec_qIL9ggml_type3ELi1ELb1ELb0EEvPKvS2_PKi31ggml_cuda_mm_fusion_args_devicePfj15HIP_vector_typeIjLj3EEjjjS8_jjjS8_jjjj
		.amdhsa_group_segment_fixed_size 1792
		.amdhsa_private_segment_fixed_size 0
		.amdhsa_kernarg_size 144
		.amdhsa_user_sgpr_count 2
		.amdhsa_user_sgpr_dispatch_ptr 0
		.amdhsa_user_sgpr_queue_ptr 0
		.amdhsa_user_sgpr_kernarg_segment_ptr 1
		.amdhsa_user_sgpr_dispatch_id 0
		.amdhsa_user_sgpr_private_segment_size 0
		.amdhsa_wavefront_size32 1
		.amdhsa_uses_dynamic_stack 0
		.amdhsa_enable_private_segment 0
		.amdhsa_system_sgpr_workgroup_id_x 1
		.amdhsa_system_sgpr_workgroup_id_y 1
		.amdhsa_system_sgpr_workgroup_id_z 1
		.amdhsa_system_sgpr_workgroup_info 0
		.amdhsa_system_vgpr_workitem_id 1
		.amdhsa_next_free_vgpr 26
		.amdhsa_next_free_sgpr 38
		.amdhsa_reserve_vcc 1
		.amdhsa_float_round_mode_32 0
		.amdhsa_float_round_mode_16_64 0
		.amdhsa_float_denorm_mode_32 3
		.amdhsa_float_denorm_mode_16_64 3
		.amdhsa_fp16_overflow 0
		.amdhsa_workgroup_processor_mode 1
		.amdhsa_memory_ordered 1
		.amdhsa_forward_progress 1
		.amdhsa_inst_pref_size 24
		.amdhsa_round_robin_scheduling 0
		.amdhsa_exception_fp_ieee_invalid_op 0
		.amdhsa_exception_fp_denorm_src 0
		.amdhsa_exception_fp_ieee_div_zero 0
		.amdhsa_exception_fp_ieee_overflow 0
		.amdhsa_exception_fp_ieee_underflow 0
		.amdhsa_exception_fp_ieee_inexact 0
		.amdhsa_exception_int_div_zero 0
	.end_amdhsa_kernel
	.section	.text._ZL13mul_mat_vec_qIL9ggml_type3ELi1ELb1ELb0EEvPKvS2_PKi31ggml_cuda_mm_fusion_args_devicePfj15HIP_vector_typeIjLj3EEjjjS8_jjjS8_jjjj,"axG",@progbits,_ZL13mul_mat_vec_qIL9ggml_type3ELi1ELb1ELb0EEvPKvS2_PKi31ggml_cuda_mm_fusion_args_devicePfj15HIP_vector_typeIjLj3EEjjjS8_jjjS8_jjjj,comdat
.Lfunc_end27:
	.size	_ZL13mul_mat_vec_qIL9ggml_type3ELi1ELb1ELb0EEvPKvS2_PKi31ggml_cuda_mm_fusion_args_devicePfj15HIP_vector_typeIjLj3EEjjjS8_jjjS8_jjjj, .Lfunc_end27-_ZL13mul_mat_vec_qIL9ggml_type3ELi1ELb1ELb0EEvPKvS2_PKi31ggml_cuda_mm_fusion_args_devicePfj15HIP_vector_typeIjLj3EEjjjS8_jjjS8_jjjj
                                        ; -- End function
	.set _ZL13mul_mat_vec_qIL9ggml_type3ELi1ELb1ELb0EEvPKvS2_PKi31ggml_cuda_mm_fusion_args_devicePfj15HIP_vector_typeIjLj3EEjjjS8_jjjS8_jjjj.num_vgpr, 26
	.set _ZL13mul_mat_vec_qIL9ggml_type3ELi1ELb1ELb0EEvPKvS2_PKi31ggml_cuda_mm_fusion_args_devicePfj15HIP_vector_typeIjLj3EEjjjS8_jjjS8_jjjj.num_agpr, 0
	.set _ZL13mul_mat_vec_qIL9ggml_type3ELi1ELb1ELb0EEvPKvS2_PKi31ggml_cuda_mm_fusion_args_devicePfj15HIP_vector_typeIjLj3EEjjjS8_jjjS8_jjjj.numbered_sgpr, 38
	.set _ZL13mul_mat_vec_qIL9ggml_type3ELi1ELb1ELb0EEvPKvS2_PKi31ggml_cuda_mm_fusion_args_devicePfj15HIP_vector_typeIjLj3EEjjjS8_jjjS8_jjjj.num_named_barrier, 0
	.set _ZL13mul_mat_vec_qIL9ggml_type3ELi1ELb1ELb0EEvPKvS2_PKi31ggml_cuda_mm_fusion_args_devicePfj15HIP_vector_typeIjLj3EEjjjS8_jjjS8_jjjj.private_seg_size, 0
	.set _ZL13mul_mat_vec_qIL9ggml_type3ELi1ELb1ELb0EEvPKvS2_PKi31ggml_cuda_mm_fusion_args_devicePfj15HIP_vector_typeIjLj3EEjjjS8_jjjS8_jjjj.uses_vcc, 1
	.set _ZL13mul_mat_vec_qIL9ggml_type3ELi1ELb1ELb0EEvPKvS2_PKi31ggml_cuda_mm_fusion_args_devicePfj15HIP_vector_typeIjLj3EEjjjS8_jjjS8_jjjj.uses_flat_scratch, 0
	.set _ZL13mul_mat_vec_qIL9ggml_type3ELi1ELb1ELb0EEvPKvS2_PKi31ggml_cuda_mm_fusion_args_devicePfj15HIP_vector_typeIjLj3EEjjjS8_jjjS8_jjjj.has_dyn_sized_stack, 0
	.set _ZL13mul_mat_vec_qIL9ggml_type3ELi1ELb1ELb0EEvPKvS2_PKi31ggml_cuda_mm_fusion_args_devicePfj15HIP_vector_typeIjLj3EEjjjS8_jjjS8_jjjj.has_recursion, 0
	.set _ZL13mul_mat_vec_qIL9ggml_type3ELi1ELb1ELb0EEvPKvS2_PKi31ggml_cuda_mm_fusion_args_devicePfj15HIP_vector_typeIjLj3EEjjjS8_jjjS8_jjjj.has_indirect_call, 0
	.section	.AMDGPU.csdata,"",@progbits
; Kernel info:
; codeLenInByte = 3008
; TotalNumSgprs: 40
; NumVgprs: 26
; ScratchSize: 0
; MemoryBound: 0
; FloatMode: 240
; IeeeMode: 1
; LDSByteSize: 1792 bytes/workgroup (compile time only)
; SGPRBlocks: 0
; VGPRBlocks: 3
; NumSGPRsForWavesPerEU: 40
; NumVGPRsForWavesPerEU: 26
; Occupancy: 16
; WaveLimiterHint : 0
; COMPUTE_PGM_RSRC2:SCRATCH_EN: 0
; COMPUTE_PGM_RSRC2:USER_SGPR: 2
; COMPUTE_PGM_RSRC2:TRAP_HANDLER: 0
; COMPUTE_PGM_RSRC2:TGID_X_EN: 1
; COMPUTE_PGM_RSRC2:TGID_Y_EN: 1
; COMPUTE_PGM_RSRC2:TGID_Z_EN: 1
; COMPUTE_PGM_RSRC2:TIDIG_COMP_CNT: 1
	.section	.text._ZL13mul_mat_vec_qIL9ggml_type3ELi1ELb0ELb0EEvPKvS2_PKi31ggml_cuda_mm_fusion_args_devicePfj15HIP_vector_typeIjLj3EEjjjS8_jjjS8_jjjj,"axG",@progbits,_ZL13mul_mat_vec_qIL9ggml_type3ELi1ELb0ELb0EEvPKvS2_PKi31ggml_cuda_mm_fusion_args_devicePfj15HIP_vector_typeIjLj3EEjjjS8_jjjS8_jjjj,comdat
	.globl	_ZL13mul_mat_vec_qIL9ggml_type3ELi1ELb0ELb0EEvPKvS2_PKi31ggml_cuda_mm_fusion_args_devicePfj15HIP_vector_typeIjLj3EEjjjS8_jjjS8_jjjj ; -- Begin function _ZL13mul_mat_vec_qIL9ggml_type3ELi1ELb0ELb0EEvPKvS2_PKi31ggml_cuda_mm_fusion_args_devicePfj15HIP_vector_typeIjLj3EEjjjS8_jjjS8_jjjj
	.p2align	8
	.type	_ZL13mul_mat_vec_qIL9ggml_type3ELi1ELb0ELb0EEvPKvS2_PKi31ggml_cuda_mm_fusion_args_devicePfj15HIP_vector_typeIjLj3EEjjjS8_jjjS8_jjjj,@function
_ZL13mul_mat_vec_qIL9ggml_type3ELi1ELb0ELb0EEvPKvS2_PKi31ggml_cuda_mm_fusion_args_devicePfj15HIP_vector_typeIjLj3EEjjjS8_jjjS8_jjjj: ; @_ZL13mul_mat_vec_qIL9ggml_type3ELi1ELb0ELb0EEvPKvS2_PKi31ggml_cuda_mm_fusion_args_devicePfj15HIP_vector_typeIjLj3EEjjjS8_jjjS8_jjjj
; %bb.0:
	s_clause 0x1
	s_load_b64 s[2:3], s[0:1], 0x10
	s_load_b128 s[8:11], s[0:1], 0x40
	s_and_b32 s15, ttmp7, 0xffff
	s_wait_kmcnt 0x0
	s_cmp_lg_u64 s[2:3], 0
	s_cselect_b32 s12, -1, 0
	s_cmp_eq_u64 s[2:3], 0
	s_cbranch_scc1 .LBB28_15
; %bb.1:
	s_lshl_b32 s4, s15, 2
	s_load_b32 s19, s[2:3], s4 offset:0x0
	s_clause 0x1
	s_load_b128 s[4:7], s[0:1], 0x68
	s_load_b32 s20, s[0:1], 0x50
	s_cbranch_execnz .LBB28_3
.LBB28_2:
	s_load_b64 s[2:3], s[0:1], 0x5c
	s_wait_kmcnt 0x0
	s_mul_hi_u32 s2, s2, s15
	s_delay_alu instid0(SALU_CYCLE_1) | instskip(NEXT) | instid1(SALU_CYCLE_1)
	s_add_co_i32 s2, s15, s2
	s_lshr_b32 s19, s2, s3
.LBB28_3:
	s_load_b32 s21, s[0:1], 0x78
	s_and_not1_b32 vcc_lo, exec_lo, s12
	s_mov_b32 s22, s15
	s_cbranch_vccnz .LBB28_5
; %bb.4:
	s_mul_hi_u32 s2, s9, s15
	s_delay_alu instid0(SALU_CYCLE_1) | instskip(NEXT) | instid1(SALU_CYCLE_1)
	s_add_co_i32 s2, s15, s2
	s_lshr_b32 s2, s2, s10
	s_delay_alu instid0(SALU_CYCLE_1) | instskip(NEXT) | instid1(SALU_CYCLE_1)
	s_mul_i32 s2, s2, s11
	s_sub_co_i32 s22, s15, s2
.LBB28_5:
	v_bfe_u32 v3, v0, 10, 10
	v_and_b32_e32 v2, 0x3ff, v0
	s_load_b96 s[12:14], s[0:1], 0x80
	s_lshr_b32 s18, s8, 5
	s_lshr_b32 s16, ttmp7, 16
	v_lshlrev_b32_e32 v0, 5, v3
	s_mov_b32 s17, exec_lo
	v_mov_b32_e32 v4, 0
	s_delay_alu instid0(VALU_DEP_2) | instskip(NEXT) | instid1(VALU_DEP_1)
	v_add_nc_u16 v1, v0, v2
	v_lshrrev_b16 v1, 1, v1
	s_delay_alu instid0(VALU_DEP_1) | instskip(NEXT) | instid1(VALU_DEP_1)
	v_and_b32_e32 v5, 0xffff, v1
	v_cmpx_gt_u32_e64 s18, v5
	s_cbranch_execz .LBB28_9
; %bb.6:
	s_load_b128 s[8:11], s[0:1], 0x0
	v_add_nc_u32_e32 v0, v0, v2
	s_wait_kmcnt 0x0
	s_mul_i32 s22, s22, s5
	s_mul_hi_u32 s5, s7, s16
	s_mul_i32 s2, s13, s16
	s_mov_b32 s3, 0
	s_mul_i32 s7, s19, s4
	s_add_co_i32 s4, s16, s5
	v_dual_mov_b32 v4, 0 :: v_dual_lshlrev_b32 v1, 1, v2
	s_mov_b32 s23, s3
	s_lshr_b32 s13, s4, s21
	s_mul_u64 s[4:5], s[2:3], 36
	v_lshrrev_b32_e32 v0, 1, v0
	s_mul_i32 s2, s13, s12
	s_mul_u64 s[12:13], s[22:23], 36
	v_and_b32_e32 v7, 2, v1
	v_and_b32_e32 v6, 1, v2
	s_mul_i32 s20, s20, ttmp9
	s_delay_alu instid0(SALU_CYCLE_1) | instskip(SKIP_1) | instid1(VALU_DEP_1)
	s_add_co_i32 s2, s2, s20
	s_add_nc_u64 s[4:5], s[10:11], s[4:5]
	v_lshlrev_b32_e32 v6, 3, v6
	s_add_nc_u64 s[4:5], s[4:5], s[12:13]
	v_lshlrev_b32_e32 v7, 2, v7
	v_mad_co_u64_u32 v[0:1], null, v0, 36, s[4:5]
	s_add_co_i32 s4, s7, s2
.LBB28_7:                               ; =>This Inner Loop Header: Depth=1
	s_wait_alu 0xfffe
	v_add_nc_u32_e32 v8, s4, v5
	v_add_co_u32 v10, vcc_lo, v0, v6
	s_wait_alu 0xfffd
	v_add_co_ci_u32_e64 v11, null, 0, v1, vcc_lo
	s_delay_alu instid0(VALU_DEP_3) | instskip(SKIP_1) | instid1(VALU_DEP_1)
	v_mad_co_i64_i32 v[8:9], null, v8, 20, s[8:9]
	v_add_nc_u32_e32 v5, 0x80, v5
	v_cmp_le_u32_e32 vcc_lo, s18, v5
	s_delay_alu instid0(VALU_DEP_3) | instskip(SKIP_1) | instid1(VALU_DEP_4)
	v_add_co_u32 v12, s2, v8, v7
	s_wait_alu 0xf1ff
	v_add_co_ci_u32_e64 v13, null, 0, v9, s2
	s_or_b32 s3, vcc_lo, s3
	global_load_b64 v[12:13], v[12:13], off offset:4
	s_clause 0x2
	global_load_b64 v[14:15], v[10:11], off offset:4
	global_load_b64 v[10:11], v[10:11], off offset:20
	global_load_b32 v16, v[0:1], off
	global_load_b32 v8, v[8:9], off
	v_add_co_u32 v0, s2, 0x1200, v0
	s_wait_alu 0xf1ff
	v_add_co_ci_u32_e64 v1, null, 0, v1, s2
	s_wait_loadcnt 0x4
	v_lshrrev_b32_e32 v9, 4, v12
	v_and_b32_e32 v12, 0xf0f0f0f, v12
	s_wait_loadcnt 0x0
	v_pk_mul_f16 v8, v8, v16
	s_delay_alu instid0(VALU_DEP_3) | instskip(NEXT) | instid1(VALU_DEP_3)
	v_and_b32_e32 v9, 0xf0f0f0f, v9
	v_dot4_i32_iu8 v12, v12, v14, 0 neg_lo:[1,1,0]
	s_delay_alu instid0(VALU_DEP_1) | instskip(NEXT) | instid1(VALU_DEP_4)
	v_dot4_i32_iu8 v9, v9, v10, v12 neg_lo:[1,1,0]
	v_lshrrev_b32_e32 v12, 16, v8
	s_delay_alu instid0(VALU_DEP_1) | instskip(SKIP_2) | instid1(VALU_DEP_2)
	v_cvt_f32_f16_e32 v12, v12
	v_and_b32_e32 v17, 0xf0f0f0f, v13
	v_lshrrev_b32_e32 v13, 4, v13
	v_dot4_i32_iu8 v9, v17, v15, v9 neg_lo:[1,1,0]
	s_delay_alu instid0(VALU_DEP_2) | instskip(NEXT) | instid1(VALU_DEP_1)
	v_and_b32_e32 v10, 0xf0f0f0f, v13
	v_dot4_i32_iu8 v9, v10, v11, v9 neg_lo:[1,1,0]
	v_mul_f32_e32 v10, 0.5, v12
	s_delay_alu instid0(VALU_DEP_2) | instskip(NEXT) | instid1(VALU_DEP_1)
	v_cvt_f32_i32_e32 v9, v9
	v_fma_mix_f32 v8, v9, v8, v10 op_sel_hi:[0,1,0]
	s_delay_alu instid0(VALU_DEP_1)
	v_add_f32_e32 v4, v4, v8
	s_wait_alu 0xfffe
	s_and_not1_b32 exec_lo, exec_lo, s3
	s_cbranch_execnz .LBB28_7
; %bb.8:
	s_or_b32 exec_lo, exec_lo, s3
.LBB28_9:
	s_delay_alu instid0(SALU_CYCLE_1)
	s_or_b32 exec_lo, exec_lo, s17
	v_lshlrev_b32_e32 v0, 2, v2
	s_mov_b32 s3, exec_lo
	v_cmp_eq_u32_e32 vcc_lo, 0, v3
	v_cmpx_ne_u32_e32 0, v3
; %bb.10:
	v_lshlrev_b32_e32 v1, 7, v3
	s_delay_alu instid0(VALU_DEP_1)
	v_add3_u32 v1, v1, v0, 0xffffff80
	ds_store_b32 v1, v4
; %bb.11:
	s_wait_alu 0xfffe
	s_or_b32 exec_lo, exec_lo, s3
	s_wait_dscnt 0x0
	s_barrier_signal -1
	s_barrier_wait -1
	global_inv scope:SCOPE_SE
	s_and_saveexec_b32 s2, vcc_lo
	s_cbranch_execz .LBB28_14
; %bb.12:
	ds_load_2addr_b32 v[5:6], v0 offset1:32
	ds_load_2addr_b32 v[7:8], v0 offset0:64 offset1:96
	ds_load_2addr_b32 v[9:10], v0 offset0:128 offset1:160
	v_mbcnt_lo_u32_b32 v3, -1, 0
	ds_load_b32 v0, v0 offset:768
	s_mov_b32 s3, 0
	s_wait_dscnt 0x3
	v_add_f32_e32 v1, v4, v5
	v_xor_b32_e32 v4, 16, v3
	s_delay_alu instid0(VALU_DEP_1) | instskip(SKIP_1) | instid1(VALU_DEP_3)
	v_cmp_gt_i32_e32 vcc_lo, 32, v4
	s_wait_alu 0xfffd
	v_dual_cndmask_b32 v4, v3, v4 :: v_dual_add_f32 v1, v1, v6
	s_wait_dscnt 0x2
	s_delay_alu instid0(VALU_DEP_1) | instskip(NEXT) | instid1(VALU_DEP_1)
	v_add_f32_e32 v1, v1, v7
	v_add_f32_e32 v1, v1, v8
	s_wait_dscnt 0x1
	s_delay_alu instid0(VALU_DEP_1) | instskip(NEXT) | instid1(VALU_DEP_1)
	v_add_f32_e32 v1, v1, v9
	v_add_f32_e32 v1, v1, v10
	s_wait_dscnt 0x0
	s_delay_alu instid0(VALU_DEP_1)
	v_add_f32_e32 v0, v1, v0
	v_lshlrev_b32_e32 v1, 2, v4
	v_xor_b32_e32 v4, 8, v3
	ds_bpermute_b32 v1, v1, v0
	v_cmp_gt_i32_e32 vcc_lo, 32, v4
	s_wait_alu 0xfffd
	v_cndmask_b32_e32 v4, v3, v4, vcc_lo
	s_delay_alu instid0(VALU_DEP_1) | instskip(SKIP_4) | instid1(VALU_DEP_1)
	v_lshlrev_b32_e32 v4, 2, v4
	s_wait_dscnt 0x0
	v_add_f32_e32 v0, v0, v1
	ds_bpermute_b32 v1, v4, v0
	v_xor_b32_e32 v4, 4, v3
	v_cmp_gt_i32_e32 vcc_lo, 32, v4
	s_wait_alu 0xfffd
	v_cndmask_b32_e32 v4, v3, v4, vcc_lo
	s_delay_alu instid0(VALU_DEP_1) | instskip(SKIP_4) | instid1(VALU_DEP_1)
	v_lshlrev_b32_e32 v4, 2, v4
	s_wait_dscnt 0x0
	v_add_f32_e32 v0, v0, v1
	ds_bpermute_b32 v1, v4, v0
	v_xor_b32_e32 v4, 2, v3
	;; [unrolled: 9-line block ×3, first 2 shown]
	v_cmp_gt_i32_e32 vcc_lo, 32, v4
	s_wait_alu 0xfffd
	v_cndmask_b32_e32 v3, v3, v4, vcc_lo
	v_cmp_eq_u32_e32 vcc_lo, 0, v2
	s_wait_dscnt 0x0
	s_delay_alu instid0(VALU_DEP_2)
	v_dual_add_f32 v0, v0, v1 :: v_dual_lshlrev_b32 v3, 2, v3
	ds_bpermute_b32 v1, v3, v0
	s_and_b32 exec_lo, exec_lo, vcc_lo
	s_cbranch_execz .LBB28_14
; %bb.13:
	s_load_b64 s[0:1], s[0:1], 0x38
	s_wait_kmcnt 0x0
	s_mul_i32 s2, s6, s15
	s_mul_i32 s4, s14, s16
	s_wait_alu 0xfffe
	s_add_co_i32 s2, s2, ttmp9
	v_mov_b32_e32 v2, 0
	s_wait_alu 0xfffe
	s_add_co_i32 s2, s2, s4
	s_wait_dscnt 0x0
	v_add_f32_e32 v0, v0, v1
	s_wait_alu 0xfffe
	s_lshl_b64 s[2:3], s[2:3], 2
	s_wait_alu 0xfffe
	s_add_nc_u64 s[0:1], s[0:1], s[2:3]
	global_store_b32 v2, v0, s[0:1]
.LBB28_14:
	s_endpgm
.LBB28_15:
                                        ; implicit-def: $sgpr19
	s_clause 0x1
	s_load_b128 s[4:7], s[0:1], 0x68
	s_load_b32 s20, s[0:1], 0x50
	s_branch .LBB28_2
	.section	.rodata,"a",@progbits
	.p2align	6, 0x0
	.amdhsa_kernel _ZL13mul_mat_vec_qIL9ggml_type3ELi1ELb0ELb0EEvPKvS2_PKi31ggml_cuda_mm_fusion_args_devicePfj15HIP_vector_typeIjLj3EEjjjS8_jjjS8_jjjj
		.amdhsa_group_segment_fixed_size 896
		.amdhsa_private_segment_fixed_size 0
		.amdhsa_kernarg_size 144
		.amdhsa_user_sgpr_count 2
		.amdhsa_user_sgpr_dispatch_ptr 0
		.amdhsa_user_sgpr_queue_ptr 0
		.amdhsa_user_sgpr_kernarg_segment_ptr 1
		.amdhsa_user_sgpr_dispatch_id 0
		.amdhsa_user_sgpr_private_segment_size 0
		.amdhsa_wavefront_size32 1
		.amdhsa_uses_dynamic_stack 0
		.amdhsa_enable_private_segment 0
		.amdhsa_system_sgpr_workgroup_id_x 1
		.amdhsa_system_sgpr_workgroup_id_y 1
		.amdhsa_system_sgpr_workgroup_id_z 1
		.amdhsa_system_sgpr_workgroup_info 0
		.amdhsa_system_vgpr_workitem_id 1
		.amdhsa_next_free_vgpr 18
		.amdhsa_next_free_sgpr 24
		.amdhsa_reserve_vcc 1
		.amdhsa_float_round_mode_32 0
		.amdhsa_float_round_mode_16_64 0
		.amdhsa_float_denorm_mode_32 3
		.amdhsa_float_denorm_mode_16_64 3
		.amdhsa_fp16_overflow 0
		.amdhsa_workgroup_processor_mode 1
		.amdhsa_memory_ordered 1
		.amdhsa_forward_progress 1
		.amdhsa_inst_pref_size 10
		.amdhsa_round_robin_scheduling 0
		.amdhsa_exception_fp_ieee_invalid_op 0
		.amdhsa_exception_fp_denorm_src 0
		.amdhsa_exception_fp_ieee_div_zero 0
		.amdhsa_exception_fp_ieee_overflow 0
		.amdhsa_exception_fp_ieee_underflow 0
		.amdhsa_exception_fp_ieee_inexact 0
		.amdhsa_exception_int_div_zero 0
	.end_amdhsa_kernel
	.section	.text._ZL13mul_mat_vec_qIL9ggml_type3ELi1ELb0ELb0EEvPKvS2_PKi31ggml_cuda_mm_fusion_args_devicePfj15HIP_vector_typeIjLj3EEjjjS8_jjjS8_jjjj,"axG",@progbits,_ZL13mul_mat_vec_qIL9ggml_type3ELi1ELb0ELb0EEvPKvS2_PKi31ggml_cuda_mm_fusion_args_devicePfj15HIP_vector_typeIjLj3EEjjjS8_jjjS8_jjjj,comdat
.Lfunc_end28:
	.size	_ZL13mul_mat_vec_qIL9ggml_type3ELi1ELb0ELb0EEvPKvS2_PKi31ggml_cuda_mm_fusion_args_devicePfj15HIP_vector_typeIjLj3EEjjjS8_jjjS8_jjjj, .Lfunc_end28-_ZL13mul_mat_vec_qIL9ggml_type3ELi1ELb0ELb0EEvPKvS2_PKi31ggml_cuda_mm_fusion_args_devicePfj15HIP_vector_typeIjLj3EEjjjS8_jjjS8_jjjj
                                        ; -- End function
	.set _ZL13mul_mat_vec_qIL9ggml_type3ELi1ELb0ELb0EEvPKvS2_PKi31ggml_cuda_mm_fusion_args_devicePfj15HIP_vector_typeIjLj3EEjjjS8_jjjS8_jjjj.num_vgpr, 18
	.set _ZL13mul_mat_vec_qIL9ggml_type3ELi1ELb0ELb0EEvPKvS2_PKi31ggml_cuda_mm_fusion_args_devicePfj15HIP_vector_typeIjLj3EEjjjS8_jjjS8_jjjj.num_agpr, 0
	.set _ZL13mul_mat_vec_qIL9ggml_type3ELi1ELb0ELb0EEvPKvS2_PKi31ggml_cuda_mm_fusion_args_devicePfj15HIP_vector_typeIjLj3EEjjjS8_jjjS8_jjjj.numbered_sgpr, 24
	.set _ZL13mul_mat_vec_qIL9ggml_type3ELi1ELb0ELb0EEvPKvS2_PKi31ggml_cuda_mm_fusion_args_devicePfj15HIP_vector_typeIjLj3EEjjjS8_jjjS8_jjjj.num_named_barrier, 0
	.set _ZL13mul_mat_vec_qIL9ggml_type3ELi1ELb0ELb0EEvPKvS2_PKi31ggml_cuda_mm_fusion_args_devicePfj15HIP_vector_typeIjLj3EEjjjS8_jjjS8_jjjj.private_seg_size, 0
	.set _ZL13mul_mat_vec_qIL9ggml_type3ELi1ELb0ELb0EEvPKvS2_PKi31ggml_cuda_mm_fusion_args_devicePfj15HIP_vector_typeIjLj3EEjjjS8_jjjS8_jjjj.uses_vcc, 1
	.set _ZL13mul_mat_vec_qIL9ggml_type3ELi1ELb0ELb0EEvPKvS2_PKi31ggml_cuda_mm_fusion_args_devicePfj15HIP_vector_typeIjLj3EEjjjS8_jjjS8_jjjj.uses_flat_scratch, 0
	.set _ZL13mul_mat_vec_qIL9ggml_type3ELi1ELb0ELb0EEvPKvS2_PKi31ggml_cuda_mm_fusion_args_devicePfj15HIP_vector_typeIjLj3EEjjjS8_jjjS8_jjjj.has_dyn_sized_stack, 0
	.set _ZL13mul_mat_vec_qIL9ggml_type3ELi1ELb0ELb0EEvPKvS2_PKi31ggml_cuda_mm_fusion_args_devicePfj15HIP_vector_typeIjLj3EEjjjS8_jjjS8_jjjj.has_recursion, 0
	.set _ZL13mul_mat_vec_qIL9ggml_type3ELi1ELb0ELb0EEvPKvS2_PKi31ggml_cuda_mm_fusion_args_devicePfj15HIP_vector_typeIjLj3EEjjjS8_jjjS8_jjjj.has_indirect_call, 0
	.section	.AMDGPU.csdata,"",@progbits
; Kernel info:
; codeLenInByte = 1192
; TotalNumSgprs: 26
; NumVgprs: 18
; ScratchSize: 0
; MemoryBound: 0
; FloatMode: 240
; IeeeMode: 1
; LDSByteSize: 896 bytes/workgroup (compile time only)
; SGPRBlocks: 0
; VGPRBlocks: 2
; NumSGPRsForWavesPerEU: 26
; NumVGPRsForWavesPerEU: 18
; Occupancy: 16
; WaveLimiterHint : 0
; COMPUTE_PGM_RSRC2:SCRATCH_EN: 0
; COMPUTE_PGM_RSRC2:USER_SGPR: 2
; COMPUTE_PGM_RSRC2:TRAP_HANDLER: 0
; COMPUTE_PGM_RSRC2:TGID_X_EN: 1
; COMPUTE_PGM_RSRC2:TGID_Y_EN: 1
; COMPUTE_PGM_RSRC2:TGID_Z_EN: 1
; COMPUTE_PGM_RSRC2:TIDIG_COMP_CNT: 1
	.section	.text._ZL13mul_mat_vec_qIL9ggml_type3ELi2ELb0ELb0EEvPKvS2_PKi31ggml_cuda_mm_fusion_args_devicePfj15HIP_vector_typeIjLj3EEjjjS8_jjjS8_jjjj,"axG",@progbits,_ZL13mul_mat_vec_qIL9ggml_type3ELi2ELb0ELb0EEvPKvS2_PKi31ggml_cuda_mm_fusion_args_devicePfj15HIP_vector_typeIjLj3EEjjjS8_jjjS8_jjjj,comdat
	.globl	_ZL13mul_mat_vec_qIL9ggml_type3ELi2ELb0ELb0EEvPKvS2_PKi31ggml_cuda_mm_fusion_args_devicePfj15HIP_vector_typeIjLj3EEjjjS8_jjjS8_jjjj ; -- Begin function _ZL13mul_mat_vec_qIL9ggml_type3ELi2ELb0ELb0EEvPKvS2_PKi31ggml_cuda_mm_fusion_args_devicePfj15HIP_vector_typeIjLj3EEjjjS8_jjjS8_jjjj
	.p2align	8
	.type	_ZL13mul_mat_vec_qIL9ggml_type3ELi2ELb0ELb0EEvPKvS2_PKi31ggml_cuda_mm_fusion_args_devicePfj15HIP_vector_typeIjLj3EEjjjS8_jjjS8_jjjj,@function
_ZL13mul_mat_vec_qIL9ggml_type3ELi2ELb0ELb0EEvPKvS2_PKi31ggml_cuda_mm_fusion_args_devicePfj15HIP_vector_typeIjLj3EEjjjS8_jjjS8_jjjj: ; @_ZL13mul_mat_vec_qIL9ggml_type3ELi2ELb0ELb0EEvPKvS2_PKi31ggml_cuda_mm_fusion_args_devicePfj15HIP_vector_typeIjLj3EEjjjS8_jjjS8_jjjj
; %bb.0:
	v_bfe_u32 v4, v0, 10, 10
	s_clause 0x5
	s_load_b32 s2, s[0:1], 0x40
	s_load_b96 s[16:18], s[0:1], 0x80
	s_load_b128 s[4:7], s[0:1], 0x50
	s_load_b32 s23, s[0:1], 0x60
	s_load_b128 s[8:11], s[0:1], 0x68
	s_load_b32 s24, s[0:1], 0x78
	v_dual_mov_b32 v3, 0 :: v_dual_and_b32 v2, 0x3ff, v0
	v_lshlrev_b32_e32 v0, 5, v4
	s_and_b32 s19, ttmp7, 0xffff
	s_lshr_b32 s20, ttmp7, 16
	s_mov_b32 s22, exec_lo
	v_mov_b32_e32 v6, 0
	v_add_nc_u16 v0, v0, v2
	s_delay_alu instid0(VALU_DEP_1) | instskip(NEXT) | instid1(VALU_DEP_1)
	v_lshrrev_b16 v0, 1, v0
	v_and_b32_e32 v5, 0xffff, v0
	s_wait_kmcnt 0x0
	s_lshr_b32 s21, s2, 5
	s_delay_alu instid0(VALU_DEP_1) | instid1(SALU_CYCLE_1)
	v_cmpx_gt_u32_e64 s21, v5
	s_cbranch_execz .LBB29_4
; %bb.1:
	s_load_b128 s[12:15], s[0:1], 0x0
	s_mul_i32 s2, s17, s20
	s_mov_b32 s3, 0
	s_mul_hi_u32 s7, s7, s19
	s_mul_hi_u32 s11, s11, s20
	s_mul_u64 s[26:27], s[2:3], 36
	s_mul_i32 s2, s9, s19
	s_add_co_i32 s7, s19, s7
	v_lshlrev_b32_e32 v1, 1, v2
	v_dual_mov_b32 v3, 0 :: v_dual_and_b32 v6, 1, v2
	s_add_co_i32 s9, s20, s11
	s_mul_u64 s[28:29], s[2:3], 36
	s_lshr_b32 s2, s7, s23
	v_and_b32_e32 v0, 0xffff, v0
	s_lshr_b32 s7, s9, s24
	s_mul_i32 s2, s2, s8
	v_dual_mov_b32 v6, 0 :: v_dual_lshlrev_b32 v7, 3, v6
	v_and_b32_e32 v8, 2, v1
	s_wait_kmcnt 0x0
	s_add_nc_u64 s[8:9], s[14:15], s[26:27]
	s_mul_i32 s4, s4, ttmp9
	s_add_nc_u64 s[8:9], s[8:9], s[28:29]
	s_mul_i32 s7, s7, s16
	v_mad_co_u64_u32 v[0:1], null, v0, 36, s[8:9]
	v_lshlrev_b32_e32 v8, 2, v8
	s_add_co_i32 s2, s2, s4
	s_delay_alu instid0(SALU_CYCLE_1)
	s_add_co_i32 s4, s7, s2
.LBB29_2:                               ; =>This Inner Loop Header: Depth=1
	s_delay_alu instid0(SALU_CYCLE_1) | instskip(SKIP_1) | instid1(VALU_DEP_4)
	v_add_nc_u32_e32 v11, s4, v5
	v_add_nc_u32_e32 v13, s5, v5
	v_add_co_u32 v9, vcc_lo, v0, v7
	s_wait_alu 0xfffd
	v_add_co_ci_u32_e64 v10, null, 0, v1, vcc_lo
	v_mad_co_i64_i32 v[11:12], null, v11, 20, s[12:13]
	v_mad_co_u64_u32 v[13:14], null, v13, 36, s[8:9]
	v_add_nc_u32_e32 v5, 16, v5
	s_delay_alu instid0(VALU_DEP_3) | instskip(SKIP_1) | instid1(VALU_DEP_4)
	v_add_co_u32 v15, vcc_lo, v11, v8
	s_wait_alu 0xfffd
	v_add_co_ci_u32_e64 v16, null, 0, v12, vcc_lo
	s_delay_alu instid0(VALU_DEP_4)
	v_add_co_u32 v17, vcc_lo, v13, v8
	s_wait_alu 0xfffd
	v_add_co_ci_u32_e64 v18, null, 0, v14, vcc_lo
	global_load_b64 v[15:16], v[15:16], off offset:4
	s_clause 0x2
	global_load_b32 v23, v[0:1], off
	global_load_b64 v[19:20], v[9:10], off offset:4
	global_load_b64 v[9:10], v[9:10], off offset:20
	;; [unrolled: 1-line block ×3, first 2 shown]
	global_load_b32 v24, v[11:12], off
	s_clause 0x1
	global_load_b64 v[11:12], v[17:18], off offset:20
	global_load_b32 v13, v[13:14], off
	v_add_co_u32 v0, vcc_lo, 0x240, v0
	v_cmp_le_u32_e64 s2, s21, v5
	s_wait_alu 0xfffd
	v_add_co_ci_u32_e64 v1, null, 0, v1, vcc_lo
	s_or_b32 s3, s2, s3
	s_wait_loadcnt 0x7
	v_lshrrev_b32_e32 v14, 4, v15
	v_and_b32_e32 v15, 0xf0f0f0f, v15
	v_and_b32_e32 v17, 0xf0f0f0f, v16
	v_lshrrev_b32_e32 v16, 4, v16
	s_delay_alu instid0(VALU_DEP_4)
	v_and_b32_e32 v14, 0xf0f0f0f, v14
	s_wait_loadcnt 0x5
	v_dot4_i32_iu8 v18, v15, v19, 0 neg_lo:[1,1,0]
	s_wait_loadcnt 0x3
	v_dot4_i32_iu8 v15, v15, v21, 0 neg_lo:[1,1,0]
	s_wait_loadcnt 0x2
	v_pk_mul_f16 v19, v24, v23
	s_wait_loadcnt 0x0
	v_pk_mul_f16 v13, v24, v13
	v_dot4_i32_iu8 v9, v14, v9, v18 neg_lo:[1,1,0]
	v_dot4_i32_iu8 v11, v14, v11, v15 neg_lo:[1,1,0]
	v_and_b32_e32 v14, 0xf0f0f0f, v16
	v_lshrrev_b32_e32 v15, 16, v19
	v_lshrrev_b32_e32 v16, 16, v13
	v_dot4_i32_iu8 v9, v17, v20, v9 neg_lo:[1,1,0]
	v_dot4_i32_iu8 v11, v17, v22, v11 neg_lo:[1,1,0]
	s_delay_alu instid0(VALU_DEP_4) | instskip(NEXT) | instid1(VALU_DEP_4)
	v_cvt_f32_f16_e32 v15, v15
	v_cvt_f32_f16_e32 v16, v16
	s_delay_alu instid0(VALU_DEP_4) | instskip(NEXT) | instid1(VALU_DEP_4)
	v_dot4_i32_iu8 v9, v14, v10, v9 neg_lo:[1,1,0]
	v_dot4_i32_iu8 v10, v14, v12, v11 neg_lo:[1,1,0]
	s_delay_alu instid0(VALU_DEP_3) | instskip(NEXT) | instid1(VALU_DEP_3)
	v_dual_mul_f32 v11, 0.5, v15 :: v_dual_mul_f32 v12, 0.5, v16
	v_cvt_f32_i32_e32 v9, v9
	s_delay_alu instid0(VALU_DEP_3) | instskip(NEXT) | instid1(VALU_DEP_2)
	v_cvt_f32_i32_e32 v10, v10
	v_fma_mix_f32 v9, v9, v19, v11 op_sel_hi:[0,1,0]
	s_delay_alu instid0(VALU_DEP_2) | instskip(NEXT) | instid1(VALU_DEP_1)
	v_fma_mix_f32 v10, v10, v13, v12 op_sel_hi:[0,1,0]
	v_dual_add_f32 v6, v6, v9 :: v_dual_add_f32 v3, v3, v10
	s_and_not1_b32 exec_lo, exec_lo, s3
	s_cbranch_execnz .LBB29_2
; %bb.3:
	s_or_b32 exec_lo, exec_lo, s3
.LBB29_4:
	s_delay_alu instid0(SALU_CYCLE_1)
	s_or_b32 exec_lo, exec_lo, s22
	s_mov_b32 s3, 0
	; wave barrier
	global_inv scope:SCOPE_SE
	s_mov_b32 s2, exec_lo
	v_cmpx_eq_u32_e32 0, v4
	s_cbranch_execz .LBB29_9
; %bb.5:
	v_mbcnt_lo_u32_b32 v7, -1, 0
	s_load_b64 s[0:1], s[0:1], 0x38
	s_mul_i32 s2, s10, s19
	s_mul_i32 s4, s18, s20
	s_add_co_i32 s2, s2, ttmp9
	v_xor_b32_e32 v0, 16, v7
	v_xor_b32_e32 v1, 8, v7
	s_wait_alu 0xfffe
	s_add_co_i32 s2, s2, s4
	s_delay_alu instid0(SALU_CYCLE_1)
	s_lshl_b64 s[2:3], s[2:3], 2
	v_cmp_gt_i32_e32 vcc_lo, 32, v0
	s_wait_alu 0xfffd
	v_cndmask_b32_e32 v0, v7, v0, vcc_lo
	v_cmp_gt_i32_e32 vcc_lo, 32, v1
	s_wait_alu 0xfffd
	v_cndmask_b32_e32 v1, v7, v1, vcc_lo
	s_wait_kmcnt 0x0
	s_add_nc_u64 s[0:1], s[0:1], s[2:3]
	s_delay_alu instid0(VALU_DEP_1)
	v_lshlrev_b32_e32 v1, 2, v1
	v_lshlrev_b32_e32 v0, 2, v0
	ds_bpermute_b32 v4, v0, v6
	s_wait_dscnt 0x0
	v_add_f32_e32 v5, v6, v4
	v_xor_b32_e32 v4, 4, v7
	ds_bpermute_b32 v6, v1, v5
	v_cmp_gt_i32_e32 vcc_lo, 32, v4
	s_wait_alu 0xfffd
	v_cndmask_b32_e32 v4, v7, v4, vcc_lo
	s_wait_dscnt 0x0
	v_add_f32_e32 v6, v5, v6
	v_xor_b32_e32 v5, 2, v7
	s_delay_alu instid0(VALU_DEP_1) | instskip(SKIP_2) | instid1(VALU_DEP_1)
	v_cmp_gt_i32_e32 vcc_lo, 32, v5
	s_wait_alu 0xfffd
	v_cndmask_b32_e32 v5, v7, v5, vcc_lo
	v_lshlrev_b32_e32 v5, 2, v5
	v_lshlrev_b32_e32 v4, 2, v4
	ds_bpermute_b32 v8, v4, v6
	s_wait_dscnt 0x0
	v_add_f32_e32 v8, v6, v8
	v_xor_b32_e32 v6, 1, v7
	ds_bpermute_b32 v9, v5, v8
	v_cmp_gt_i32_e32 vcc_lo, 32, v6
	s_wait_alu 0xfffd
	v_cndmask_b32_e32 v6, v7, v6, vcc_lo
	v_cmp_eq_u32_e32 vcc_lo, 0, v2
	s_wait_dscnt 0x0
	s_delay_alu instid0(VALU_DEP_2)
	v_dual_add_f32 v7, v8, v9 :: v_dual_lshlrev_b32 v6, 2, v6
	ds_bpermute_b32 v8, v6, v7
	s_and_saveexec_b32 s2, vcc_lo
	s_cbranch_execz .LBB29_7
; %bb.6:
	s_wait_dscnt 0x0
	v_dual_add_f32 v2, v7, v8 :: v_dual_mov_b32 v7, 0
	global_store_b32 v7, v2, s[0:1]
.LBB29_7:
	s_or_b32 exec_lo, exec_lo, s2
	ds_bpermute_b32 v0, v0, v3
	s_wait_dscnt 0x0
	v_add_f32_e32 v0, v3, v0
	ds_bpermute_b32 v1, v1, v0
	s_wait_dscnt 0x0
	v_add_f32_e32 v0, v0, v1
	;; [unrolled: 3-line block ×4, first 2 shown]
	ds_bpermute_b32 v1, v6, v0
	s_and_b32 exec_lo, exec_lo, vcc_lo
	s_cbranch_execz .LBB29_9
; %bb.8:
	s_mov_b32 s7, 0
	s_wait_dscnt 0x0
	v_dual_add_f32 v0, v0, v1 :: v_dual_mov_b32 v1, 0
	s_lshl_b64 s[2:3], s[6:7], 2
	s_delay_alu instid0(SALU_CYCLE_1)
	s_add_nc_u64 s[0:1], s[0:1], s[2:3]
	global_store_b32 v1, v0, s[0:1]
.LBB29_9:
	s_endpgm
	.section	.rodata,"a",@progbits
	.p2align	6, 0x0
	.amdhsa_kernel _ZL13mul_mat_vec_qIL9ggml_type3ELi2ELb0ELb0EEvPKvS2_PKi31ggml_cuda_mm_fusion_args_devicePfj15HIP_vector_typeIjLj3EEjjjS8_jjjS8_jjjj
		.amdhsa_group_segment_fixed_size 0
		.amdhsa_private_segment_fixed_size 0
		.amdhsa_kernarg_size 144
		.amdhsa_user_sgpr_count 2
		.amdhsa_user_sgpr_dispatch_ptr 0
		.amdhsa_user_sgpr_queue_ptr 0
		.amdhsa_user_sgpr_kernarg_segment_ptr 1
		.amdhsa_user_sgpr_dispatch_id 0
		.amdhsa_user_sgpr_private_segment_size 0
		.amdhsa_wavefront_size32 1
		.amdhsa_uses_dynamic_stack 0
		.amdhsa_enable_private_segment 0
		.amdhsa_system_sgpr_workgroup_id_x 1
		.amdhsa_system_sgpr_workgroup_id_y 1
		.amdhsa_system_sgpr_workgroup_id_z 1
		.amdhsa_system_sgpr_workgroup_info 0
		.amdhsa_system_vgpr_workitem_id 1
		.amdhsa_next_free_vgpr 25
		.amdhsa_next_free_sgpr 30
		.amdhsa_reserve_vcc 1
		.amdhsa_float_round_mode_32 0
		.amdhsa_float_round_mode_16_64 0
		.amdhsa_float_denorm_mode_32 3
		.amdhsa_float_denorm_mode_16_64 3
		.amdhsa_fp16_overflow 0
		.amdhsa_workgroup_processor_mode 1
		.amdhsa_memory_ordered 1
		.amdhsa_forward_progress 1
		.amdhsa_inst_pref_size 10
		.amdhsa_round_robin_scheduling 0
		.amdhsa_exception_fp_ieee_invalid_op 0
		.amdhsa_exception_fp_denorm_src 0
		.amdhsa_exception_fp_ieee_div_zero 0
		.amdhsa_exception_fp_ieee_overflow 0
		.amdhsa_exception_fp_ieee_underflow 0
		.amdhsa_exception_fp_ieee_inexact 0
		.amdhsa_exception_int_div_zero 0
	.end_amdhsa_kernel
	.section	.text._ZL13mul_mat_vec_qIL9ggml_type3ELi2ELb0ELb0EEvPKvS2_PKi31ggml_cuda_mm_fusion_args_devicePfj15HIP_vector_typeIjLj3EEjjjS8_jjjS8_jjjj,"axG",@progbits,_ZL13mul_mat_vec_qIL9ggml_type3ELi2ELb0ELb0EEvPKvS2_PKi31ggml_cuda_mm_fusion_args_devicePfj15HIP_vector_typeIjLj3EEjjjS8_jjjS8_jjjj,comdat
.Lfunc_end29:
	.size	_ZL13mul_mat_vec_qIL9ggml_type3ELi2ELb0ELb0EEvPKvS2_PKi31ggml_cuda_mm_fusion_args_devicePfj15HIP_vector_typeIjLj3EEjjjS8_jjjS8_jjjj, .Lfunc_end29-_ZL13mul_mat_vec_qIL9ggml_type3ELi2ELb0ELb0EEvPKvS2_PKi31ggml_cuda_mm_fusion_args_devicePfj15HIP_vector_typeIjLj3EEjjjS8_jjjS8_jjjj
                                        ; -- End function
	.set _ZL13mul_mat_vec_qIL9ggml_type3ELi2ELb0ELb0EEvPKvS2_PKi31ggml_cuda_mm_fusion_args_devicePfj15HIP_vector_typeIjLj3EEjjjS8_jjjS8_jjjj.num_vgpr, 25
	.set _ZL13mul_mat_vec_qIL9ggml_type3ELi2ELb0ELb0EEvPKvS2_PKi31ggml_cuda_mm_fusion_args_devicePfj15HIP_vector_typeIjLj3EEjjjS8_jjjS8_jjjj.num_agpr, 0
	.set _ZL13mul_mat_vec_qIL9ggml_type3ELi2ELb0ELb0EEvPKvS2_PKi31ggml_cuda_mm_fusion_args_devicePfj15HIP_vector_typeIjLj3EEjjjS8_jjjS8_jjjj.numbered_sgpr, 30
	.set _ZL13mul_mat_vec_qIL9ggml_type3ELi2ELb0ELb0EEvPKvS2_PKi31ggml_cuda_mm_fusion_args_devicePfj15HIP_vector_typeIjLj3EEjjjS8_jjjS8_jjjj.num_named_barrier, 0
	.set _ZL13mul_mat_vec_qIL9ggml_type3ELi2ELb0ELb0EEvPKvS2_PKi31ggml_cuda_mm_fusion_args_devicePfj15HIP_vector_typeIjLj3EEjjjS8_jjjS8_jjjj.private_seg_size, 0
	.set _ZL13mul_mat_vec_qIL9ggml_type3ELi2ELb0ELb0EEvPKvS2_PKi31ggml_cuda_mm_fusion_args_devicePfj15HIP_vector_typeIjLj3EEjjjS8_jjjS8_jjjj.uses_vcc, 1
	.set _ZL13mul_mat_vec_qIL9ggml_type3ELi2ELb0ELb0EEvPKvS2_PKi31ggml_cuda_mm_fusion_args_devicePfj15HIP_vector_typeIjLj3EEjjjS8_jjjS8_jjjj.uses_flat_scratch, 0
	.set _ZL13mul_mat_vec_qIL9ggml_type3ELi2ELb0ELb0EEvPKvS2_PKi31ggml_cuda_mm_fusion_args_devicePfj15HIP_vector_typeIjLj3EEjjjS8_jjjS8_jjjj.has_dyn_sized_stack, 0
	.set _ZL13mul_mat_vec_qIL9ggml_type3ELi2ELb0ELb0EEvPKvS2_PKi31ggml_cuda_mm_fusion_args_devicePfj15HIP_vector_typeIjLj3EEjjjS8_jjjS8_jjjj.has_recursion, 0
	.set _ZL13mul_mat_vec_qIL9ggml_type3ELi2ELb0ELb0EEvPKvS2_PKi31ggml_cuda_mm_fusion_args_devicePfj15HIP_vector_typeIjLj3EEjjjS8_jjjS8_jjjj.has_indirect_call, 0
	.section	.AMDGPU.csdata,"",@progbits
; Kernel info:
; codeLenInByte = 1188
; TotalNumSgprs: 32
; NumVgprs: 25
; ScratchSize: 0
; MemoryBound: 0
; FloatMode: 240
; IeeeMode: 1
; LDSByteSize: 0 bytes/workgroup (compile time only)
; SGPRBlocks: 0
; VGPRBlocks: 3
; NumSGPRsForWavesPerEU: 32
; NumVGPRsForWavesPerEU: 25
; Occupancy: 16
; WaveLimiterHint : 0
; COMPUTE_PGM_RSRC2:SCRATCH_EN: 0
; COMPUTE_PGM_RSRC2:USER_SGPR: 2
; COMPUTE_PGM_RSRC2:TRAP_HANDLER: 0
; COMPUTE_PGM_RSRC2:TGID_X_EN: 1
; COMPUTE_PGM_RSRC2:TGID_Y_EN: 1
; COMPUTE_PGM_RSRC2:TGID_Z_EN: 1
; COMPUTE_PGM_RSRC2:TIDIG_COMP_CNT: 1
	.section	.text._ZL13mul_mat_vec_qIL9ggml_type3ELi3ELb0ELb0EEvPKvS2_PKi31ggml_cuda_mm_fusion_args_devicePfj15HIP_vector_typeIjLj3EEjjjS8_jjjS8_jjjj,"axG",@progbits,_ZL13mul_mat_vec_qIL9ggml_type3ELi3ELb0ELb0EEvPKvS2_PKi31ggml_cuda_mm_fusion_args_devicePfj15HIP_vector_typeIjLj3EEjjjS8_jjjS8_jjjj,comdat
	.globl	_ZL13mul_mat_vec_qIL9ggml_type3ELi3ELb0ELb0EEvPKvS2_PKi31ggml_cuda_mm_fusion_args_devicePfj15HIP_vector_typeIjLj3EEjjjS8_jjjS8_jjjj ; -- Begin function _ZL13mul_mat_vec_qIL9ggml_type3ELi3ELb0ELb0EEvPKvS2_PKi31ggml_cuda_mm_fusion_args_devicePfj15HIP_vector_typeIjLj3EEjjjS8_jjjS8_jjjj
	.p2align	8
	.type	_ZL13mul_mat_vec_qIL9ggml_type3ELi3ELb0ELb0EEvPKvS2_PKi31ggml_cuda_mm_fusion_args_devicePfj15HIP_vector_typeIjLj3EEjjjS8_jjjS8_jjjj,@function
_ZL13mul_mat_vec_qIL9ggml_type3ELi3ELb0ELb0EEvPKvS2_PKi31ggml_cuda_mm_fusion_args_devicePfj15HIP_vector_typeIjLj3EEjjjS8_jjjS8_jjjj: ; @_ZL13mul_mat_vec_qIL9ggml_type3ELi3ELb0ELb0EEvPKvS2_PKi31ggml_cuda_mm_fusion_args_devicePfj15HIP_vector_typeIjLj3EEjjjS8_jjjS8_jjjj
; %bb.0:
	v_bfe_u32 v5, v0, 10, 10
	s_clause 0x5
	s_load_b32 s2, s[0:1], 0x40
	s_load_b96 s[16:18], s[0:1], 0x80
	s_load_b128 s[4:7], s[0:1], 0x50
	s_load_b32 s23, s[0:1], 0x60
	s_load_b128 s[8:11], s[0:1], 0x68
	s_load_b32 s24, s[0:1], 0x78
	v_dual_mov_b32 v3, 0 :: v_dual_and_b32 v2, 0x3ff, v0
	v_dual_mov_b32 v7, 0 :: v_dual_lshlrev_b32 v0, 5, v5
	v_mov_b32_e32 v4, 0
	s_and_b32 s19, ttmp7, 0xffff
	s_lshr_b32 s20, ttmp7, 16
	s_delay_alu instid0(VALU_DEP_2) | instskip(SKIP_1) | instid1(VALU_DEP_1)
	v_add_nc_u16 v0, v0, v2
	s_mov_b32 s21, exec_lo
	v_lshrrev_b16 v0, 1, v0
	s_delay_alu instid0(VALU_DEP_1)
	v_and_b32_e32 v6, 0xffff, v0
	s_wait_kmcnt 0x0
	s_lshr_b32 s22, s2, 5
	s_delay_alu instid0(VALU_DEP_1) | instid1(SALU_CYCLE_1)
	v_cmpx_gt_u32_e64 s22, v6
	s_cbranch_execz .LBB30_4
; %bb.1:
	s_load_b128 s[12:15], s[0:1], 0x0
	s_mul_i32 s2, s17, s20
	s_mov_b32 s3, 0
	s_mul_hi_u32 s7, s7, s19
	v_lshlrev_b32_e32 v1, 1, v2
	v_dual_mov_b32 v3, 0 :: v_dual_and_b32 v4, 1, v2
	s_mul_hi_u32 s11, s11, s20
	s_mul_u64 s[26:27], s[2:3], 36
	s_mul_i32 s2, s9, s19
	s_add_co_i32 s7, s19, s7
	s_add_co_i32 s9, s20, s11
	s_mul_u64 s[28:29], s[2:3], 36
	s_lshr_b32 s2, s7, s23
	v_and_b32_e32 v0, 0xffff, v0
	v_lshlrev_b32_e32 v8, 3, v4
	v_dual_mov_b32 v4, 0 :: v_dual_and_b32 v7, 2, v1
	s_lshr_b32 s7, s9, s24
	s_mul_i32 s2, s2, s8
	s_wait_kmcnt 0x0
	s_add_nc_u64 s[8:9], s[14:15], s[26:27]
	s_mul_i32 s4, s4, ttmp9
	s_add_nc_u64 s[8:9], s[8:9], s[28:29]
	v_lshlrev_b32_e32 v9, 2, v7
	v_mov_b32_e32 v7, 0
	v_mad_co_u64_u32 v[0:1], null, v0, 36, s[8:9]
	s_mul_i32 s7, s7, s16
	s_add_co_i32 s2, s2, s4
	s_lshl_b32 s4, s5, 1
	s_add_co_i32 s2, s7, s2
.LBB30_2:                               ; =>This Inner Loop Header: Depth=1
	s_delay_alu instid0(SALU_CYCLE_1) | instskip(SKIP_3) | instid1(VALU_DEP_4)
	v_add_nc_u32_e32 v12, s2, v6
	v_add_nc_u32_e32 v16, s4, v6
	;; [unrolled: 1-line block ×3, first 2 shown]
	v_add_co_u32 v10, vcc_lo, v0, v8
	v_mad_co_i64_i32 v[12:13], null, v12, 20, s[12:13]
	s_delay_alu instid0(VALU_DEP_4) | instskip(NEXT) | instid1(VALU_DEP_4)
	v_mad_co_u64_u32 v[16:17], null, v16, 36, s[8:9]
	v_mad_co_u64_u32 v[18:19], null, v18, 36, s[8:9]
	s_wait_alu 0xfffd
	v_add_co_ci_u32_e64 v11, null, 0, v1, vcc_lo
	s_delay_alu instid0(VALU_DEP_4)
	v_add_co_u32 v20, vcc_lo, v12, v9
	global_load_b32 v28, v[0:1], off
	s_wait_alu 0xfffd
	v_add_co_ci_u32_e64 v21, null, 0, v13, vcc_lo
	v_add_co_u32 v22, vcc_lo, v16, v9
	s_wait_alu 0xfffd
	v_add_co_ci_u32_e64 v23, null, 0, v17, vcc_lo
	v_add_co_u32 v24, vcc_lo, v18, v9
	s_wait_alu 0xfffd
	v_add_co_ci_u32_e64 v25, null, 0, v19, vcc_lo
	s_clause 0x1
	global_load_b64 v[14:15], v[10:11], off offset:4
	global_load_b64 v[10:11], v[10:11], off offset:20
	s_clause 0x1
	global_load_b64 v[20:21], v[20:21], off offset:4
	global_load_b32 v29, v[12:13], off
	s_clause 0x5
	global_load_b64 v[12:13], v[22:23], off offset:4
	global_load_b64 v[26:27], v[24:25], off offset:4
	;; [unrolled: 1-line block ×3, first 2 shown]
	global_load_b32 v30, v[16:17], off
	global_load_b32 v18, v[18:19], off
	global_load_b64 v[16:17], v[22:23], off offset:20
	v_add_nc_u32_e32 v6, 16, v6
	v_add_co_u32 v0, vcc_lo, 0x240, v0
	s_wait_alu 0xfffd
	v_add_co_ci_u32_e64 v1, null, 0, v1, vcc_lo
	s_delay_alu instid0(VALU_DEP_3)
	v_cmp_le_u32_e32 vcc_lo, s22, v6
	s_or_b32 s3, vcc_lo, s3
	s_wait_loadcnt 0x7
	v_and_b32_e32 v19, 0xf0f0f0f, v20
	v_lshrrev_b32_e32 v20, 4, v20
	s_wait_loadcnt 0x6
	v_pk_mul_f16 v23, v29, v28
	s_wait_loadcnt 0x2
	v_pk_mul_f16 v28, v29, v30
	;; [unrolled: 2-line block ×3, first 2 shown]
	v_and_b32_e32 v20, 0xf0f0f0f, v20
	v_dot4_i32_iu8 v14, v19, v14, 0 neg_lo:[1,1,0]
	v_lshrrev_b32_e32 v29, 16, v23
	v_dot4_i32_iu8 v12, v19, v12, 0 neg_lo:[1,1,0]
	v_lshrrev_b32_e32 v30, 16, v18
	v_dot4_i32_iu8 v26, v19, v26, 0 neg_lo:[1,1,0]
	v_dot4_i32_iu8 v10, v20, v10, v14 neg_lo:[1,1,0]
	v_cvt_f32_f16_e32 v14, v29
	v_and_b32_e32 v22, 0xf0f0f0f, v21
	v_lshrrev_b32_e32 v21, 4, v21
	s_wait_loadcnt 0x0
	v_dot4_i32_iu8 v12, v20, v16, v12 neg_lo:[1,1,0]
	v_cvt_f32_f16_e32 v16, v30
	v_lshrrev_b32_e32 v19, 16, v28
	v_and_b32_e32 v21, 0xf0f0f0f, v21
	s_delay_alu instid0(VALU_DEP_4)
	v_dot4_i32_iu8 v12, v22, v13, v12 neg_lo:[1,1,0]
	v_mul_f32_e32 v13, 0.5, v14
	v_dot4_i32_iu8 v10, v22, v15, v10 neg_lo:[1,1,0]
	v_mul_f32_e32 v14, 0.5, v16
	v_cvt_f32_f16_e32 v19, v19
	v_dot4_i32_iu8 v12, v21, v17, v12 neg_lo:[1,1,0]
	s_delay_alu instid0(VALU_DEP_4) | instskip(NEXT) | instid1(VALU_DEP_2)
	v_dot4_i32_iu8 v10, v21, v11, v10 neg_lo:[1,1,0]
	v_cvt_f32_i32_e32 v12, v12
	s_delay_alu instid0(VALU_DEP_2) | instskip(NEXT) | instid1(VALU_DEP_1)
	v_cvt_f32_i32_e32 v10, v10
	v_fma_mix_f32 v10, v10, v23, v13 op_sel_hi:[0,1,0]
	s_delay_alu instid0(VALU_DEP_1) | instskip(SKIP_1) | instid1(VALU_DEP_1)
	v_add_f32_e32 v7, v7, v10
	v_dot4_i32_iu8 v24, v20, v24, v26 neg_lo:[1,1,0]
	v_dot4_i32_iu8 v15, v22, v27, v24 neg_lo:[1,1,0]
	s_delay_alu instid0(VALU_DEP_1) | instskip(SKIP_1) | instid1(VALU_DEP_2)
	v_dot4_i32_iu8 v11, v21, v25, v15 neg_lo:[1,1,0]
	v_mul_f32_e32 v15, 0.5, v19
	v_cvt_f32_i32_e32 v11, v11
	s_delay_alu instid0(VALU_DEP_2) | instskip(NEXT) | instid1(VALU_DEP_2)
	v_fma_mix_f32 v12, v12, v28, v15 op_sel_hi:[0,1,0]
	v_fma_mix_f32 v11, v11, v18, v14 op_sel_hi:[0,1,0]
	s_delay_alu instid0(VALU_DEP_1)
	v_dual_add_f32 v3, v3, v12 :: v_dual_add_f32 v4, v4, v11
	s_wait_alu 0xfffe
	s_and_not1_b32 exec_lo, exec_lo, s3
	s_cbranch_execnz .LBB30_2
; %bb.3:
	s_or_b32 exec_lo, exec_lo, s3
.LBB30_4:
	s_delay_alu instid0(SALU_CYCLE_1)
	s_or_b32 exec_lo, exec_lo, s21
	s_mov_b32 s3, 0
	; wave barrier
	global_inv scope:SCOPE_SE
	s_mov_b32 s2, exec_lo
	v_cmpx_eq_u32_e32 0, v5
	s_cbranch_execz .LBB30_11
; %bb.5:
	v_mbcnt_lo_u32_b32 v8, -1, 0
	s_load_b64 s[0:1], s[0:1], 0x38
	s_mul_i32 s2, s10, s19
	s_mul_i32 s4, s18, s20
	s_wait_alu 0xfffe
	s_add_co_i32 s2, s2, ttmp9
	v_xor_b32_e32 v0, 16, v8
	v_xor_b32_e32 v1, 8, v8
	s_wait_alu 0xfffe
	s_add_co_i32 s2, s2, s4
	s_wait_alu 0xfffe
	s_lshl_b64 s[2:3], s[2:3], 2
	v_cmp_gt_i32_e32 vcc_lo, 32, v0
	s_wait_alu 0xfffd
	v_cndmask_b32_e32 v0, v8, v0, vcc_lo
	v_cmp_gt_i32_e32 vcc_lo, 32, v1
	s_wait_alu 0xfffd
	v_cndmask_b32_e32 v1, v8, v1, vcc_lo
	s_wait_kmcnt 0x0
	s_wait_alu 0xfffe
	s_add_nc_u64 s[0:1], s[0:1], s[2:3]
	s_delay_alu instid0(VALU_DEP_1)
	v_lshlrev_b32_e32 v1, 2, v1
	v_lshlrev_b32_e32 v0, 2, v0
	ds_bpermute_b32 v5, v0, v7
	s_wait_dscnt 0x0
	v_add_f32_e32 v6, v7, v5
	v_xor_b32_e32 v5, 4, v8
	ds_bpermute_b32 v7, v1, v6
	v_cmp_gt_i32_e32 vcc_lo, 32, v5
	s_wait_alu 0xfffd
	v_cndmask_b32_e32 v5, v8, v5, vcc_lo
	s_wait_dscnt 0x0
	v_add_f32_e32 v7, v6, v7
	v_xor_b32_e32 v6, 2, v8
	s_delay_alu instid0(VALU_DEP_1)
	v_cmp_gt_i32_e32 vcc_lo, 32, v6
	s_wait_alu 0xfffd
	v_dual_cndmask_b32 v6, v8, v6 :: v_dual_lshlrev_b32 v5, 2, v5
	ds_bpermute_b32 v9, v5, v7
	s_wait_dscnt 0x0
	v_dual_add_f32 v9, v7, v9 :: v_dual_lshlrev_b32 v6, 2, v6
	v_xor_b32_e32 v7, 1, v8
	ds_bpermute_b32 v10, v6, v9
	v_cmp_gt_i32_e32 vcc_lo, 32, v7
	s_wait_alu 0xfffd
	v_cndmask_b32_e32 v7, v8, v7, vcc_lo
	v_cmp_eq_u32_e32 vcc_lo, 0, v2
	s_wait_dscnt 0x0
	s_delay_alu instid0(VALU_DEP_2)
	v_dual_add_f32 v8, v9, v10 :: v_dual_lshlrev_b32 v7, 2, v7
	ds_bpermute_b32 v9, v7, v8
	s_and_saveexec_b32 s2, vcc_lo
	s_cbranch_execz .LBB30_7
; %bb.6:
	s_wait_dscnt 0x0
	v_add_f32_e32 v2, v8, v9
	v_mov_b32_e32 v8, 0
	global_store_b32 v8, v2, s[0:1]
.LBB30_7:
	s_wait_alu 0xfffe
	s_or_b32 exec_lo, exec_lo, s2
	ds_bpermute_b32 v2, v0, v4
	s_wait_dscnt 0x0
	v_add_f32_e32 v2, v4, v2
	ds_bpermute_b32 v4, v1, v2
	s_wait_dscnt 0x0
	v_add_f32_e32 v2, v2, v4
	;; [unrolled: 3-line block ×4, first 2 shown]
	ds_bpermute_b32 v4, v7, v2
	s_and_saveexec_b32 s2, vcc_lo
	s_cbranch_execz .LBB30_9
; %bb.8:
	s_mov_b32 s7, 0
	s_wait_dscnt 0x0
	v_add_f32_e32 v2, v2, v4
	v_mov_b32_e32 v4, 0
	s_lshl_b64 s[4:5], s[6:7], 2
	s_wait_alu 0xfffe
	s_add_nc_u64 s[4:5], s[0:1], s[4:5]
	global_store_b32 v4, v2, s[4:5]
.LBB30_9:
	s_wait_alu 0xfffe
	s_or_b32 exec_lo, exec_lo, s2
	ds_bpermute_b32 v0, v0, v3
	s_wait_dscnt 0x0
	v_add_f32_e32 v0, v3, v0
	ds_bpermute_b32 v1, v1, v0
	s_wait_dscnt 0x0
	v_add_f32_e32 v0, v0, v1
	;; [unrolled: 3-line block ×4, first 2 shown]
	ds_bpermute_b32 v1, v7, v0
	s_and_b32 exec_lo, exec_lo, vcc_lo
	s_cbranch_execz .LBB30_11
; %bb.10:
	s_lshl_b32 s2, s6, 1
	s_mov_b32 s3, 0
	s_wait_dscnt 0x0
	v_dual_add_f32 v0, v0, v1 :: v_dual_mov_b32 v1, 0
	s_wait_alu 0xfffe
	s_lshl_b64 s[2:3], s[2:3], 2
	s_wait_alu 0xfffe
	s_add_nc_u64 s[0:1], s[0:1], s[2:3]
	global_store_b32 v1, v0, s[0:1]
.LBB30_11:
	s_endpgm
	.section	.rodata,"a",@progbits
	.p2align	6, 0x0
	.amdhsa_kernel _ZL13mul_mat_vec_qIL9ggml_type3ELi3ELb0ELb0EEvPKvS2_PKi31ggml_cuda_mm_fusion_args_devicePfj15HIP_vector_typeIjLj3EEjjjS8_jjjS8_jjjj
		.amdhsa_group_segment_fixed_size 0
		.amdhsa_private_segment_fixed_size 0
		.amdhsa_kernarg_size 144
		.amdhsa_user_sgpr_count 2
		.amdhsa_user_sgpr_dispatch_ptr 0
		.amdhsa_user_sgpr_queue_ptr 0
		.amdhsa_user_sgpr_kernarg_segment_ptr 1
		.amdhsa_user_sgpr_dispatch_id 0
		.amdhsa_user_sgpr_private_segment_size 0
		.amdhsa_wavefront_size32 1
		.amdhsa_uses_dynamic_stack 0
		.amdhsa_enable_private_segment 0
		.amdhsa_system_sgpr_workgroup_id_x 1
		.amdhsa_system_sgpr_workgroup_id_y 1
		.amdhsa_system_sgpr_workgroup_id_z 1
		.amdhsa_system_sgpr_workgroup_info 0
		.amdhsa_system_vgpr_workitem_id 1
		.amdhsa_next_free_vgpr 31
		.amdhsa_next_free_sgpr 30
		.amdhsa_reserve_vcc 1
		.amdhsa_float_round_mode_32 0
		.amdhsa_float_round_mode_16_64 0
		.amdhsa_float_denorm_mode_32 3
		.amdhsa_float_denorm_mode_16_64 3
		.amdhsa_fp16_overflow 0
		.amdhsa_workgroup_processor_mode 1
		.amdhsa_memory_ordered 1
		.amdhsa_forward_progress 1
		.amdhsa_inst_pref_size 12
		.amdhsa_round_robin_scheduling 0
		.amdhsa_exception_fp_ieee_invalid_op 0
		.amdhsa_exception_fp_denorm_src 0
		.amdhsa_exception_fp_ieee_div_zero 0
		.amdhsa_exception_fp_ieee_overflow 0
		.amdhsa_exception_fp_ieee_underflow 0
		.amdhsa_exception_fp_ieee_inexact 0
		.amdhsa_exception_int_div_zero 0
	.end_amdhsa_kernel
	.section	.text._ZL13mul_mat_vec_qIL9ggml_type3ELi3ELb0ELb0EEvPKvS2_PKi31ggml_cuda_mm_fusion_args_devicePfj15HIP_vector_typeIjLj3EEjjjS8_jjjS8_jjjj,"axG",@progbits,_ZL13mul_mat_vec_qIL9ggml_type3ELi3ELb0ELb0EEvPKvS2_PKi31ggml_cuda_mm_fusion_args_devicePfj15HIP_vector_typeIjLj3EEjjjS8_jjjS8_jjjj,comdat
.Lfunc_end30:
	.size	_ZL13mul_mat_vec_qIL9ggml_type3ELi3ELb0ELb0EEvPKvS2_PKi31ggml_cuda_mm_fusion_args_devicePfj15HIP_vector_typeIjLj3EEjjjS8_jjjS8_jjjj, .Lfunc_end30-_ZL13mul_mat_vec_qIL9ggml_type3ELi3ELb0ELb0EEvPKvS2_PKi31ggml_cuda_mm_fusion_args_devicePfj15HIP_vector_typeIjLj3EEjjjS8_jjjS8_jjjj
                                        ; -- End function
	.set _ZL13mul_mat_vec_qIL9ggml_type3ELi3ELb0ELb0EEvPKvS2_PKi31ggml_cuda_mm_fusion_args_devicePfj15HIP_vector_typeIjLj3EEjjjS8_jjjS8_jjjj.num_vgpr, 31
	.set _ZL13mul_mat_vec_qIL9ggml_type3ELi3ELb0ELb0EEvPKvS2_PKi31ggml_cuda_mm_fusion_args_devicePfj15HIP_vector_typeIjLj3EEjjjS8_jjjS8_jjjj.num_agpr, 0
	.set _ZL13mul_mat_vec_qIL9ggml_type3ELi3ELb0ELb0EEvPKvS2_PKi31ggml_cuda_mm_fusion_args_devicePfj15HIP_vector_typeIjLj3EEjjjS8_jjjS8_jjjj.numbered_sgpr, 30
	.set _ZL13mul_mat_vec_qIL9ggml_type3ELi3ELb0ELb0EEvPKvS2_PKi31ggml_cuda_mm_fusion_args_devicePfj15HIP_vector_typeIjLj3EEjjjS8_jjjS8_jjjj.num_named_barrier, 0
	.set _ZL13mul_mat_vec_qIL9ggml_type3ELi3ELb0ELb0EEvPKvS2_PKi31ggml_cuda_mm_fusion_args_devicePfj15HIP_vector_typeIjLj3EEjjjS8_jjjS8_jjjj.private_seg_size, 0
	.set _ZL13mul_mat_vec_qIL9ggml_type3ELi3ELb0ELb0EEvPKvS2_PKi31ggml_cuda_mm_fusion_args_devicePfj15HIP_vector_typeIjLj3EEjjjS8_jjjS8_jjjj.uses_vcc, 1
	.set _ZL13mul_mat_vec_qIL9ggml_type3ELi3ELb0ELb0EEvPKvS2_PKi31ggml_cuda_mm_fusion_args_devicePfj15HIP_vector_typeIjLj3EEjjjS8_jjjS8_jjjj.uses_flat_scratch, 0
	.set _ZL13mul_mat_vec_qIL9ggml_type3ELi3ELb0ELb0EEvPKvS2_PKi31ggml_cuda_mm_fusion_args_devicePfj15HIP_vector_typeIjLj3EEjjjS8_jjjS8_jjjj.has_dyn_sized_stack, 0
	.set _ZL13mul_mat_vec_qIL9ggml_type3ELi3ELb0ELb0EEvPKvS2_PKi31ggml_cuda_mm_fusion_args_devicePfj15HIP_vector_typeIjLj3EEjjjS8_jjjS8_jjjj.has_recursion, 0
	.set _ZL13mul_mat_vec_qIL9ggml_type3ELi3ELb0ELb0EEvPKvS2_PKi31ggml_cuda_mm_fusion_args_devicePfj15HIP_vector_typeIjLj3EEjjjS8_jjjS8_jjjj.has_indirect_call, 0
	.section	.AMDGPU.csdata,"",@progbits
; Kernel info:
; codeLenInByte = 1496
; TotalNumSgprs: 32
; NumVgprs: 31
; ScratchSize: 0
; MemoryBound: 0
; FloatMode: 240
; IeeeMode: 1
; LDSByteSize: 0 bytes/workgroup (compile time only)
; SGPRBlocks: 0
; VGPRBlocks: 3
; NumSGPRsForWavesPerEU: 32
; NumVGPRsForWavesPerEU: 31
; Occupancy: 16
; WaveLimiterHint : 0
; COMPUTE_PGM_RSRC2:SCRATCH_EN: 0
; COMPUTE_PGM_RSRC2:USER_SGPR: 2
; COMPUTE_PGM_RSRC2:TRAP_HANDLER: 0
; COMPUTE_PGM_RSRC2:TGID_X_EN: 1
; COMPUTE_PGM_RSRC2:TGID_Y_EN: 1
; COMPUTE_PGM_RSRC2:TGID_Z_EN: 1
; COMPUTE_PGM_RSRC2:TIDIG_COMP_CNT: 1
	.section	.text._ZL13mul_mat_vec_qIL9ggml_type3ELi4ELb0ELb0EEvPKvS2_PKi31ggml_cuda_mm_fusion_args_devicePfj15HIP_vector_typeIjLj3EEjjjS8_jjjS8_jjjj,"axG",@progbits,_ZL13mul_mat_vec_qIL9ggml_type3ELi4ELb0ELb0EEvPKvS2_PKi31ggml_cuda_mm_fusion_args_devicePfj15HIP_vector_typeIjLj3EEjjjS8_jjjS8_jjjj,comdat
	.globl	_ZL13mul_mat_vec_qIL9ggml_type3ELi4ELb0ELb0EEvPKvS2_PKi31ggml_cuda_mm_fusion_args_devicePfj15HIP_vector_typeIjLj3EEjjjS8_jjjS8_jjjj ; -- Begin function _ZL13mul_mat_vec_qIL9ggml_type3ELi4ELb0ELb0EEvPKvS2_PKi31ggml_cuda_mm_fusion_args_devicePfj15HIP_vector_typeIjLj3EEjjjS8_jjjS8_jjjj
	.p2align	8
	.type	_ZL13mul_mat_vec_qIL9ggml_type3ELi4ELb0ELb0EEvPKvS2_PKi31ggml_cuda_mm_fusion_args_devicePfj15HIP_vector_typeIjLj3EEjjjS8_jjjS8_jjjj,@function
_ZL13mul_mat_vec_qIL9ggml_type3ELi4ELb0ELb0EEvPKvS2_PKi31ggml_cuda_mm_fusion_args_devicePfj15HIP_vector_typeIjLj3EEjjjS8_jjjS8_jjjj: ; @_ZL13mul_mat_vec_qIL9ggml_type3ELi4ELb0ELb0EEvPKvS2_PKi31ggml_cuda_mm_fusion_args_devicePfj15HIP_vector_typeIjLj3EEjjjS8_jjjS8_jjjj
; %bb.0:
	v_bfe_u32 v6, v0, 10, 10
	s_clause 0x5
	s_load_b32 s2, s[0:1], 0x40
	s_load_b96 s[16:18], s[0:1], 0x80
	s_load_b128 s[4:7], s[0:1], 0x50
	s_load_b32 s23, s[0:1], 0x60
	s_load_b128 s[8:11], s[0:1], 0x68
	s_load_b32 s24, s[0:1], 0x78
	v_dual_mov_b32 v2, 0 :: v_dual_and_b32 v3, 0x3ff, v0
	v_dual_mov_b32 v5, 0 :: v_dual_lshlrev_b32 v0, 5, v6
	v_mov_b32_e32 v8, 0
	s_and_b32 s19, ttmp7, 0xffff
	s_lshr_b32 s20, ttmp7, 16
	s_delay_alu instid0(VALU_DEP_2) | instskip(SKIP_2) | instid1(VALU_DEP_2)
	v_add_nc_u16 v0, v0, v3
	s_mov_b32 s21, exec_lo
	v_mov_b32_e32 v4, 0
	v_lshrrev_b16 v0, 1, v0
	s_delay_alu instid0(VALU_DEP_1)
	v_and_b32_e32 v7, 0xffff, v0
	s_wait_kmcnt 0x0
	s_lshr_b32 s22, s2, 5
	s_delay_alu instid0(VALU_DEP_1) | instid1(SALU_CYCLE_1)
	v_cmpx_gt_u32_e64 s22, v7
	s_cbranch_execz .LBB31_4
; %bb.1:
	s_load_b128 s[12:15], s[0:1], 0x0
	s_mul_i32 s2, s17, s20
	s_mov_b32 s3, 0
	s_mul_hi_u32 s7, s7, s19
	s_mul_hi_u32 s11, s11, s20
	s_mul_u64 s[26:27], s[2:3], 36
	s_mul_i32 s2, s9, s19
	s_add_co_i32 s7, s19, s7
	v_dual_mov_b32 v2, 0 :: v_dual_lshlrev_b32 v1, 1, v3
	s_add_co_i32 s9, s20, s11
	s_mul_u64 s[28:29], s[2:3], 36
	s_lshr_b32 s2, s7, s23
	v_and_b32_e32 v0, 0xffff, v0
	s_lshr_b32 s7, s9, s24
	s_mul_i32 s2, s2, s8
	v_and_b32_e32 v4, 1, v3
	v_and_b32_e32 v5, 2, v1
	s_mul_i32 s4, s4, ttmp9
	v_mov_b32_e32 v8, 0
	s_wait_kmcnt 0x0
	s_add_nc_u64 s[8:9], s[14:15], s[26:27]
	s_mul_i32 s7, s7, s16
	s_add_nc_u64 s[8:9], s[8:9], s[28:29]
	v_lshlrev_b32_e32 v10, 2, v5
	v_mad_co_u64_u32 v[0:1], null, v0, 36, s[8:9]
	v_mov_b32_e32 v5, 0
	v_dual_mov_b32 v4, 0 :: v_dual_lshlrev_b32 v9, 3, v4
	s_add_co_i32 s2, s2, s4
	s_lshl_b32 s4, s5, 1
	s_add_co_i32 s2, s7, s2
	s_mul_i32 s7, s5, 3
.LBB31_2:                               ; =>This Inner Loop Header: Depth=1
	v_add_nc_u32_e32 v13, s2, v7
	v_add_nc_u32_e32 v17, s5, v7
	v_add_nc_u32_e32 v19, s4, v7
	v_add_nc_u32_e32 v21, s7, v7
	v_add_co_u32 v11, vcc_lo, v0, v9
	v_mad_co_i64_i32 v[13:14], null, v13, 20, s[12:13]
	v_mad_co_u64_u32 v[17:18], null, v17, 36, s[8:9]
	v_mad_co_u64_u32 v[19:20], null, v19, 36, s[8:9]
	;; [unrolled: 1-line block ×3, first 2 shown]
	global_load_b32 v31, v[0:1], off
	s_wait_alu 0xfffd
	v_add_co_ci_u32_e64 v12, null, 0, v1, vcc_lo
	v_add_co_u32 v23, vcc_lo, v13, v10
	s_wait_alu 0xfffd
	v_add_co_ci_u32_e64 v24, null, 0, v14, vcc_lo
	v_add_co_u32 v25, vcc_lo, v17, v10
	;; [unrolled: 3-line block ×3, first 2 shown]
	s_clause 0x1
	global_load_b64 v[15:16], v[11:12], off offset:4
	global_load_b64 v[11:12], v[11:12], off offset:20
	s_wait_alu 0xfffd
	v_add_co_ci_u32_e64 v28, null, 0, v20, vcc_lo
	v_add_co_u32 v29, vcc_lo, v21, v10
	s_wait_alu 0xfffd
	v_add_co_ci_u32_e64 v30, null, 0, v22, vcc_lo
	s_clause 0x1
	global_load_b64 v[23:24], v[23:24], off offset:4
	global_load_b32 v32, v[13:14], off
	s_clause 0x8
	global_load_b64 v[13:14], v[25:26], off offset:20
	global_load_b32 v33, v[19:20], off
	global_load_b32 v34, v[17:18], off
	;; [unrolled: 1-line block ×3, first 2 shown]
	global_load_b64 v[17:18], v[25:26], off offset:4
	global_load_b64 v[19:20], v[27:28], off offset:4
	;; [unrolled: 1-line block ×5, first 2 shown]
	v_add_nc_u32_e32 v7, 16, v7
	v_add_co_u32 v0, vcc_lo, 0x240, v0
	s_wait_alu 0xfffd
	v_add_co_ci_u32_e64 v1, null, 0, v1, vcc_lo
	s_delay_alu instid0(VALU_DEP_3)
	v_cmp_le_u32_e32 vcc_lo, s22, v7
	s_or_b32 s3, vcc_lo, s3
	s_wait_loadcnt 0xa
	v_and_b32_e32 v29, 0xf0f0f0f, v23
	v_lshrrev_b32_e32 v23, 4, v23
	s_wait_loadcnt 0x9
	v_pk_mul_f16 v31, v32, v31
	s_wait_loadcnt 0x7
	v_pk_mul_f16 v33, v32, v33
	;; [unrolled: 2-line block ×4, first 2 shown]
	v_and_b32_e32 v23, 0xf0f0f0f, v23
	v_dot4_i32_iu8 v15, v29, v15, 0 neg_lo:[1,1,0]
	v_lshrrev_b32_e32 v35, 16, v31
	s_wait_loadcnt 0x4
	v_dot4_i32_iu8 v17, v29, v17, 0 neg_lo:[1,1,0]
	v_lshrrev_b32_e32 v36, 16, v34
	s_wait_loadcnt 0x3
	v_dot4_i32_iu8 v19, v29, v19, 0 neg_lo:[1,1,0]
	s_wait_loadcnt 0x2
	v_dot4_i32_iu8 v21, v29, v21, 0 neg_lo:[1,1,0]
	v_dot4_i32_iu8 v11, v23, v11, v15 neg_lo:[1,1,0]
	v_cvt_f32_f16_e32 v15, v35
	v_and_b32_e32 v30, 0xf0f0f0f, v24
	v_lshrrev_b32_e32 v24, 4, v24
	v_dot4_i32_iu8 v13, v23, v13, v17 neg_lo:[1,1,0]
	v_cvt_f32_f16_e32 v17, v36
	s_wait_loadcnt 0x1
	v_dot4_i32_iu8 v19, v23, v25, v19 neg_lo:[1,1,0]
	s_wait_loadcnt 0x0
	v_dot4_i32_iu8 v21, v23, v27, v21 neg_lo:[1,1,0]
	v_dual_mul_f32 v15, 0.5, v15 :: v_dual_and_b32 v24, 0xf0f0f0f, v24
	v_dot4_i32_iu8 v11, v30, v16, v11 neg_lo:[1,1,0]
	v_dot4_i32_iu8 v13, v30, v18, v13 neg_lo:[1,1,0]
	v_lshrrev_b32_e32 v37, 16, v33
	v_lshrrev_b32_e32 v29, 16, v32
	v_mul_f32_e32 v16, 0.5, v17
	v_dot4_i32_iu8 v17, v30, v20, v19 neg_lo:[1,1,0]
	v_dot4_i32_iu8 v19, v30, v22, v21 neg_lo:[1,1,0]
	;; [unrolled: 1-line block ×4, first 2 shown]
	v_cvt_f32_f16_e32 v25, v37
	v_cvt_f32_f16_e32 v23, v29
	v_dot4_i32_iu8 v13, v24, v26, v17 neg_lo:[1,1,0]
	v_dot4_i32_iu8 v14, v24, v28, v19 neg_lo:[1,1,0]
	v_cvt_f32_i32_e32 v12, v12
	v_mul_f32_e32 v18, 0.5, v25
	v_cvt_f32_i32_e32 v11, v11
	v_cvt_f32_i32_e32 v13, v13
	;; [unrolled: 1-line block ×3, first 2 shown]
	v_fma_mix_f32 v12, v12, v34, v16 op_sel_hi:[0,1,0]
	v_mul_f32_e32 v20, 0.5, v23
	v_fma_mix_f32 v11, v11, v31, v15 op_sel_hi:[0,1,0]
	v_fma_mix_f32 v13, v13, v33, v18 op_sel_hi:[0,1,0]
	s_delay_alu instid0(VALU_DEP_4) | instskip(NEXT) | instid1(VALU_DEP_4)
	v_add_f32_e32 v5, v5, v12
	v_fma_mix_f32 v14, v14, v32, v20 op_sel_hi:[0,1,0]
	s_delay_alu instid0(VALU_DEP_4) | instskip(NEXT) | instid1(VALU_DEP_4)
	v_add_f32_e32 v8, v8, v11
	v_add_f32_e32 v4, v4, v13
	s_delay_alu instid0(VALU_DEP_3)
	v_add_f32_e32 v2, v2, v14
	s_wait_alu 0xfffe
	s_and_not1_b32 exec_lo, exec_lo, s3
	s_cbranch_execnz .LBB31_2
; %bb.3:
	s_or_b32 exec_lo, exec_lo, s3
.LBB31_4:
	s_delay_alu instid0(SALU_CYCLE_1)
	s_or_b32 exec_lo, exec_lo, s21
	s_mov_b32 s3, 0
	; wave barrier
	global_inv scope:SCOPE_SE
	s_mov_b32 s2, exec_lo
	v_cmpx_eq_u32_e32 0, v6
	s_cbranch_execz .LBB31_13
; %bb.5:
	v_mbcnt_lo_u32_b32 v9, -1, 0
	s_load_b64 s[0:1], s[0:1], 0x38
	s_mul_i32 s2, s10, s19
	s_mul_i32 s4, s18, s20
	s_wait_alu 0xfffe
	s_add_co_i32 s2, s2, ttmp9
	v_xor_b32_e32 v0, 16, v9
	v_xor_b32_e32 v1, 8, v9
	s_wait_alu 0xfffe
	s_add_co_i32 s2, s2, s4
	s_wait_alu 0xfffe
	s_lshl_b64 s[2:3], s[2:3], 2
	v_cmp_gt_i32_e32 vcc_lo, 32, v0
	s_wait_alu 0xfffd
	v_cndmask_b32_e32 v0, v9, v0, vcc_lo
	v_cmp_gt_i32_e32 vcc_lo, 32, v1
	s_wait_alu 0xfffd
	v_cndmask_b32_e32 v1, v9, v1, vcc_lo
	s_wait_kmcnt 0x0
	s_wait_alu 0xfffe
	s_add_nc_u64 s[0:1], s[0:1], s[2:3]
	s_delay_alu instid0(VALU_DEP_1)
	v_lshlrev_b32_e32 v1, 2, v1
	v_lshlrev_b32_e32 v0, 2, v0
	ds_bpermute_b32 v6, v0, v8
	s_wait_dscnt 0x0
	v_add_f32_e32 v7, v8, v6
	v_xor_b32_e32 v6, 4, v9
	ds_bpermute_b32 v8, v1, v7
	v_cmp_gt_i32_e32 vcc_lo, 32, v6
	s_wait_alu 0xfffd
	v_cndmask_b32_e32 v6, v9, v6, vcc_lo
	s_wait_dscnt 0x0
	v_add_f32_e32 v8, v7, v8
	v_xor_b32_e32 v7, 2, v9
	s_delay_alu instid0(VALU_DEP_1) | instskip(SKIP_2) | instid1(VALU_DEP_1)
	v_cmp_gt_i32_e32 vcc_lo, 32, v7
	s_wait_alu 0xfffd
	v_cndmask_b32_e32 v7, v9, v7, vcc_lo
	v_lshlrev_b32_e32 v7, 2, v7
	v_lshlrev_b32_e32 v6, 2, v6
	ds_bpermute_b32 v10, v6, v8
	s_wait_dscnt 0x0
	v_add_f32_e32 v10, v8, v10
	v_xor_b32_e32 v8, 1, v9
	ds_bpermute_b32 v11, v7, v10
	v_cmp_gt_i32_e32 vcc_lo, 32, v8
	s_wait_alu 0xfffd
	v_cndmask_b32_e32 v8, v9, v8, vcc_lo
	v_cmp_eq_u32_e32 vcc_lo, 0, v3
	s_wait_dscnt 0x0
	s_delay_alu instid0(VALU_DEP_2)
	v_dual_add_f32 v9, v10, v11 :: v_dual_lshlrev_b32 v8, 2, v8
	ds_bpermute_b32 v10, v8, v9
	s_and_saveexec_b32 s2, vcc_lo
	s_cbranch_execz .LBB31_7
; %bb.6:
	s_wait_dscnt 0x0
	v_add_f32_e32 v3, v9, v10
	v_mov_b32_e32 v9, 0
	global_store_b32 v9, v3, s[0:1]
.LBB31_7:
	s_wait_alu 0xfffe
	s_or_b32 exec_lo, exec_lo, s2
	ds_bpermute_b32 v3, v0, v5
	s_wait_dscnt 0x0
	v_add_f32_e32 v3, v5, v3
	ds_bpermute_b32 v5, v1, v3
	s_wait_dscnt 0x0
	v_add_f32_e32 v3, v3, v5
	;; [unrolled: 3-line block ×4, first 2 shown]
	ds_bpermute_b32 v5, v8, v3
	s_and_saveexec_b32 s2, vcc_lo
	s_cbranch_execz .LBB31_9
; %bb.8:
	s_mov_b32 s7, 0
	s_wait_dscnt 0x0
	v_add_f32_e32 v3, v3, v5
	v_mov_b32_e32 v5, 0
	s_wait_alu 0xfffe
	s_lshl_b64 s[4:5], s[6:7], 2
	s_wait_alu 0xfffe
	s_add_nc_u64 s[4:5], s[0:1], s[4:5]
	global_store_b32 v5, v3, s[4:5]
.LBB31_9:
	s_wait_alu 0xfffe
	s_or_b32 exec_lo, exec_lo, s2
	ds_bpermute_b32 v3, v0, v4
	s_wait_dscnt 0x0
	v_add_f32_e32 v3, v4, v3
	ds_bpermute_b32 v4, v1, v3
	s_wait_dscnt 0x0
	v_add_f32_e32 v3, v3, v4
	;; [unrolled: 3-line block ×4, first 2 shown]
	ds_bpermute_b32 v4, v8, v3
	s_and_saveexec_b32 s2, vcc_lo
	s_cbranch_execz .LBB31_11
; %bb.10:
	s_lshl_b32 s4, s6, 1
	s_mov_b32 s5, 0
	s_wait_dscnt 0x0
	v_dual_add_f32 v3, v3, v4 :: v_dual_mov_b32 v4, 0
	s_wait_alu 0xfffe
	s_lshl_b64 s[4:5], s[4:5], 2
	s_wait_alu 0xfffe
	s_add_nc_u64 s[4:5], s[0:1], s[4:5]
	global_store_b32 v4, v3, s[4:5]
.LBB31_11:
	s_wait_alu 0xfffe
	s_or_b32 exec_lo, exec_lo, s2
	ds_bpermute_b32 v0, v0, v2
	s_wait_dscnt 0x0
	v_add_f32_e32 v0, v2, v0
	ds_bpermute_b32 v1, v1, v0
	s_wait_dscnt 0x0
	v_add_f32_e32 v0, v0, v1
	;; [unrolled: 3-line block ×4, first 2 shown]
	ds_bpermute_b32 v1, v8, v0
	s_and_b32 exec_lo, exec_lo, vcc_lo
	s_cbranch_execz .LBB31_13
; %bb.12:
	s_mul_i32 s2, s6, 3
	s_mov_b32 s3, 0
	s_wait_dscnt 0x0
	v_dual_add_f32 v0, v0, v1 :: v_dual_mov_b32 v1, 0
	s_wait_alu 0xfffe
	s_lshl_b64 s[2:3], s[2:3], 2
	s_wait_alu 0xfffe
	s_add_nc_u64 s[0:1], s[0:1], s[2:3]
	global_store_b32 v1, v0, s[0:1]
.LBB31_13:
	s_endpgm
	.section	.rodata,"a",@progbits
	.p2align	6, 0x0
	.amdhsa_kernel _ZL13mul_mat_vec_qIL9ggml_type3ELi4ELb0ELb0EEvPKvS2_PKi31ggml_cuda_mm_fusion_args_devicePfj15HIP_vector_typeIjLj3EEjjjS8_jjjS8_jjjj
		.amdhsa_group_segment_fixed_size 0
		.amdhsa_private_segment_fixed_size 0
		.amdhsa_kernarg_size 144
		.amdhsa_user_sgpr_count 2
		.amdhsa_user_sgpr_dispatch_ptr 0
		.amdhsa_user_sgpr_queue_ptr 0
		.amdhsa_user_sgpr_kernarg_segment_ptr 1
		.amdhsa_user_sgpr_dispatch_id 0
		.amdhsa_user_sgpr_private_segment_size 0
		.amdhsa_wavefront_size32 1
		.amdhsa_uses_dynamic_stack 0
		.amdhsa_enable_private_segment 0
		.amdhsa_system_sgpr_workgroup_id_x 1
		.amdhsa_system_sgpr_workgroup_id_y 1
		.amdhsa_system_sgpr_workgroup_id_z 1
		.amdhsa_system_sgpr_workgroup_info 0
		.amdhsa_system_vgpr_workitem_id 1
		.amdhsa_next_free_vgpr 38
		.amdhsa_next_free_sgpr 30
		.amdhsa_reserve_vcc 1
		.amdhsa_float_round_mode_32 0
		.amdhsa_float_round_mode_16_64 0
		.amdhsa_float_denorm_mode_32 3
		.amdhsa_float_denorm_mode_16_64 3
		.amdhsa_fp16_overflow 0
		.amdhsa_workgroup_processor_mode 1
		.amdhsa_memory_ordered 1
		.amdhsa_forward_progress 1
		.amdhsa_inst_pref_size 14
		.amdhsa_round_robin_scheduling 0
		.amdhsa_exception_fp_ieee_invalid_op 0
		.amdhsa_exception_fp_denorm_src 0
		.amdhsa_exception_fp_ieee_div_zero 0
		.amdhsa_exception_fp_ieee_overflow 0
		.amdhsa_exception_fp_ieee_underflow 0
		.amdhsa_exception_fp_ieee_inexact 0
		.amdhsa_exception_int_div_zero 0
	.end_amdhsa_kernel
	.section	.text._ZL13mul_mat_vec_qIL9ggml_type3ELi4ELb0ELb0EEvPKvS2_PKi31ggml_cuda_mm_fusion_args_devicePfj15HIP_vector_typeIjLj3EEjjjS8_jjjS8_jjjj,"axG",@progbits,_ZL13mul_mat_vec_qIL9ggml_type3ELi4ELb0ELb0EEvPKvS2_PKi31ggml_cuda_mm_fusion_args_devicePfj15HIP_vector_typeIjLj3EEjjjS8_jjjS8_jjjj,comdat
.Lfunc_end31:
	.size	_ZL13mul_mat_vec_qIL9ggml_type3ELi4ELb0ELb0EEvPKvS2_PKi31ggml_cuda_mm_fusion_args_devicePfj15HIP_vector_typeIjLj3EEjjjS8_jjjS8_jjjj, .Lfunc_end31-_ZL13mul_mat_vec_qIL9ggml_type3ELi4ELb0ELb0EEvPKvS2_PKi31ggml_cuda_mm_fusion_args_devicePfj15HIP_vector_typeIjLj3EEjjjS8_jjjS8_jjjj
                                        ; -- End function
	.set _ZL13mul_mat_vec_qIL9ggml_type3ELi4ELb0ELb0EEvPKvS2_PKi31ggml_cuda_mm_fusion_args_devicePfj15HIP_vector_typeIjLj3EEjjjS8_jjjS8_jjjj.num_vgpr, 38
	.set _ZL13mul_mat_vec_qIL9ggml_type3ELi4ELb0ELb0EEvPKvS2_PKi31ggml_cuda_mm_fusion_args_devicePfj15HIP_vector_typeIjLj3EEjjjS8_jjjS8_jjjj.num_agpr, 0
	.set _ZL13mul_mat_vec_qIL9ggml_type3ELi4ELb0ELb0EEvPKvS2_PKi31ggml_cuda_mm_fusion_args_devicePfj15HIP_vector_typeIjLj3EEjjjS8_jjjS8_jjjj.numbered_sgpr, 30
	.set _ZL13mul_mat_vec_qIL9ggml_type3ELi4ELb0ELb0EEvPKvS2_PKi31ggml_cuda_mm_fusion_args_devicePfj15HIP_vector_typeIjLj3EEjjjS8_jjjS8_jjjj.num_named_barrier, 0
	.set _ZL13mul_mat_vec_qIL9ggml_type3ELi4ELb0ELb0EEvPKvS2_PKi31ggml_cuda_mm_fusion_args_devicePfj15HIP_vector_typeIjLj3EEjjjS8_jjjS8_jjjj.private_seg_size, 0
	.set _ZL13mul_mat_vec_qIL9ggml_type3ELi4ELb0ELb0EEvPKvS2_PKi31ggml_cuda_mm_fusion_args_devicePfj15HIP_vector_typeIjLj3EEjjjS8_jjjS8_jjjj.uses_vcc, 1
	.set _ZL13mul_mat_vec_qIL9ggml_type3ELi4ELb0ELb0EEvPKvS2_PKi31ggml_cuda_mm_fusion_args_devicePfj15HIP_vector_typeIjLj3EEjjjS8_jjjS8_jjjj.uses_flat_scratch, 0
	.set _ZL13mul_mat_vec_qIL9ggml_type3ELi4ELb0ELb0EEvPKvS2_PKi31ggml_cuda_mm_fusion_args_devicePfj15HIP_vector_typeIjLj3EEjjjS8_jjjS8_jjjj.has_dyn_sized_stack, 0
	.set _ZL13mul_mat_vec_qIL9ggml_type3ELi4ELb0ELb0EEvPKvS2_PKi31ggml_cuda_mm_fusion_args_devicePfj15HIP_vector_typeIjLj3EEjjjS8_jjjS8_jjjj.has_recursion, 0
	.set _ZL13mul_mat_vec_qIL9ggml_type3ELi4ELb0ELb0EEvPKvS2_PKi31ggml_cuda_mm_fusion_args_devicePfj15HIP_vector_typeIjLj3EEjjjS8_jjjS8_jjjj.has_indirect_call, 0
	.section	.AMDGPU.csdata,"",@progbits
; Kernel info:
; codeLenInByte = 1776
; TotalNumSgprs: 32
; NumVgprs: 38
; ScratchSize: 0
; MemoryBound: 0
; FloatMode: 240
; IeeeMode: 1
; LDSByteSize: 0 bytes/workgroup (compile time only)
; SGPRBlocks: 0
; VGPRBlocks: 4
; NumSGPRsForWavesPerEU: 32
; NumVGPRsForWavesPerEU: 38
; Occupancy: 16
; WaveLimiterHint : 0
; COMPUTE_PGM_RSRC2:SCRATCH_EN: 0
; COMPUTE_PGM_RSRC2:USER_SGPR: 2
; COMPUTE_PGM_RSRC2:TRAP_HANDLER: 0
; COMPUTE_PGM_RSRC2:TGID_X_EN: 1
; COMPUTE_PGM_RSRC2:TGID_Y_EN: 1
; COMPUTE_PGM_RSRC2:TGID_Z_EN: 1
; COMPUTE_PGM_RSRC2:TIDIG_COMP_CNT: 1
	.section	.text._ZL13mul_mat_vec_qIL9ggml_type3ELi5ELb0ELb0EEvPKvS2_PKi31ggml_cuda_mm_fusion_args_devicePfj15HIP_vector_typeIjLj3EEjjjS8_jjjS8_jjjj,"axG",@progbits,_ZL13mul_mat_vec_qIL9ggml_type3ELi5ELb0ELb0EEvPKvS2_PKi31ggml_cuda_mm_fusion_args_devicePfj15HIP_vector_typeIjLj3EEjjjS8_jjjS8_jjjj,comdat
	.globl	_ZL13mul_mat_vec_qIL9ggml_type3ELi5ELb0ELb0EEvPKvS2_PKi31ggml_cuda_mm_fusion_args_devicePfj15HIP_vector_typeIjLj3EEjjjS8_jjjS8_jjjj ; -- Begin function _ZL13mul_mat_vec_qIL9ggml_type3ELi5ELb0ELb0EEvPKvS2_PKi31ggml_cuda_mm_fusion_args_devicePfj15HIP_vector_typeIjLj3EEjjjS8_jjjS8_jjjj
	.p2align	8
	.type	_ZL13mul_mat_vec_qIL9ggml_type3ELi5ELb0ELb0EEvPKvS2_PKi31ggml_cuda_mm_fusion_args_devicePfj15HIP_vector_typeIjLj3EEjjjS8_jjjS8_jjjj,@function
_ZL13mul_mat_vec_qIL9ggml_type3ELi5ELb0ELb0EEvPKvS2_PKi31ggml_cuda_mm_fusion_args_devicePfj15HIP_vector_typeIjLj3EEjjjS8_jjjS8_jjjj: ; @_ZL13mul_mat_vec_qIL9ggml_type3ELi5ELb0ELb0EEvPKvS2_PKi31ggml_cuda_mm_fusion_args_devicePfj15HIP_vector_typeIjLj3EEjjjS8_jjjS8_jjjj
; %bb.0:
	v_bfe_u32 v7, v0, 10, 10
	s_clause 0x5
	s_load_b32 s2, s[0:1], 0x40
	s_load_b96 s[16:18], s[0:1], 0x80
	s_load_b128 s[4:7], s[0:1], 0x50
	s_load_b32 s23, s[0:1], 0x60
	s_load_b128 s[8:11], s[0:1], 0x68
	s_load_b32 s24, s[0:1], 0x78
	v_dual_mov_b32 v2, 0 :: v_dual_and_b32 v3, 0x3ff, v0
	v_dual_mov_b32 v5, 0 :: v_dual_lshlrev_b32 v0, 5, v7
	v_mov_b32_e32 v4, 0
	v_mov_b32_e32 v6, 0
	s_and_b32 s19, ttmp7, 0xffff
	s_delay_alu instid0(VALU_DEP_3) | instskip(SKIP_3) | instid1(VALU_DEP_2)
	v_add_nc_u16 v0, v0, v3
	s_lshr_b32 s20, ttmp7, 16
	s_mov_b32 s21, exec_lo
	v_mov_b32_e32 v9, 0
	v_lshrrev_b16 v0, 1, v0
	s_delay_alu instid0(VALU_DEP_1)
	v_and_b32_e32 v8, 0xffff, v0
	s_wait_kmcnt 0x0
	s_lshr_b32 s22, s2, 5
	s_delay_alu instid0(VALU_DEP_1) | instid1(SALU_CYCLE_1)
	v_cmpx_gt_u32_e64 s22, v8
	s_cbranch_execz .LBB32_4
; %bb.1:
	s_load_b128 s[12:15], s[0:1], 0x0
	s_mul_i32 s2, s17, s20
	s_mov_b32 s3, 0
	s_mul_hi_u32 s7, s7, s19
	s_mul_hi_u32 s11, s11, s20
	s_mul_u64 s[26:27], s[2:3], 36
	s_mul_i32 s2, s9, s19
	s_add_co_i32 s7, s19, s7
	v_dual_mov_b32 v2, 0 :: v_dual_lshlrev_b32 v1, 1, v3
	s_add_co_i32 s9, s20, s11
	s_mul_u64 s[28:29], s[2:3], 36
	s_lshr_b32 s2, s7, s23
	v_dual_mov_b32 v9, 0 :: v_dual_and_b32 v0, 0xffff, v0
	s_lshr_b32 s7, s9, s24
	s_mul_i32 s2, s2, s8
	v_and_b32_e32 v4, 1, v3
	v_and_b32_e32 v5, 2, v1
	s_mul_i32 s4, s4, ttmp9
	s_wait_kmcnt 0x0
	s_add_nc_u64 s[8:9], s[14:15], s[26:27]
	v_mov_b32_e32 v6, 0
	s_add_nc_u64 s[8:9], s[8:9], s[28:29]
	v_lshlrev_b32_e32 v11, 2, v5
	v_mad_co_u64_u32 v[0:1], null, v0, 36, s[8:9]
	v_dual_mov_b32 v5, 0 :: v_dual_lshlrev_b32 v10, 3, v4
	v_mov_b32_e32 v4, 0
	s_mul_i32 s7, s7, s16
	s_add_co_i32 s2, s2, s4
	s_lshl_b32 s4, s5, 1
	s_add_co_i32 s2, s7, s2
	s_mul_i32 s7, s5, 3
	s_lshl_b32 s11, s5, 2
.LBB32_2:                               ; =>This Inner Loop Header: Depth=1
	v_add_nc_u32_e32 v14, s2, v8
	v_add_nc_u32_e32 v18, s5, v8
	;; [unrolled: 1-line block ×5, first 2 shown]
	v_mad_co_i64_i32 v[14:15], null, v14, 20, s[12:13]
	v_mad_co_u64_u32 v[18:19], null, v18, 36, s[8:9]
	v_mad_co_u64_u32 v[20:21], null, v20, 36, s[8:9]
	v_add_co_u32 v12, vcc_lo, v0, v10
	v_mad_co_u64_u32 v[22:23], null, v22, 36, s[8:9]
	s_wait_alu 0xfffd
	v_add_co_ci_u32_e64 v13, null, 0, v1, vcc_lo
	v_mad_co_u64_u32 v[24:25], null, v24, 36, s[8:9]
	v_add_co_u32 v26, vcc_lo, v14, v11
	global_load_b32 v36, v[0:1], off
	s_wait_alu 0xfffd
	v_add_co_ci_u32_e64 v27, null, 0, v15, vcc_lo
	v_add_co_u32 v28, vcc_lo, v18, v11
	s_wait_alu 0xfffd
	v_add_co_ci_u32_e64 v29, null, 0, v19, vcc_lo
	v_add_co_u32 v30, vcc_lo, v20, v11
	s_wait_alu 0xfffd
	v_add_co_ci_u32_e64 v31, null, 0, v21, vcc_lo
	v_add_co_u32 v32, vcc_lo, v22, v11
	s_clause 0x1
	global_load_b64 v[16:17], v[12:13], off offset:4
	global_load_b64 v[12:13], v[12:13], off offset:20
	s_wait_alu 0xfffd
	v_add_co_ci_u32_e64 v33, null, 0, v23, vcc_lo
	v_add_co_u32 v34, vcc_lo, v24, v11
	s_wait_alu 0xfffd
	v_add_co_ci_u32_e64 v35, null, 0, v25, vcc_lo
	s_clause 0x1
	global_load_b64 v[26:27], v[26:27], off offset:4
	global_load_b32 v37, v[14:15], off
	s_clause 0xb
	global_load_b64 v[14:15], v[28:29], off offset:20
	global_load_b32 v38, v[20:21], off
	global_load_b32 v39, v[18:19], off
	;; [unrolled: 1-line block ×3, first 2 shown]
	global_load_b64 v[18:19], v[34:35], off offset:20
	global_load_b32 v41, v[24:25], off
	global_load_b64 v[20:21], v[28:29], off offset:4
	global_load_b64 v[22:23], v[30:31], off offset:4
	global_load_b64 v[24:25], v[32:33], off offset:4
	global_load_b64 v[28:29], v[34:35], off offset:4
	global_load_b64 v[30:31], v[30:31], off offset:20
	global_load_b64 v[32:33], v[32:33], off offset:20
	v_add_nc_u32_e32 v8, 16, v8
	v_add_co_u32 v0, vcc_lo, 0x240, v0
	s_wait_alu 0xfffd
	v_add_co_ci_u32_e64 v1, null, 0, v1, vcc_lo
	s_delay_alu instid0(VALU_DEP_3)
	v_cmp_le_u32_e32 vcc_lo, s22, v8
	s_or_b32 s3, vcc_lo, s3
	s_wait_loadcnt 0xd
	v_and_b32_e32 v34, 0xf0f0f0f, v26
	v_lshrrev_b32_e32 v26, 4, v26
	s_wait_loadcnt 0xc
	v_pk_mul_f16 v36, v37, v36
	s_wait_loadcnt 0xa
	v_pk_mul_f16 v38, v37, v38
	s_wait_loadcnt 0x9
	v_pk_mul_f16 v39, v37, v39
	s_wait_loadcnt 0x8
	v_pk_mul_f16 v40, v37, v40
	v_and_b32_e32 v26, 0xf0f0f0f, v26
	s_wait_loadcnt 0x6
	v_pk_mul_f16 v37, v37, v41
	v_dot4_i32_iu8 v16, v34, v16, 0 neg_lo:[1,1,0]
	v_lshrrev_b32_e32 v41, 16, v36
	s_wait_loadcnt 0x5
	v_dot4_i32_iu8 v20, v34, v20, 0 neg_lo:[1,1,0]
	v_lshrrev_b32_e32 v42, 16, v39
	v_lshrrev_b32_e32 v44, 16, v40
	v_dot4_i32_iu8 v12, v26, v12, v16 neg_lo:[1,1,0]
	v_cvt_f32_f16_e32 v16, v41
	v_and_b32_e32 v35, 0xf0f0f0f, v27
	v_dot4_i32_iu8 v14, v26, v14, v20 neg_lo:[1,1,0]
	v_cvt_f32_f16_e32 v20, v42
	v_lshrrev_b32_e32 v27, 4, v27
	v_mul_f32_e32 v16, 0.5, v16
	v_dot4_i32_iu8 v12, v35, v17, v12 neg_lo:[1,1,0]
	v_lshrrev_b32_e32 v43, 16, v38
	v_mul_f32_e32 v17, 0.5, v20
	s_wait_loadcnt 0x4
	v_dot4_i32_iu8 v22, v34, v22, 0 neg_lo:[1,1,0]
	s_wait_loadcnt 0x3
	v_dot4_i32_iu8 v24, v34, v24, 0 neg_lo:[1,1,0]
	;; [unrolled: 2-line block ×3, first 2 shown]
	v_lshrrev_b32_e32 v34, 16, v37
	v_dot4_i32_iu8 v14, v35, v21, v14 neg_lo:[1,1,0]
	s_wait_loadcnt 0x1
	v_dot4_i32_iu8 v22, v26, v30, v22 neg_lo:[1,1,0]
	s_wait_loadcnt 0x0
	v_dot4_i32_iu8 v24, v26, v32, v24 neg_lo:[1,1,0]
	v_cvt_f32_f16_e32 v32, v44
	v_cvt_f32_f16_e32 v30, v43
	v_dot4_i32_iu8 v20, v35, v23, v22 neg_lo:[1,1,0]
	s_delay_alu instid0(VALU_DEP_4) | instskip(NEXT) | instid1(VALU_DEP_4)
	v_dot4_i32_iu8 v22, v35, v25, v24 neg_lo:[1,1,0]
	v_mul_f32_e32 v23, 0.5, v32
	v_dot4_i32_iu8 v18, v26, v18, v28 neg_lo:[1,1,0]
	v_cvt_f32_f16_e32 v26, v34
	v_and_b32_e32 v27, 0xf0f0f0f, v27
	v_mul_f32_e32 v21, 0.5, v30
	s_delay_alu instid0(VALU_DEP_4) | instskip(NEXT) | instid1(VALU_DEP_4)
	v_dot4_i32_iu8 v18, v35, v29, v18 neg_lo:[1,1,0]
	v_mul_f32_e32 v24, 0.5, v26
	s_delay_alu instid0(VALU_DEP_4)
	v_dot4_i32_iu8 v12, v27, v13, v12 neg_lo:[1,1,0]
	v_dot4_i32_iu8 v13, v27, v15, v14 neg_lo:[1,1,0]
	;; [unrolled: 1-line block ×5, first 2 shown]
	v_cvt_f32_i32_e32 v12, v12
	v_cvt_f32_i32_e32 v13, v13
	;; [unrolled: 1-line block ×5, first 2 shown]
	v_fma_mix_f32 v12, v12, v36, v16 op_sel_hi:[0,1,0]
	v_fma_mix_f32 v13, v13, v39, v17 op_sel_hi:[0,1,0]
	;; [unrolled: 1-line block ×5, first 2 shown]
	s_delay_alu instid0(VALU_DEP_4) | instskip(NEXT) | instid1(VALU_DEP_3)
	v_dual_add_f32 v9, v9, v12 :: v_dual_add_f32 v6, v6, v13
	v_dual_add_f32 v5, v5, v14 :: v_dual_add_f32 v4, v4, v15
	s_delay_alu instid0(VALU_DEP_3)
	v_add_f32_e32 v2, v2, v16
	s_wait_alu 0xfffe
	s_and_not1_b32 exec_lo, exec_lo, s3
	s_cbranch_execnz .LBB32_2
; %bb.3:
	s_or_b32 exec_lo, exec_lo, s3
.LBB32_4:
	s_delay_alu instid0(SALU_CYCLE_1)
	s_or_b32 exec_lo, exec_lo, s21
	s_mov_b32 s3, 0
	; wave barrier
	global_inv scope:SCOPE_SE
	s_mov_b32 s2, exec_lo
	v_cmpx_eq_u32_e32 0, v7
	s_cbranch_execz .LBB32_15
; %bb.5:
	v_mbcnt_lo_u32_b32 v10, -1, 0
	s_load_b64 s[0:1], s[0:1], 0x38
	s_mul_i32 s2, s10, s19
	s_mul_i32 s4, s18, s20
	s_wait_alu 0xfffe
	s_add_co_i32 s2, s2, ttmp9
	v_xor_b32_e32 v0, 16, v10
	v_xor_b32_e32 v1, 8, v10
	s_wait_alu 0xfffe
	s_add_co_i32 s2, s2, s4
	s_wait_alu 0xfffe
	s_lshl_b64 s[2:3], s[2:3], 2
	v_cmp_gt_i32_e32 vcc_lo, 32, v0
	s_wait_alu 0xfffd
	v_cndmask_b32_e32 v0, v10, v0, vcc_lo
	v_cmp_gt_i32_e32 vcc_lo, 32, v1
	s_wait_alu 0xfffd
	v_cndmask_b32_e32 v1, v10, v1, vcc_lo
	s_wait_kmcnt 0x0
	s_wait_alu 0xfffe
	s_add_nc_u64 s[0:1], s[0:1], s[2:3]
	s_delay_alu instid0(VALU_DEP_1)
	v_lshlrev_b32_e32 v1, 2, v1
	v_lshlrev_b32_e32 v0, 2, v0
	ds_bpermute_b32 v7, v0, v9
	s_wait_dscnt 0x0
	v_add_f32_e32 v8, v9, v7
	v_xor_b32_e32 v7, 4, v10
	ds_bpermute_b32 v9, v1, v8
	v_cmp_gt_i32_e32 vcc_lo, 32, v7
	s_wait_alu 0xfffd
	v_cndmask_b32_e32 v7, v10, v7, vcc_lo
	s_wait_dscnt 0x0
	v_add_f32_e32 v9, v8, v9
	v_xor_b32_e32 v8, 2, v10
	s_delay_alu instid0(VALU_DEP_1) | instskip(SKIP_2) | instid1(VALU_DEP_1)
	v_cmp_gt_i32_e32 vcc_lo, 32, v8
	s_wait_alu 0xfffd
	v_dual_cndmask_b32 v8, v10, v8 :: v_dual_lshlrev_b32 v7, 2, v7
	v_lshlrev_b32_e32 v8, 2, v8
	ds_bpermute_b32 v11, v7, v9
	s_wait_dscnt 0x0
	v_add_f32_e32 v11, v9, v11
	v_xor_b32_e32 v9, 1, v10
	ds_bpermute_b32 v12, v8, v11
	v_cmp_gt_i32_e32 vcc_lo, 32, v9
	s_wait_alu 0xfffd
	v_cndmask_b32_e32 v9, v10, v9, vcc_lo
	v_cmp_eq_u32_e32 vcc_lo, 0, v3
	s_wait_dscnt 0x0
	s_delay_alu instid0(VALU_DEP_2)
	v_dual_add_f32 v10, v11, v12 :: v_dual_lshlrev_b32 v9, 2, v9
	ds_bpermute_b32 v11, v9, v10
	s_and_saveexec_b32 s2, vcc_lo
	s_cbranch_execz .LBB32_7
; %bb.6:
	s_wait_dscnt 0x0
	v_dual_add_f32 v3, v10, v11 :: v_dual_mov_b32 v10, 0
	global_store_b32 v10, v3, s[0:1]
.LBB32_7:
	s_wait_alu 0xfffe
	s_or_b32 exec_lo, exec_lo, s2
	ds_bpermute_b32 v3, v0, v6
	s_wait_dscnt 0x0
	v_add_f32_e32 v3, v6, v3
	ds_bpermute_b32 v6, v1, v3
	s_wait_dscnt 0x0
	v_add_f32_e32 v3, v3, v6
	;; [unrolled: 3-line block ×4, first 2 shown]
	ds_bpermute_b32 v6, v9, v3
	s_and_saveexec_b32 s2, vcc_lo
	s_cbranch_execz .LBB32_9
; %bb.8:
	s_mov_b32 s7, 0
	s_wait_dscnt 0x0
	v_dual_add_f32 v3, v3, v6 :: v_dual_mov_b32 v6, 0
	s_wait_alu 0xfffe
	s_lshl_b64 s[4:5], s[6:7], 2
	s_wait_alu 0xfffe
	s_add_nc_u64 s[4:5], s[0:1], s[4:5]
	global_store_b32 v6, v3, s[4:5]
.LBB32_9:
	s_wait_alu 0xfffe
	s_or_b32 exec_lo, exec_lo, s2
	ds_bpermute_b32 v3, v0, v5
	s_wait_dscnt 0x0
	v_add_f32_e32 v3, v5, v3
	ds_bpermute_b32 v5, v1, v3
	s_wait_dscnt 0x0
	v_add_f32_e32 v3, v3, v5
	;; [unrolled: 3-line block ×4, first 2 shown]
	ds_bpermute_b32 v5, v9, v3
	s_and_saveexec_b32 s2, vcc_lo
	s_cbranch_execz .LBB32_11
; %bb.10:
	s_lshl_b32 s4, s6, 1
	s_mov_b32 s5, 0
	s_wait_dscnt 0x0
	v_add_f32_e32 v3, v3, v5
	v_mov_b32_e32 v5, 0
	s_wait_alu 0xfffe
	s_lshl_b64 s[4:5], s[4:5], 2
	s_wait_alu 0xfffe
	s_add_nc_u64 s[4:5], s[0:1], s[4:5]
	global_store_b32 v5, v3, s[4:5]
.LBB32_11:
	s_wait_alu 0xfffe
	s_or_b32 exec_lo, exec_lo, s2
	ds_bpermute_b32 v3, v0, v4
	s_wait_dscnt 0x0
	v_add_f32_e32 v3, v4, v3
	ds_bpermute_b32 v4, v1, v3
	s_wait_dscnt 0x0
	v_add_f32_e32 v3, v3, v4
	;; [unrolled: 3-line block ×4, first 2 shown]
	ds_bpermute_b32 v4, v9, v3
	s_and_saveexec_b32 s2, vcc_lo
	s_cbranch_execz .LBB32_13
; %bb.12:
	s_mul_i32 s4, s6, 3
	s_mov_b32 s5, 0
	s_wait_dscnt 0x0
	v_dual_add_f32 v3, v3, v4 :: v_dual_mov_b32 v4, 0
	s_wait_alu 0xfffe
	s_lshl_b64 s[4:5], s[4:5], 2
	s_wait_alu 0xfffe
	s_add_nc_u64 s[4:5], s[0:1], s[4:5]
	global_store_b32 v4, v3, s[4:5]
.LBB32_13:
	s_wait_alu 0xfffe
	s_or_b32 exec_lo, exec_lo, s2
	ds_bpermute_b32 v0, v0, v2
	s_wait_dscnt 0x0
	v_add_f32_e32 v0, v2, v0
	ds_bpermute_b32 v1, v1, v0
	s_wait_dscnt 0x0
	v_add_f32_e32 v0, v0, v1
	;; [unrolled: 3-line block ×4, first 2 shown]
	ds_bpermute_b32 v1, v9, v0
	s_and_b32 exec_lo, exec_lo, vcc_lo
	s_cbranch_execz .LBB32_15
; %bb.14:
	s_lshl_b32 s2, s6, 2
	s_mov_b32 s3, 0
	s_wait_dscnt 0x0
	v_dual_add_f32 v0, v0, v1 :: v_dual_mov_b32 v1, 0
	s_wait_alu 0xfffe
	s_lshl_b64 s[2:3], s[2:3], 2
	s_wait_alu 0xfffe
	s_add_nc_u64 s[0:1], s[0:1], s[2:3]
	global_store_b32 v1, v0, s[0:1]
.LBB32_15:
	s_endpgm
	.section	.rodata,"a",@progbits
	.p2align	6, 0x0
	.amdhsa_kernel _ZL13mul_mat_vec_qIL9ggml_type3ELi5ELb0ELb0EEvPKvS2_PKi31ggml_cuda_mm_fusion_args_devicePfj15HIP_vector_typeIjLj3EEjjjS8_jjjS8_jjjj
		.amdhsa_group_segment_fixed_size 0
		.amdhsa_private_segment_fixed_size 0
		.amdhsa_kernarg_size 144
		.amdhsa_user_sgpr_count 2
		.amdhsa_user_sgpr_dispatch_ptr 0
		.amdhsa_user_sgpr_queue_ptr 0
		.amdhsa_user_sgpr_kernarg_segment_ptr 1
		.amdhsa_user_sgpr_dispatch_id 0
		.amdhsa_user_sgpr_private_segment_size 0
		.amdhsa_wavefront_size32 1
		.amdhsa_uses_dynamic_stack 0
		.amdhsa_enable_private_segment 0
		.amdhsa_system_sgpr_workgroup_id_x 1
		.amdhsa_system_sgpr_workgroup_id_y 1
		.amdhsa_system_sgpr_workgroup_id_z 1
		.amdhsa_system_sgpr_workgroup_info 0
		.amdhsa_system_vgpr_workitem_id 1
		.amdhsa_next_free_vgpr 45
		.amdhsa_next_free_sgpr 30
		.amdhsa_reserve_vcc 1
		.amdhsa_float_round_mode_32 0
		.amdhsa_float_round_mode_16_64 0
		.amdhsa_float_denorm_mode_32 3
		.amdhsa_float_denorm_mode_16_64 3
		.amdhsa_fp16_overflow 0
		.amdhsa_workgroup_processor_mode 1
		.amdhsa_memory_ordered 1
		.amdhsa_forward_progress 1
		.amdhsa_inst_pref_size 17
		.amdhsa_round_robin_scheduling 0
		.amdhsa_exception_fp_ieee_invalid_op 0
		.amdhsa_exception_fp_denorm_src 0
		.amdhsa_exception_fp_ieee_div_zero 0
		.amdhsa_exception_fp_ieee_overflow 0
		.amdhsa_exception_fp_ieee_underflow 0
		.amdhsa_exception_fp_ieee_inexact 0
		.amdhsa_exception_int_div_zero 0
	.end_amdhsa_kernel
	.section	.text._ZL13mul_mat_vec_qIL9ggml_type3ELi5ELb0ELb0EEvPKvS2_PKi31ggml_cuda_mm_fusion_args_devicePfj15HIP_vector_typeIjLj3EEjjjS8_jjjS8_jjjj,"axG",@progbits,_ZL13mul_mat_vec_qIL9ggml_type3ELi5ELb0ELb0EEvPKvS2_PKi31ggml_cuda_mm_fusion_args_devicePfj15HIP_vector_typeIjLj3EEjjjS8_jjjS8_jjjj,comdat
.Lfunc_end32:
	.size	_ZL13mul_mat_vec_qIL9ggml_type3ELi5ELb0ELb0EEvPKvS2_PKi31ggml_cuda_mm_fusion_args_devicePfj15HIP_vector_typeIjLj3EEjjjS8_jjjS8_jjjj, .Lfunc_end32-_ZL13mul_mat_vec_qIL9ggml_type3ELi5ELb0ELb0EEvPKvS2_PKi31ggml_cuda_mm_fusion_args_devicePfj15HIP_vector_typeIjLj3EEjjjS8_jjjS8_jjjj
                                        ; -- End function
	.set _ZL13mul_mat_vec_qIL9ggml_type3ELi5ELb0ELb0EEvPKvS2_PKi31ggml_cuda_mm_fusion_args_devicePfj15HIP_vector_typeIjLj3EEjjjS8_jjjS8_jjjj.num_vgpr, 45
	.set _ZL13mul_mat_vec_qIL9ggml_type3ELi5ELb0ELb0EEvPKvS2_PKi31ggml_cuda_mm_fusion_args_devicePfj15HIP_vector_typeIjLj3EEjjjS8_jjjS8_jjjj.num_agpr, 0
	.set _ZL13mul_mat_vec_qIL9ggml_type3ELi5ELb0ELb0EEvPKvS2_PKi31ggml_cuda_mm_fusion_args_devicePfj15HIP_vector_typeIjLj3EEjjjS8_jjjS8_jjjj.numbered_sgpr, 30
	.set _ZL13mul_mat_vec_qIL9ggml_type3ELi5ELb0ELb0EEvPKvS2_PKi31ggml_cuda_mm_fusion_args_devicePfj15HIP_vector_typeIjLj3EEjjjS8_jjjS8_jjjj.num_named_barrier, 0
	.set _ZL13mul_mat_vec_qIL9ggml_type3ELi5ELb0ELb0EEvPKvS2_PKi31ggml_cuda_mm_fusion_args_devicePfj15HIP_vector_typeIjLj3EEjjjS8_jjjS8_jjjj.private_seg_size, 0
	.set _ZL13mul_mat_vec_qIL9ggml_type3ELi5ELb0ELb0EEvPKvS2_PKi31ggml_cuda_mm_fusion_args_devicePfj15HIP_vector_typeIjLj3EEjjjS8_jjjS8_jjjj.uses_vcc, 1
	.set _ZL13mul_mat_vec_qIL9ggml_type3ELi5ELb0ELb0EEvPKvS2_PKi31ggml_cuda_mm_fusion_args_devicePfj15HIP_vector_typeIjLj3EEjjjS8_jjjS8_jjjj.uses_flat_scratch, 0
	.set _ZL13mul_mat_vec_qIL9ggml_type3ELi5ELb0ELb0EEvPKvS2_PKi31ggml_cuda_mm_fusion_args_devicePfj15HIP_vector_typeIjLj3EEjjjS8_jjjS8_jjjj.has_dyn_sized_stack, 0
	.set _ZL13mul_mat_vec_qIL9ggml_type3ELi5ELb0ELb0EEvPKvS2_PKi31ggml_cuda_mm_fusion_args_devicePfj15HIP_vector_typeIjLj3EEjjjS8_jjjS8_jjjj.has_recursion, 0
	.set _ZL13mul_mat_vec_qIL9ggml_type3ELi5ELb0ELb0EEvPKvS2_PKi31ggml_cuda_mm_fusion_args_devicePfj15HIP_vector_typeIjLj3EEjjjS8_jjjS8_jjjj.has_indirect_call, 0
	.section	.AMDGPU.csdata,"",@progbits
; Kernel info:
; codeLenInByte = 2076
; TotalNumSgprs: 32
; NumVgprs: 45
; ScratchSize: 0
; MemoryBound: 0
; FloatMode: 240
; IeeeMode: 1
; LDSByteSize: 0 bytes/workgroup (compile time only)
; SGPRBlocks: 0
; VGPRBlocks: 5
; NumSGPRsForWavesPerEU: 32
; NumVGPRsForWavesPerEU: 45
; Occupancy: 16
; WaveLimiterHint : 0
; COMPUTE_PGM_RSRC2:SCRATCH_EN: 0
; COMPUTE_PGM_RSRC2:USER_SGPR: 2
; COMPUTE_PGM_RSRC2:TRAP_HANDLER: 0
; COMPUTE_PGM_RSRC2:TGID_X_EN: 1
; COMPUTE_PGM_RSRC2:TGID_Y_EN: 1
; COMPUTE_PGM_RSRC2:TGID_Z_EN: 1
; COMPUTE_PGM_RSRC2:TIDIG_COMP_CNT: 1
	.section	.text._ZL13mul_mat_vec_qIL9ggml_type3ELi6ELb0ELb0EEvPKvS2_PKi31ggml_cuda_mm_fusion_args_devicePfj15HIP_vector_typeIjLj3EEjjjS8_jjjS8_jjjj,"axG",@progbits,_ZL13mul_mat_vec_qIL9ggml_type3ELi6ELb0ELb0EEvPKvS2_PKi31ggml_cuda_mm_fusion_args_devicePfj15HIP_vector_typeIjLj3EEjjjS8_jjjS8_jjjj,comdat
	.globl	_ZL13mul_mat_vec_qIL9ggml_type3ELi6ELb0ELb0EEvPKvS2_PKi31ggml_cuda_mm_fusion_args_devicePfj15HIP_vector_typeIjLj3EEjjjS8_jjjS8_jjjj ; -- Begin function _ZL13mul_mat_vec_qIL9ggml_type3ELi6ELb0ELb0EEvPKvS2_PKi31ggml_cuda_mm_fusion_args_devicePfj15HIP_vector_typeIjLj3EEjjjS8_jjjS8_jjjj
	.p2align	8
	.type	_ZL13mul_mat_vec_qIL9ggml_type3ELi6ELb0ELb0EEvPKvS2_PKi31ggml_cuda_mm_fusion_args_devicePfj15HIP_vector_typeIjLj3EEjjjS8_jjjS8_jjjj,@function
_ZL13mul_mat_vec_qIL9ggml_type3ELi6ELb0ELb0EEvPKvS2_PKi31ggml_cuda_mm_fusion_args_devicePfj15HIP_vector_typeIjLj3EEjjjS8_jjjS8_jjjj: ; @_ZL13mul_mat_vec_qIL9ggml_type3ELi6ELb0ELb0EEvPKvS2_PKi31ggml_cuda_mm_fusion_args_devicePfj15HIP_vector_typeIjLj3EEjjjS8_jjjS8_jjjj
; %bb.0:
	v_bfe_u32 v7, v0, 10, 10
	s_clause 0x5
	s_load_b32 s2, s[0:1], 0x40
	s_load_b96 s[16:18], s[0:1], 0x80
	s_load_b128 s[4:7], s[0:1], 0x50
	s_load_b32 s23, s[0:1], 0x60
	s_load_b128 s[8:11], s[0:1], 0x68
	s_load_b32 s24, s[0:1], 0x78
	v_dual_mov_b32 v3, 0 :: v_dual_and_b32 v4, 0x3ff, v0
	v_dual_mov_b32 v5, 0 :: v_dual_lshlrev_b32 v0, 5, v7
	v_mov_b32_e32 v6, 0
	v_mov_b32_e32 v8, 0
	;; [unrolled: 1-line block ×3, first 2 shown]
	s_delay_alu instid0(VALU_DEP_4) | instskip(SKIP_3) | instid1(VALU_DEP_1)
	v_add_nc_u16 v0, v0, v4
	s_and_b32 s19, ttmp7, 0xffff
	s_lshr_b32 s20, ttmp7, 16
	s_mov_b32 s21, exec_lo
	v_lshrrev_b16 v0, 1, v0
	s_delay_alu instid0(VALU_DEP_1)
	v_dual_mov_b32 v2, 0 :: v_dual_and_b32 v9, 0xffff, v0
	s_wait_kmcnt 0x0
	s_lshr_b32 s22, s2, 5
	s_delay_alu instid0(VALU_DEP_1) | instid1(SALU_CYCLE_1)
	v_cmpx_gt_u32_e64 s22, v9
	s_cbranch_execz .LBB33_4
; %bb.1:
	s_load_b128 s[12:15], s[0:1], 0x0
	s_mul_i32 s2, s17, s20
	s_mov_b32 s3, 0
	s_mul_hi_u32 s7, s7, s19
	s_mul_hi_u32 s11, s11, s20
	s_mul_u64 s[26:27], s[2:3], 36
	s_mul_i32 s2, s9, s19
	s_add_co_i32 s7, s19, s7
	v_dual_mov_b32 v2, 0 :: v_dual_lshlrev_b32 v1, 1, v4
	s_add_co_i32 s9, s20, s11
	s_mul_u64 s[28:29], s[2:3], 36
	s_lshr_b32 s2, s7, s23
	v_dual_mov_b32 v6, 0 :: v_dual_and_b32 v3, 1, v4
	v_and_b32_e32 v0, 0xffff, v0
	s_lshr_b32 s7, s9, s24
	s_mul_i32 s2, s2, s8
	v_dual_mov_b32 v8, 0 :: v_dual_and_b32 v5, 2, v1
	s_wait_kmcnt 0x0
	s_add_nc_u64 s[8:9], s[14:15], s[26:27]
	v_dual_mov_b32 v10, 0 :: v_dual_lshlrev_b32 v11, 3, v3
	s_add_nc_u64 s[8:9], s[8:9], s[28:29]
	v_mov_b32_e32 v3, 0
	v_mad_co_u64_u32 v[0:1], null, v0, 36, s[8:9]
	s_mul_i32 s4, s4, ttmp9
	v_dual_mov_b32 v5, 0 :: v_dual_lshlrev_b32 v12, 2, v5
	s_mul_i32 s7, s7, s16
	s_add_co_i32 s2, s2, s4
	s_lshl_b32 s4, s5, 1
	s_add_co_i32 s2, s7, s2
	s_mul_i32 s7, s5, 3
	s_lshl_b32 s11, s5, 2
	s_mul_i32 s14, s5, 5
.LBB33_2:                               ; =>This Inner Loop Header: Depth=1
	v_add_nc_u32_e32 v15, s2, v9
	v_add_nc_u32_e32 v19, s5, v9
	;; [unrolled: 1-line block ×5, first 2 shown]
	v_mad_co_i64_i32 v[15:16], null, v15, 20, s[12:13]
	v_mad_co_u64_u32 v[19:20], null, v19, 36, s[8:9]
	v_mad_co_u64_u32 v[21:22], null, v21, 36, s[8:9]
	v_add_nc_u32_e32 v27, s14, v9
	v_add_co_u32 v13, vcc_lo, v0, v11
	v_mad_co_u64_u32 v[23:24], null, v23, 36, s[8:9]
	s_wait_alu 0xfffd
	v_add_co_ci_u32_e64 v14, null, 0, v1, vcc_lo
	v_mad_co_u64_u32 v[25:26], null, v25, 36, s[8:9]
	v_add_co_u32 v29, vcc_lo, v15, v12
	v_mad_co_u64_u32 v[27:28], null, v27, 36, s[8:9]
	s_wait_alu 0xfffd
	v_add_co_ci_u32_e64 v30, null, 0, v16, vcc_lo
	v_add_co_u32 v31, vcc_lo, v19, v12
	global_load_b32 v41, v[0:1], off
	s_wait_alu 0xfffd
	v_add_co_ci_u32_e64 v32, null, 0, v20, vcc_lo
	v_add_co_u32 v33, vcc_lo, v21, v12
	s_wait_alu 0xfffd
	v_add_co_ci_u32_e64 v34, null, 0, v22, vcc_lo
	v_add_co_u32 v35, vcc_lo, v23, v12
	;; [unrolled: 3-line block ×3, first 2 shown]
	s_clause 0x1
	global_load_b64 v[17:18], v[13:14], off offset:4
	global_load_b64 v[13:14], v[13:14], off offset:20
	s_wait_alu 0xfffd
	v_add_co_ci_u32_e64 v38, null, 0, v26, vcc_lo
	v_add_co_u32 v39, vcc_lo, v27, v12
	s_wait_alu 0xfffd
	v_add_co_ci_u32_e64 v40, null, 0, v28, vcc_lo
	s_clause 0x1
	global_load_b64 v[29:30], v[29:30], off offset:4
	global_load_b32 v42, v[15:16], off
	s_clause 0xe
	global_load_b64 v[15:16], v[31:32], off offset:20
	global_load_b32 v43, v[21:22], off
	global_load_b32 v44, v[19:20], off
	;; [unrolled: 1-line block ×3, first 2 shown]
	global_load_b64 v[19:20], v[37:38], off offset:20
	global_load_b32 v46, v[25:26], off
	global_load_b64 v[21:22], v[39:40], off offset:20
	global_load_b32 v47, v[27:28], off
	global_load_b64 v[23:24], v[31:32], off offset:4
	global_load_b64 v[25:26], v[33:34], off offset:4
	;; [unrolled: 1-line block ×7, first 2 shown]
	v_add_nc_u32_e32 v9, 16, v9
	v_add_co_u32 v0, vcc_lo, 0x240, v0
	s_wait_alu 0xfffd
	v_add_co_ci_u32_e64 v1, null, 0, v1, vcc_lo
	s_delay_alu instid0(VALU_DEP_3)
	v_cmp_le_u32_e32 vcc_lo, s22, v9
	s_or_b32 s3, vcc_lo, s3
	s_wait_loadcnt 0x10
	v_and_b32_e32 v39, 0xf0f0f0f, v29
	v_lshrrev_b32_e32 v29, 4, v29
	s_wait_loadcnt 0xf
	v_pk_mul_f16 v41, v42, v41
	s_wait_loadcnt 0xd
	v_pk_mul_f16 v43, v42, v43
	;; [unrolled: 2-line block ×4, first 2 shown]
	v_and_b32_e32 v29, 0xf0f0f0f, v29
	s_wait_loadcnt 0x9
	v_pk_mul_f16 v46, v42, v46
	v_dot4_i32_iu8 v17, v39, v17, 0 neg_lo:[1,1,0]
	s_wait_loadcnt 0x7
	v_pk_mul_f16 v42, v42, v47
	v_lshrrev_b32_e32 v47, 16, v41
	s_wait_loadcnt 0x6
	v_dot4_i32_iu8 v23, v39, v23, 0 neg_lo:[1,1,0]
	v_lshrrev_b32_e32 v48, 16, v44
	s_wait_loadcnt 0x5
	v_dot4_i32_iu8 v25, v39, v25, 0 neg_lo:[1,1,0]
	s_wait_loadcnt 0x4
	v_dot4_i32_iu8 v27, v39, v27, 0 neg_lo:[1,1,0]
	;; [unrolled: 2-line block ×3, first 2 shown]
	v_lshrrev_b32_e32 v51, 16, v46
	s_wait_loadcnt 0x2
	v_dot4_i32_iu8 v37, v39, v37, 0 neg_lo:[1,1,0]
	v_dot4_i32_iu8 v13, v29, v13, v17 neg_lo:[1,1,0]
	v_cvt_f32_f16_e32 v17, v47
	v_and_b32_e32 v40, 0xf0f0f0f, v30
	v_lshrrev_b32_e32 v30, 4, v30
	v_dot4_i32_iu8 v15, v29, v15, v23 neg_lo:[1,1,0]
	v_cvt_f32_f16_e32 v23, v48
	s_wait_loadcnt 0x1
	v_dot4_i32_iu8 v25, v29, v33, v25 neg_lo:[1,1,0]
	s_wait_loadcnt 0x0
	v_dot4_i32_iu8 v27, v29, v35, v27 neg_lo:[1,1,0]
	v_lshrrev_b32_e32 v50, 16, v45
	v_dot4_i32_iu8 v19, v29, v19, v31 neg_lo:[1,1,0]
	v_cvt_f32_f16_e32 v31, v51
	v_and_b32_e32 v30, 0xf0f0f0f, v30
	v_dot4_i32_iu8 v21, v29, v21, v37 neg_lo:[1,1,0]
	v_mul_f32_e32 v17, 0.5, v17
	v_dot4_i32_iu8 v13, v40, v18, v13 neg_lo:[1,1,0]
	v_dot4_i32_iu8 v15, v40, v24, v15 neg_lo:[1,1,0]
	v_mul_f32_e32 v18, 0.5, v23
	v_dot4_i32_iu8 v23, v40, v26, v25 neg_lo:[1,1,0]
	v_dot4_i32_iu8 v25, v40, v28, v27 neg_lo:[1,1,0]
	v_lshrrev_b32_e32 v49, 16, v43
	v_lshrrev_b32_e32 v39, 16, v42
	v_cvt_f32_f16_e32 v35, v50
	v_dot4_i32_iu8 v19, v40, v32, v19 neg_lo:[1,1,0]
	v_mul_f32_e32 v27, 0.5, v31
	v_dot4_i32_iu8 v21, v40, v38, v21 neg_lo:[1,1,0]
	v_dot4_i32_iu8 v13, v30, v14, v13 neg_lo:[1,1,0]
	;; [unrolled: 1-line block ×4, first 2 shown]
	v_cvt_f32_f16_e32 v33, v49
	v_cvt_f32_f16_e32 v29, v39
	v_mul_f32_e32 v26, 0.5, v35
	v_dot4_i32_iu8 v15, v30, v34, v23 neg_lo:[1,1,0]
	v_dot4_i32_iu8 v19, v30, v20, v19 neg_lo:[1,1,0]
	;; [unrolled: 1-line block ×3, first 2 shown]
	v_cvt_f32_i32_e32 v16, v16
	v_mul_f32_e32 v28, 0.5, v29
	v_cvt_f32_i32_e32 v13, v13
	v_cvt_f32_i32_e32 v14, v14
	;; [unrolled: 1-line block ×5, first 2 shown]
	v_fma_mix_f32 v16, v16, v45, v26 op_sel_hi:[0,1,0]
	v_mul_f32_e32 v24, 0.5, v33
	v_fma_mix_f32 v13, v13, v41, v17 op_sel_hi:[0,1,0]
	v_fma_mix_f32 v14, v14, v44, v18 op_sel_hi:[0,1,0]
	;; [unrolled: 1-line block ×4, first 2 shown]
	v_add_f32_e32 v5, v5, v16
	v_fma_mix_f32 v15, v15, v43, v24 op_sel_hi:[0,1,0]
	v_add_f32_e32 v10, v10, v13
	v_dual_add_f32 v8, v8, v14 :: v_dual_add_f32 v3, v3, v17
	v_add_f32_e32 v2, v2, v18
	s_delay_alu instid0(VALU_DEP_4)
	v_add_f32_e32 v6, v6, v15
	s_wait_alu 0xfffe
	s_and_not1_b32 exec_lo, exec_lo, s3
	s_cbranch_execnz .LBB33_2
; %bb.3:
	s_or_b32 exec_lo, exec_lo, s3
.LBB33_4:
	s_delay_alu instid0(SALU_CYCLE_1)
	s_or_b32 exec_lo, exec_lo, s21
	s_mov_b32 s3, 0
	; wave barrier
	global_inv scope:SCOPE_SE
	s_mov_b32 s2, exec_lo
	v_cmpx_eq_u32_e32 0, v7
	s_cbranch_execz .LBB33_17
; %bb.5:
	v_mbcnt_lo_u32_b32 v11, -1, 0
	s_load_b64 s[0:1], s[0:1], 0x38
	s_mul_i32 s2, s10, s19
	s_mul_i32 s4, s18, s20
	s_wait_alu 0xfffe
	s_add_co_i32 s2, s2, ttmp9
	v_xor_b32_e32 v0, 16, v11
	v_xor_b32_e32 v1, 8, v11
	s_wait_alu 0xfffe
	s_add_co_i32 s2, s2, s4
	s_wait_alu 0xfffe
	s_lshl_b64 s[2:3], s[2:3], 2
	v_cmp_gt_i32_e32 vcc_lo, 32, v0
	s_wait_alu 0xfffd
	v_cndmask_b32_e32 v0, v11, v0, vcc_lo
	v_cmp_gt_i32_e32 vcc_lo, 32, v1
	s_wait_alu 0xfffd
	v_cndmask_b32_e32 v1, v11, v1, vcc_lo
	s_wait_kmcnt 0x0
	s_wait_alu 0xfffe
	s_add_nc_u64 s[0:1], s[0:1], s[2:3]
	s_delay_alu instid0(VALU_DEP_1)
	v_lshlrev_b32_e32 v1, 2, v1
	v_lshlrev_b32_e32 v0, 2, v0
	ds_bpermute_b32 v7, v0, v10
	s_wait_dscnt 0x0
	v_add_f32_e32 v9, v10, v7
	v_xor_b32_e32 v7, 4, v11
	ds_bpermute_b32 v10, v1, v9
	v_cmp_gt_i32_e32 vcc_lo, 32, v7
	s_wait_dscnt 0x0
	s_wait_alu 0xfffd
	v_dual_add_f32 v10, v9, v10 :: v_dual_cndmask_b32 v7, v11, v7
	v_xor_b32_e32 v9, 2, v11
	s_delay_alu instid0(VALU_DEP_2) | instskip(NEXT) | instid1(VALU_DEP_2)
	v_lshlrev_b32_e32 v7, 2, v7
	v_cmp_gt_i32_e32 vcc_lo, 32, v9
	ds_bpermute_b32 v12, v7, v10
	s_wait_dscnt 0x0
	s_wait_alu 0xfffd
	v_dual_cndmask_b32 v9, v11, v9 :: v_dual_add_f32 v12, v10, v12
	v_xor_b32_e32 v10, 1, v11
	s_delay_alu instid0(VALU_DEP_1) | instskip(SKIP_3) | instid1(VALU_DEP_2)
	v_cmp_gt_i32_e32 vcc_lo, 32, v10
	s_wait_alu 0xfffd
	v_cndmask_b32_e32 v10, v11, v10, vcc_lo
	v_cmp_eq_u32_e32 vcc_lo, 0, v4
	v_lshlrev_b32_e32 v10, 2, v10
	v_lshlrev_b32_e32 v9, 2, v9
	ds_bpermute_b32 v13, v9, v12
	s_wait_dscnt 0x0
	v_add_f32_e32 v11, v12, v13
	ds_bpermute_b32 v12, v10, v11
	s_and_saveexec_b32 s2, vcc_lo
	s_cbranch_execz .LBB33_7
; %bb.6:
	s_wait_dscnt 0x0
	v_dual_add_f32 v4, v11, v12 :: v_dual_mov_b32 v11, 0
	global_store_b32 v11, v4, s[0:1]
.LBB33_7:
	s_wait_alu 0xfffe
	s_or_b32 exec_lo, exec_lo, s2
	ds_bpermute_b32 v4, v0, v8
	s_wait_dscnt 0x0
	v_add_f32_e32 v4, v8, v4
	ds_bpermute_b32 v8, v1, v4
	s_wait_dscnt 0x0
	v_add_f32_e32 v4, v4, v8
	;; [unrolled: 3-line block ×4, first 2 shown]
	ds_bpermute_b32 v8, v10, v4
	s_and_saveexec_b32 s2, vcc_lo
	s_cbranch_execz .LBB33_9
; %bb.8:
	s_mov_b32 s7, 0
	s_wait_dscnt 0x0
	v_add_f32_e32 v4, v4, v8
	v_mov_b32_e32 v8, 0
	s_wait_alu 0xfffe
	s_lshl_b64 s[4:5], s[6:7], 2
	s_wait_alu 0xfffe
	s_add_nc_u64 s[4:5], s[0:1], s[4:5]
	global_store_b32 v8, v4, s[4:5]
.LBB33_9:
	s_wait_alu 0xfffe
	s_or_b32 exec_lo, exec_lo, s2
	ds_bpermute_b32 v4, v0, v6
	s_wait_dscnt 0x0
	v_add_f32_e32 v4, v6, v4
	ds_bpermute_b32 v6, v1, v4
	s_wait_dscnt 0x0
	v_add_f32_e32 v4, v4, v6
	;; [unrolled: 3-line block ×4, first 2 shown]
	ds_bpermute_b32 v6, v10, v4
	s_and_saveexec_b32 s2, vcc_lo
	s_cbranch_execz .LBB33_11
; %bb.10:
	s_lshl_b32 s4, s6, 1
	s_mov_b32 s5, 0
	s_wait_dscnt 0x0
	v_add_f32_e32 v4, v4, v6
	v_mov_b32_e32 v6, 0
	s_wait_alu 0xfffe
	s_lshl_b64 s[4:5], s[4:5], 2
	s_wait_alu 0xfffe
	s_add_nc_u64 s[4:5], s[0:1], s[4:5]
	global_store_b32 v6, v4, s[4:5]
.LBB33_11:
	s_wait_alu 0xfffe
	s_or_b32 exec_lo, exec_lo, s2
	ds_bpermute_b32 v4, v0, v5
	s_wait_dscnt 0x0
	v_add_f32_e32 v4, v5, v4
	ds_bpermute_b32 v5, v1, v4
	s_wait_dscnt 0x0
	v_add_f32_e32 v4, v4, v5
	;; [unrolled: 3-line block ×4, first 2 shown]
	ds_bpermute_b32 v5, v10, v4
	s_and_saveexec_b32 s2, vcc_lo
	s_cbranch_execz .LBB33_13
; %bb.12:
	s_mul_i32 s4, s6, 3
	s_mov_b32 s5, 0
	s_wait_dscnt 0x0
	v_dual_add_f32 v4, v4, v5 :: v_dual_mov_b32 v5, 0
	s_wait_alu 0xfffe
	s_lshl_b64 s[4:5], s[4:5], 2
	s_wait_alu 0xfffe
	s_add_nc_u64 s[4:5], s[0:1], s[4:5]
	global_store_b32 v5, v4, s[4:5]
.LBB33_13:
	s_wait_alu 0xfffe
	s_or_b32 exec_lo, exec_lo, s2
	ds_bpermute_b32 v4, v0, v3
	s_wait_dscnt 0x0
	v_add_f32_e32 v3, v3, v4
	ds_bpermute_b32 v4, v1, v3
	s_wait_dscnt 0x0
	v_add_f32_e32 v3, v3, v4
	ds_bpermute_b32 v4, v7, v3
	s_wait_dscnt 0x0
	v_add_f32_e32 v3, v3, v4
	ds_bpermute_b32 v4, v9, v3
	s_wait_dscnt 0x0
	v_add_f32_e32 v3, v3, v4
	ds_bpermute_b32 v4, v10, v3
	s_and_saveexec_b32 s2, vcc_lo
	s_cbranch_execz .LBB33_15
; %bb.14:
	s_lshl_b32 s4, s6, 2
	s_mov_b32 s5, 0
	s_wait_dscnt 0x0
	v_dual_add_f32 v3, v3, v4 :: v_dual_mov_b32 v4, 0
	s_wait_alu 0xfffe
	s_lshl_b64 s[4:5], s[4:5], 2
	s_wait_alu 0xfffe
	s_add_nc_u64 s[4:5], s[0:1], s[4:5]
	global_store_b32 v4, v3, s[4:5]
.LBB33_15:
	s_wait_alu 0xfffe
	s_or_b32 exec_lo, exec_lo, s2
	ds_bpermute_b32 v0, v0, v2
	s_wait_dscnt 0x0
	v_add_f32_e32 v0, v2, v0
	ds_bpermute_b32 v1, v1, v0
	s_wait_dscnt 0x0
	v_add_f32_e32 v0, v0, v1
	;; [unrolled: 3-line block ×4, first 2 shown]
	ds_bpermute_b32 v1, v10, v0
	s_and_b32 exec_lo, exec_lo, vcc_lo
	s_cbranch_execz .LBB33_17
; %bb.16:
	s_mul_i32 s2, s6, 5
	s_mov_b32 s3, 0
	s_wait_dscnt 0x0
	v_dual_add_f32 v0, v0, v1 :: v_dual_mov_b32 v1, 0
	s_wait_alu 0xfffe
	s_lshl_b64 s[2:3], s[2:3], 2
	s_wait_alu 0xfffe
	s_add_nc_u64 s[0:1], s[0:1], s[2:3]
	global_store_b32 v1, v0, s[0:1]
.LBB33_17:
	s_endpgm
	.section	.rodata,"a",@progbits
	.p2align	6, 0x0
	.amdhsa_kernel _ZL13mul_mat_vec_qIL9ggml_type3ELi6ELb0ELb0EEvPKvS2_PKi31ggml_cuda_mm_fusion_args_devicePfj15HIP_vector_typeIjLj3EEjjjS8_jjjS8_jjjj
		.amdhsa_group_segment_fixed_size 0
		.amdhsa_private_segment_fixed_size 0
		.amdhsa_kernarg_size 144
		.amdhsa_user_sgpr_count 2
		.amdhsa_user_sgpr_dispatch_ptr 0
		.amdhsa_user_sgpr_queue_ptr 0
		.amdhsa_user_sgpr_kernarg_segment_ptr 1
		.amdhsa_user_sgpr_dispatch_id 0
		.amdhsa_user_sgpr_private_segment_size 0
		.amdhsa_wavefront_size32 1
		.amdhsa_uses_dynamic_stack 0
		.amdhsa_enable_private_segment 0
		.amdhsa_system_sgpr_workgroup_id_x 1
		.amdhsa_system_sgpr_workgroup_id_y 1
		.amdhsa_system_sgpr_workgroup_id_z 1
		.amdhsa_system_sgpr_workgroup_info 0
		.amdhsa_system_vgpr_workitem_id 1
		.amdhsa_next_free_vgpr 52
		.amdhsa_next_free_sgpr 30
		.amdhsa_reserve_vcc 1
		.amdhsa_float_round_mode_32 0
		.amdhsa_float_round_mode_16_64 0
		.amdhsa_float_denorm_mode_32 3
		.amdhsa_float_denorm_mode_16_64 3
		.amdhsa_fp16_overflow 0
		.amdhsa_workgroup_processor_mode 1
		.amdhsa_memory_ordered 1
		.amdhsa_forward_progress 1
		.amdhsa_inst_pref_size 19
		.amdhsa_round_robin_scheduling 0
		.amdhsa_exception_fp_ieee_invalid_op 0
		.amdhsa_exception_fp_denorm_src 0
		.amdhsa_exception_fp_ieee_div_zero 0
		.amdhsa_exception_fp_ieee_overflow 0
		.amdhsa_exception_fp_ieee_underflow 0
		.amdhsa_exception_fp_ieee_inexact 0
		.amdhsa_exception_int_div_zero 0
	.end_amdhsa_kernel
	.section	.text._ZL13mul_mat_vec_qIL9ggml_type3ELi6ELb0ELb0EEvPKvS2_PKi31ggml_cuda_mm_fusion_args_devicePfj15HIP_vector_typeIjLj3EEjjjS8_jjjS8_jjjj,"axG",@progbits,_ZL13mul_mat_vec_qIL9ggml_type3ELi6ELb0ELb0EEvPKvS2_PKi31ggml_cuda_mm_fusion_args_devicePfj15HIP_vector_typeIjLj3EEjjjS8_jjjS8_jjjj,comdat
.Lfunc_end33:
	.size	_ZL13mul_mat_vec_qIL9ggml_type3ELi6ELb0ELb0EEvPKvS2_PKi31ggml_cuda_mm_fusion_args_devicePfj15HIP_vector_typeIjLj3EEjjjS8_jjjS8_jjjj, .Lfunc_end33-_ZL13mul_mat_vec_qIL9ggml_type3ELi6ELb0ELb0EEvPKvS2_PKi31ggml_cuda_mm_fusion_args_devicePfj15HIP_vector_typeIjLj3EEjjjS8_jjjS8_jjjj
                                        ; -- End function
	.set _ZL13mul_mat_vec_qIL9ggml_type3ELi6ELb0ELb0EEvPKvS2_PKi31ggml_cuda_mm_fusion_args_devicePfj15HIP_vector_typeIjLj3EEjjjS8_jjjS8_jjjj.num_vgpr, 52
	.set _ZL13mul_mat_vec_qIL9ggml_type3ELi6ELb0ELb0EEvPKvS2_PKi31ggml_cuda_mm_fusion_args_devicePfj15HIP_vector_typeIjLj3EEjjjS8_jjjS8_jjjj.num_agpr, 0
	.set _ZL13mul_mat_vec_qIL9ggml_type3ELi6ELb0ELb0EEvPKvS2_PKi31ggml_cuda_mm_fusion_args_devicePfj15HIP_vector_typeIjLj3EEjjjS8_jjjS8_jjjj.numbered_sgpr, 30
	.set _ZL13mul_mat_vec_qIL9ggml_type3ELi6ELb0ELb0EEvPKvS2_PKi31ggml_cuda_mm_fusion_args_devicePfj15HIP_vector_typeIjLj3EEjjjS8_jjjS8_jjjj.num_named_barrier, 0
	.set _ZL13mul_mat_vec_qIL9ggml_type3ELi6ELb0ELb0EEvPKvS2_PKi31ggml_cuda_mm_fusion_args_devicePfj15HIP_vector_typeIjLj3EEjjjS8_jjjS8_jjjj.private_seg_size, 0
	.set _ZL13mul_mat_vec_qIL9ggml_type3ELi6ELb0ELb0EEvPKvS2_PKi31ggml_cuda_mm_fusion_args_devicePfj15HIP_vector_typeIjLj3EEjjjS8_jjjS8_jjjj.uses_vcc, 1
	.set _ZL13mul_mat_vec_qIL9ggml_type3ELi6ELb0ELb0EEvPKvS2_PKi31ggml_cuda_mm_fusion_args_devicePfj15HIP_vector_typeIjLj3EEjjjS8_jjjS8_jjjj.uses_flat_scratch, 0
	.set _ZL13mul_mat_vec_qIL9ggml_type3ELi6ELb0ELb0EEvPKvS2_PKi31ggml_cuda_mm_fusion_args_devicePfj15HIP_vector_typeIjLj3EEjjjS8_jjjS8_jjjj.has_dyn_sized_stack, 0
	.set _ZL13mul_mat_vec_qIL9ggml_type3ELi6ELb0ELb0EEvPKvS2_PKi31ggml_cuda_mm_fusion_args_devicePfj15HIP_vector_typeIjLj3EEjjjS8_jjjS8_jjjj.has_recursion, 0
	.set _ZL13mul_mat_vec_qIL9ggml_type3ELi6ELb0ELb0EEvPKvS2_PKi31ggml_cuda_mm_fusion_args_devicePfj15HIP_vector_typeIjLj3EEjjjS8_jjjS8_jjjj.has_indirect_call, 0
	.section	.AMDGPU.csdata,"",@progbits
; Kernel info:
; codeLenInByte = 2352
; TotalNumSgprs: 32
; NumVgprs: 52
; ScratchSize: 0
; MemoryBound: 0
; FloatMode: 240
; IeeeMode: 1
; LDSByteSize: 0 bytes/workgroup (compile time only)
; SGPRBlocks: 0
; VGPRBlocks: 6
; NumSGPRsForWavesPerEU: 32
; NumVGPRsForWavesPerEU: 52
; Occupancy: 16
; WaveLimiterHint : 0
; COMPUTE_PGM_RSRC2:SCRATCH_EN: 0
; COMPUTE_PGM_RSRC2:USER_SGPR: 2
; COMPUTE_PGM_RSRC2:TRAP_HANDLER: 0
; COMPUTE_PGM_RSRC2:TGID_X_EN: 1
; COMPUTE_PGM_RSRC2:TGID_Y_EN: 1
; COMPUTE_PGM_RSRC2:TGID_Z_EN: 1
; COMPUTE_PGM_RSRC2:TIDIG_COMP_CNT: 1
	.section	.text._ZL13mul_mat_vec_qIL9ggml_type3ELi7ELb0ELb0EEvPKvS2_PKi31ggml_cuda_mm_fusion_args_devicePfj15HIP_vector_typeIjLj3EEjjjS8_jjjS8_jjjj,"axG",@progbits,_ZL13mul_mat_vec_qIL9ggml_type3ELi7ELb0ELb0EEvPKvS2_PKi31ggml_cuda_mm_fusion_args_devicePfj15HIP_vector_typeIjLj3EEjjjS8_jjjS8_jjjj,comdat
	.globl	_ZL13mul_mat_vec_qIL9ggml_type3ELi7ELb0ELb0EEvPKvS2_PKi31ggml_cuda_mm_fusion_args_devicePfj15HIP_vector_typeIjLj3EEjjjS8_jjjS8_jjjj ; -- Begin function _ZL13mul_mat_vec_qIL9ggml_type3ELi7ELb0ELb0EEvPKvS2_PKi31ggml_cuda_mm_fusion_args_devicePfj15HIP_vector_typeIjLj3EEjjjS8_jjjS8_jjjj
	.p2align	8
	.type	_ZL13mul_mat_vec_qIL9ggml_type3ELi7ELb0ELb0EEvPKvS2_PKi31ggml_cuda_mm_fusion_args_devicePfj15HIP_vector_typeIjLj3EEjjjS8_jjjS8_jjjj,@function
_ZL13mul_mat_vec_qIL9ggml_type3ELi7ELb0ELb0EEvPKvS2_PKi31ggml_cuda_mm_fusion_args_devicePfj15HIP_vector_typeIjLj3EEjjjS8_jjjS8_jjjj: ; @_ZL13mul_mat_vec_qIL9ggml_type3ELi7ELb0ELb0EEvPKvS2_PKi31ggml_cuda_mm_fusion_args_devicePfj15HIP_vector_typeIjLj3EEjjjS8_jjjS8_jjjj
; %bb.0:
	v_bfe_u32 v8, v0, 10, 10
	s_clause 0x5
	s_load_b32 s2, s[0:1], 0x40
	s_load_b96 s[16:18], s[0:1], 0x80
	s_load_b128 s[4:7], s[0:1], 0x50
	s_load_b32 s23, s[0:1], 0x60
	s_load_b128 s[8:11], s[0:1], 0x68
	s_load_b32 s24, s[0:1], 0x78
	v_dual_mov_b32 v2, 0 :: v_dual_and_b32 v5, 0x3ff, v0
	v_dual_mov_b32 v3, 0 :: v_dual_lshlrev_b32 v0, 5, v8
	v_dual_mov_b32 v4, 0 :: v_dual_mov_b32 v7, 0
	v_dual_mov_b32 v6, 0 :: v_dual_mov_b32 v11, 0
	s_delay_alu instid0(VALU_DEP_3)
	v_add_nc_u16 v0, v0, v5
	s_and_b32 s19, ttmp7, 0xffff
	s_lshr_b32 s20, ttmp7, 16
	s_mov_b32 s21, exec_lo
	v_mov_b32_e32 v9, 0
	v_lshrrev_b16 v0, 1, v0
	s_wait_kmcnt 0x0
	s_lshr_b32 s22, s2, 5
	s_delay_alu instid0(VALU_DEP_1) | instskip(NEXT) | instid1(VALU_DEP_1)
	v_and_b32_e32 v10, 0xffff, v0
	v_cmpx_gt_u32_e64 s22, v10
	s_cbranch_execz .LBB34_4
; %bb.1:
	s_load_b128 s[12:15], s[0:1], 0x0
	s_mul_i32 s2, s17, s20
	s_mov_b32 s3, 0
	s_mul_hi_u32 s7, s7, s19
	v_dual_mov_b32 v2, 0 :: v_dual_lshlrev_b32 v1, 1, v5
	s_mul_hi_u32 s11, s11, s20
	s_mul_u64 s[26:27], s[2:3], 36
	s_mul_i32 s2, s9, s19
	s_add_co_i32 s7, s19, s7
	s_add_co_i32 s9, s20, s11
	s_mul_u64 s[28:29], s[2:3], 36
	s_lshr_b32 s2, s7, s23
	v_and_b32_e32 v3, 1, v5
	v_and_b32_e32 v0, 0xffff, v0
	v_dual_mov_b32 v7, 0 :: v_dual_and_b32 v4, 2, v1
	s_lshr_b32 s7, s9, s24
	s_mul_i32 s2, s2, s8
	s_mul_i32 s4, s4, ttmp9
	s_wait_kmcnt 0x0
	s_add_nc_u64 s[8:9], s[14:15], s[26:27]
	v_dual_mov_b32 v6, 0 :: v_dual_lshlrev_b32 v13, 2, v4
	s_add_nc_u64 s[8:9], s[8:9], s[28:29]
	v_mov_b32_e32 v4, 0
	v_dual_mov_b32 v9, 0 :: v_dual_lshlrev_b32 v12, 3, v3
	v_mov_b32_e32 v3, 0
	v_mad_co_u64_u32 v[0:1], null, v0, 36, s[8:9]
	v_mov_b32_e32 v11, 0
	s_mul_i32 s7, s7, s16
	s_add_co_i32 s2, s2, s4
	s_lshl_b32 s4, s5, 1
	s_add_co_i32 s2, s7, s2
	s_mul_i32 s7, s5, 3
	s_lshl_b32 s11, s5, 2
	s_mul_i32 s14, s5, 5
	s_mul_i32 s15, s5, 6
.LBB34_2:                               ; =>This Inner Loop Header: Depth=1
	v_add_nc_u32_e32 v16, s2, v10
	v_add_nc_u32_e32 v20, s5, v10
	;; [unrolled: 1-line block ×5, first 2 shown]
	v_mad_co_i64_i32 v[16:17], null, v16, 20, s[12:13]
	v_mad_co_u64_u32 v[20:21], null, v20, 36, s[8:9]
	v_mad_co_u64_u32 v[22:23], null, v22, 36, s[8:9]
	v_add_nc_u32_e32 v28, s14, v10
	v_add_co_u32 v14, vcc_lo, v0, v12
	v_mad_co_u64_u32 v[24:25], null, v24, 36, s[8:9]
	v_add_nc_u32_e32 v30, s15, v10
	s_wait_alu 0xfffd
	v_add_co_ci_u32_e64 v15, null, 0, v1, vcc_lo
	v_mad_co_u64_u32 v[26:27], null, v26, 36, s[8:9]
	v_add_co_u32 v32, vcc_lo, v16, v13
	v_mad_co_u64_u32 v[28:29], null, v28, 36, s[8:9]
	s_wait_alu 0xfffd
	v_add_co_ci_u32_e64 v33, null, 0, v17, vcc_lo
	v_add_co_u32 v34, vcc_lo, v20, v13
	global_load_b32 v46, v[0:1], off
	v_mad_co_u64_u32 v[30:31], null, v30, 36, s[8:9]
	s_wait_alu 0xfffd
	v_add_co_ci_u32_e64 v35, null, 0, v21, vcc_lo
	v_add_co_u32 v36, vcc_lo, v22, v13
	s_wait_alu 0xfffd
	v_add_co_ci_u32_e64 v37, null, 0, v23, vcc_lo
	v_add_co_u32 v38, vcc_lo, v24, v13
	;; [unrolled: 3-line block ×3, first 2 shown]
	s_clause 0x1
	global_load_b64 v[18:19], v[14:15], off offset:4
	global_load_b64 v[14:15], v[14:15], off offset:20
	s_wait_alu 0xfffd
	v_add_co_ci_u32_e64 v41, null, 0, v27, vcc_lo
	v_add_co_u32 v42, vcc_lo, v28, v13
	s_wait_alu 0xfffd
	v_add_co_ci_u32_e64 v43, null, 0, v29, vcc_lo
	v_add_co_u32 v44, vcc_lo, v30, v13
	s_wait_alu 0xfffd
	v_add_co_ci_u32_e64 v45, null, 0, v31, vcc_lo
	s_clause 0x1
	global_load_b64 v[32:33], v[32:33], off offset:4
	global_load_b32 v47, v[16:17], off
	s_clause 0x11
	global_load_b64 v[16:17], v[34:35], off offset:20
	global_load_b32 v48, v[22:23], off
	global_load_b32 v49, v[20:21], off
	global_load_b32 v50, v[24:25], off
	global_load_b64 v[20:21], v[40:41], off offset:20
	global_load_b32 v51, v[26:27], off
	global_load_b64 v[22:23], v[42:43], off offset:20
	global_load_b32 v52, v[30:31], off
	global_load_b32 v53, v[28:29], off
	global_load_b64 v[24:25], v[34:35], off offset:4
	global_load_b64 v[26:27], v[36:37], off offset:4
	;; [unrolled: 1-line block ×9, first 2 shown]
	v_add_nc_u32_e32 v10, 16, v10
	v_add_co_u32 v0, vcc_lo, 0x240, v0
	s_wait_alu 0xfffd
	v_add_co_ci_u32_e64 v1, null, 0, v1, vcc_lo
	s_delay_alu instid0(VALU_DEP_3)
	v_cmp_le_u32_e32 vcc_lo, s22, v10
	s_or_b32 s3, vcc_lo, s3
	s_wait_loadcnt 0x13
	v_and_b32_e32 v44, 0xf0f0f0f, v32
	v_lshrrev_b32_e32 v32, 4, v32
	s_wait_loadcnt 0x12
	v_pk_mul_f16 v46, v47, v46
	s_wait_loadcnt 0x10
	v_pk_mul_f16 v48, v47, v48
	;; [unrolled: 2-line block ×4, first 2 shown]
	v_and_b32_e32 v32, 0xf0f0f0f, v32
	s_wait_loadcnt 0xc
	v_pk_mul_f16 v51, v47, v51
	v_dot4_i32_iu8 v18, v44, v18, 0 neg_lo:[1,1,0]
	v_lshrrev_b32_e32 v54, 16, v49
	s_wait_loadcnt 0x9
	v_pk_mul_f16 v53, v47, v53
	v_pk_mul_f16 v47, v47, v52
	v_lshrrev_b32_e32 v52, 16, v46
	s_wait_loadcnt 0x8
	v_dot4_i32_iu8 v24, v44, v24, 0 neg_lo:[1,1,0]
	s_wait_loadcnt 0x7
	v_dot4_i32_iu8 v26, v44, v26, 0 neg_lo:[1,1,0]
	;; [unrolled: 2-line block ×3, first 2 shown]
	v_lshrrev_b32_e32 v56, 16, v50
	v_dot4_i32_iu8 v14, v32, v14, v18 neg_lo:[1,1,0]
	v_cvt_f32_f16_e32 v18, v52
	v_and_b32_e32 v45, 0xf0f0f0f, v33
	v_dot4_i32_iu8 v16, v32, v16, v24 neg_lo:[1,1,0]
	v_cvt_f32_f16_e32 v24, v54
	s_wait_loadcnt 0x2
	v_dot4_i32_iu8 v26, v32, v36, v26 neg_lo:[1,1,0]
	s_wait_loadcnt 0x1
	v_dot4_i32_iu8 v28, v32, v38, v28 neg_lo:[1,1,0]
	v_cvt_f32_f16_e32 v38, v56
	v_lshrrev_b32_e32 v58, 16, v53
	v_mul_f32_e32 v18, 0.5, v18
	v_dot4_i32_iu8 v14, v45, v19, v14 neg_lo:[1,1,0]
	v_mul_f32_e32 v19, 0.5, v24
	v_dot4_i32_iu8 v24, v45, v27, v26 neg_lo:[1,1,0]
	v_mul_f32_e32 v27, 0.5, v38
	v_dot4_i32_iu8 v34, v44, v34, 0 neg_lo:[1,1,0]
	v_dot4_i32_iu8 v30, v44, v30, 0 neg_lo:[1,1,0]
	v_lshrrev_b32_e32 v57, 16, v51
	v_dot4_i32_iu8 v40, v44, v40, 0 neg_lo:[1,1,0]
	v_lshrrev_b32_e32 v33, 4, v33
	v_dot4_i32_iu8 v22, v32, v22, v34 neg_lo:[1,1,0]
	v_cvt_f32_f16_e32 v34, v58
	v_dot4_i32_iu8 v26, v45, v29, v28 neg_lo:[1,1,0]
	v_lshrrev_b32_e32 v55, 16, v48
	v_lshrrev_b32_e32 v44, 16, v47
	v_dot4_i32_iu8 v16, v45, v25, v16 neg_lo:[1,1,0]
	v_mul_f32_e32 v29, 0.5, v34
	v_dot4_i32_iu8 v20, v32, v20, v30 neg_lo:[1,1,0]
	v_cvt_f32_f16_e32 v30, v57
	s_wait_loadcnt 0x0
	v_dot4_i32_iu8 v32, v32, v42, v40 neg_lo:[1,1,0]
	v_and_b32_e32 v33, 0xf0f0f0f, v33
	v_dot4_i32_iu8 v22, v45, v35, v22 neg_lo:[1,1,0]
	v_dot4_i32_iu8 v20, v45, v31, v20 neg_lo:[1,1,0]
	v_mul_f32_e32 v28, 0.5, v30
	v_dot4_i32_iu8 v30, v45, v41, v32 neg_lo:[1,1,0]
	v_cvt_f32_f16_e32 v36, v55
	v_cvt_f32_f16_e32 v40, v44
	v_dot4_i32_iu8 v14, v33, v15, v14 neg_lo:[1,1,0]
	v_dot4_i32_iu8 v15, v33, v17, v16 neg_lo:[1,1,0]
	;; [unrolled: 1-line block ×7, first 2 shown]
	v_mul_f32_e32 v25, 0.5, v36
	v_mul_f32_e32 v31, 0.5, v40
	v_cvt_f32_i32_e32 v14, v14
	v_cvt_f32_i32_e32 v15, v15
	;; [unrolled: 1-line block ×7, first 2 shown]
	v_fma_mix_f32 v14, v14, v46, v18 op_sel_hi:[0,1,0]
	v_fma_mix_f32 v15, v15, v49, v19 op_sel_hi:[0,1,0]
	;; [unrolled: 1-line block ×7, first 2 shown]
	s_delay_alu instid0(VALU_DEP_4) | instskip(SKIP_2) | instid1(VALU_DEP_4)
	v_dual_add_f32 v11, v11, v14 :: v_dual_add_f32 v6, v6, v17
	v_add_f32_e32 v9, v9, v15
	v_dual_add_f32 v7, v7, v16 :: v_dual_add_f32 v4, v4, v18
	v_dual_add_f32 v3, v3, v19 :: v_dual_add_f32 v2, v2, v20
	s_wait_alu 0xfffe
	s_and_not1_b32 exec_lo, exec_lo, s3
	s_cbranch_execnz .LBB34_2
; %bb.3:
	s_or_b32 exec_lo, exec_lo, s3
.LBB34_4:
	s_delay_alu instid0(SALU_CYCLE_1)
	s_or_b32 exec_lo, exec_lo, s21
	s_mov_b32 s3, 0
	; wave barrier
	global_inv scope:SCOPE_SE
	s_mov_b32 s2, exec_lo
	v_cmpx_eq_u32_e32 0, v8
	s_cbranch_execz .LBB34_19
; %bb.5:
	v_mbcnt_lo_u32_b32 v12, -1, 0
	s_load_b64 s[0:1], s[0:1], 0x38
	s_mul_i32 s2, s10, s19
	s_mul_i32 s4, s18, s20
	s_wait_alu 0xfffe
	s_add_co_i32 s2, s2, ttmp9
	v_xor_b32_e32 v0, 16, v12
	v_xor_b32_e32 v1, 8, v12
	s_wait_alu 0xfffe
	s_add_co_i32 s2, s2, s4
	s_wait_alu 0xfffe
	s_lshl_b64 s[2:3], s[2:3], 2
	v_cmp_gt_i32_e32 vcc_lo, 32, v0
	s_wait_alu 0xfffd
	v_cndmask_b32_e32 v0, v12, v0, vcc_lo
	v_cmp_gt_i32_e32 vcc_lo, 32, v1
	s_wait_alu 0xfffd
	v_cndmask_b32_e32 v1, v12, v1, vcc_lo
	s_wait_kmcnt 0x0
	s_wait_alu 0xfffe
	s_add_nc_u64 s[0:1], s[0:1], s[2:3]
	s_delay_alu instid0(VALU_DEP_1)
	v_lshlrev_b32_e32 v1, 2, v1
	v_lshlrev_b32_e32 v0, 2, v0
	ds_bpermute_b32 v8, v0, v11
	s_wait_dscnt 0x0
	v_add_f32_e32 v10, v11, v8
	v_xor_b32_e32 v8, 4, v12
	ds_bpermute_b32 v11, v1, v10
	v_cmp_gt_i32_e32 vcc_lo, 32, v8
	s_wait_dscnt 0x0
	s_wait_alu 0xfffd
	v_dual_add_f32 v11, v10, v11 :: v_dual_cndmask_b32 v8, v12, v8
	v_xor_b32_e32 v10, 2, v12
	s_delay_alu instid0(VALU_DEP_2) | instskip(NEXT) | instid1(VALU_DEP_2)
	v_lshlrev_b32_e32 v8, 2, v8
	v_cmp_gt_i32_e32 vcc_lo, 32, v10
	ds_bpermute_b32 v13, v8, v11
	s_wait_dscnt 0x0
	s_wait_alu 0xfffd
	v_dual_cndmask_b32 v10, v12, v10 :: v_dual_add_f32 v13, v11, v13
	v_xor_b32_e32 v11, 1, v12
	s_delay_alu instid0(VALU_DEP_1) | instskip(SKIP_3) | instid1(VALU_DEP_2)
	v_cmp_gt_i32_e32 vcc_lo, 32, v11
	s_wait_alu 0xfffd
	v_cndmask_b32_e32 v11, v12, v11, vcc_lo
	v_cmp_eq_u32_e32 vcc_lo, 0, v5
	v_lshlrev_b32_e32 v11, 2, v11
	v_lshlrev_b32_e32 v10, 2, v10
	ds_bpermute_b32 v14, v10, v13
	s_wait_dscnt 0x0
	v_add_f32_e32 v12, v13, v14
	ds_bpermute_b32 v13, v11, v12
	s_and_saveexec_b32 s2, vcc_lo
	s_cbranch_execz .LBB34_7
; %bb.6:
	s_wait_dscnt 0x0
	v_dual_add_f32 v5, v12, v13 :: v_dual_mov_b32 v12, 0
	global_store_b32 v12, v5, s[0:1]
.LBB34_7:
	s_wait_alu 0xfffe
	s_or_b32 exec_lo, exec_lo, s2
	ds_bpermute_b32 v5, v0, v9
	s_wait_dscnt 0x0
	v_add_f32_e32 v5, v9, v5
	ds_bpermute_b32 v9, v1, v5
	s_wait_dscnt 0x0
	v_add_f32_e32 v5, v5, v9
	;; [unrolled: 3-line block ×4, first 2 shown]
	ds_bpermute_b32 v9, v11, v5
	s_and_saveexec_b32 s2, vcc_lo
	s_cbranch_execz .LBB34_9
; %bb.8:
	s_mov_b32 s7, 0
	s_wait_dscnt 0x0
	v_add_f32_e32 v5, v5, v9
	v_mov_b32_e32 v9, 0
	s_wait_alu 0xfffe
	s_lshl_b64 s[4:5], s[6:7], 2
	s_wait_alu 0xfffe
	s_add_nc_u64 s[4:5], s[0:1], s[4:5]
	global_store_b32 v9, v5, s[4:5]
.LBB34_9:
	s_wait_alu 0xfffe
	s_or_b32 exec_lo, exec_lo, s2
	ds_bpermute_b32 v5, v0, v7
	s_wait_dscnt 0x0
	v_add_f32_e32 v5, v7, v5
	ds_bpermute_b32 v7, v1, v5
	s_wait_dscnt 0x0
	v_add_f32_e32 v5, v5, v7
	;; [unrolled: 3-line block ×4, first 2 shown]
	ds_bpermute_b32 v7, v11, v5
	s_and_saveexec_b32 s2, vcc_lo
	s_cbranch_execz .LBB34_11
; %bb.10:
	s_lshl_b32 s4, s6, 1
	s_mov_b32 s5, 0
	s_wait_dscnt 0x0
	v_add_f32_e32 v5, v5, v7
	v_mov_b32_e32 v7, 0
	s_wait_alu 0xfffe
	s_lshl_b64 s[4:5], s[4:5], 2
	s_wait_alu 0xfffe
	s_add_nc_u64 s[4:5], s[0:1], s[4:5]
	global_store_b32 v7, v5, s[4:5]
.LBB34_11:
	s_wait_alu 0xfffe
	s_or_b32 exec_lo, exec_lo, s2
	ds_bpermute_b32 v5, v0, v6
	s_wait_dscnt 0x0
	v_add_f32_e32 v5, v6, v5
	ds_bpermute_b32 v6, v1, v5
	s_wait_dscnt 0x0
	v_add_f32_e32 v5, v5, v6
	;; [unrolled: 3-line block ×4, first 2 shown]
	ds_bpermute_b32 v6, v11, v5
	s_and_saveexec_b32 s2, vcc_lo
	s_cbranch_execz .LBB34_13
; %bb.12:
	s_mul_i32 s4, s6, 3
	s_mov_b32 s5, 0
	s_wait_dscnt 0x0
	v_dual_add_f32 v5, v5, v6 :: v_dual_mov_b32 v6, 0
	s_wait_alu 0xfffe
	s_lshl_b64 s[4:5], s[4:5], 2
	s_wait_alu 0xfffe
	s_add_nc_u64 s[4:5], s[0:1], s[4:5]
	global_store_b32 v6, v5, s[4:5]
.LBB34_13:
	s_wait_alu 0xfffe
	s_or_b32 exec_lo, exec_lo, s2
	ds_bpermute_b32 v5, v0, v4
	s_wait_dscnt 0x0
	v_add_f32_e32 v4, v4, v5
	ds_bpermute_b32 v5, v1, v4
	s_wait_dscnt 0x0
	v_add_f32_e32 v4, v4, v5
	;; [unrolled: 3-line block ×4, first 2 shown]
	ds_bpermute_b32 v5, v11, v4
	s_and_saveexec_b32 s2, vcc_lo
	s_cbranch_execz .LBB34_15
; %bb.14:
	s_lshl_b32 s4, s6, 2
	s_mov_b32 s5, 0
	s_wait_dscnt 0x0
	v_dual_add_f32 v4, v4, v5 :: v_dual_mov_b32 v5, 0
	s_wait_alu 0xfffe
	s_lshl_b64 s[4:5], s[4:5], 2
	s_wait_alu 0xfffe
	s_add_nc_u64 s[4:5], s[0:1], s[4:5]
	global_store_b32 v5, v4, s[4:5]
.LBB34_15:
	s_wait_alu 0xfffe
	s_or_b32 exec_lo, exec_lo, s2
	ds_bpermute_b32 v4, v0, v3
	s_wait_dscnt 0x0
	v_add_f32_e32 v3, v3, v4
	ds_bpermute_b32 v4, v1, v3
	s_wait_dscnt 0x0
	v_add_f32_e32 v3, v3, v4
	ds_bpermute_b32 v4, v8, v3
	s_wait_dscnt 0x0
	v_add_f32_e32 v3, v3, v4
	ds_bpermute_b32 v4, v10, v3
	s_wait_dscnt 0x0
	v_add_f32_e32 v3, v3, v4
	ds_bpermute_b32 v4, v11, v3
	s_and_saveexec_b32 s2, vcc_lo
	s_cbranch_execz .LBB34_17
; %bb.16:
	s_mul_i32 s4, s6, 5
	s_mov_b32 s5, 0
	s_wait_dscnt 0x0
	v_dual_add_f32 v3, v3, v4 :: v_dual_mov_b32 v4, 0
	s_wait_alu 0xfffe
	s_lshl_b64 s[4:5], s[4:5], 2
	s_wait_alu 0xfffe
	s_add_nc_u64 s[4:5], s[0:1], s[4:5]
	global_store_b32 v4, v3, s[4:5]
.LBB34_17:
	s_wait_alu 0xfffe
	s_or_b32 exec_lo, exec_lo, s2
	ds_bpermute_b32 v0, v0, v2
	s_wait_dscnt 0x0
	v_add_f32_e32 v0, v2, v0
	ds_bpermute_b32 v1, v1, v0
	s_wait_dscnt 0x0
	v_add_f32_e32 v0, v0, v1
	;; [unrolled: 3-line block ×4, first 2 shown]
	ds_bpermute_b32 v1, v11, v0
	s_and_b32 exec_lo, exec_lo, vcc_lo
	s_cbranch_execz .LBB34_19
; %bb.18:
	s_mul_i32 s2, s6, 6
	s_mov_b32 s3, 0
	s_wait_dscnt 0x0
	v_dual_add_f32 v0, v0, v1 :: v_dual_mov_b32 v1, 0
	s_wait_alu 0xfffe
	s_lshl_b64 s[2:3], s[2:3], 2
	s_wait_alu 0xfffe
	s_add_nc_u64 s[0:1], s[0:1], s[2:3]
	global_store_b32 v1, v0, s[0:1]
.LBB34_19:
	s_endpgm
	.section	.rodata,"a",@progbits
	.p2align	6, 0x0
	.amdhsa_kernel _ZL13mul_mat_vec_qIL9ggml_type3ELi7ELb0ELb0EEvPKvS2_PKi31ggml_cuda_mm_fusion_args_devicePfj15HIP_vector_typeIjLj3EEjjjS8_jjjS8_jjjj
		.amdhsa_group_segment_fixed_size 0
		.amdhsa_private_segment_fixed_size 0
		.amdhsa_kernarg_size 144
		.amdhsa_user_sgpr_count 2
		.amdhsa_user_sgpr_dispatch_ptr 0
		.amdhsa_user_sgpr_queue_ptr 0
		.amdhsa_user_sgpr_kernarg_segment_ptr 1
		.amdhsa_user_sgpr_dispatch_id 0
		.amdhsa_user_sgpr_private_segment_size 0
		.amdhsa_wavefront_size32 1
		.amdhsa_uses_dynamic_stack 0
		.amdhsa_enable_private_segment 0
		.amdhsa_system_sgpr_workgroup_id_x 1
		.amdhsa_system_sgpr_workgroup_id_y 1
		.amdhsa_system_sgpr_workgroup_id_z 1
		.amdhsa_system_sgpr_workgroup_info 0
		.amdhsa_system_vgpr_workitem_id 1
		.amdhsa_next_free_vgpr 59
		.amdhsa_next_free_sgpr 30
		.amdhsa_reserve_vcc 1
		.amdhsa_float_round_mode_32 0
		.amdhsa_float_round_mode_16_64 0
		.amdhsa_float_denorm_mode_32 3
		.amdhsa_float_denorm_mode_16_64 3
		.amdhsa_fp16_overflow 0
		.amdhsa_workgroup_processor_mode 1
		.amdhsa_memory_ordered 1
		.amdhsa_forward_progress 1
		.amdhsa_inst_pref_size 21
		.amdhsa_round_robin_scheduling 0
		.amdhsa_exception_fp_ieee_invalid_op 0
		.amdhsa_exception_fp_denorm_src 0
		.amdhsa_exception_fp_ieee_div_zero 0
		.amdhsa_exception_fp_ieee_overflow 0
		.amdhsa_exception_fp_ieee_underflow 0
		.amdhsa_exception_fp_ieee_inexact 0
		.amdhsa_exception_int_div_zero 0
	.end_amdhsa_kernel
	.section	.text._ZL13mul_mat_vec_qIL9ggml_type3ELi7ELb0ELb0EEvPKvS2_PKi31ggml_cuda_mm_fusion_args_devicePfj15HIP_vector_typeIjLj3EEjjjS8_jjjS8_jjjj,"axG",@progbits,_ZL13mul_mat_vec_qIL9ggml_type3ELi7ELb0ELb0EEvPKvS2_PKi31ggml_cuda_mm_fusion_args_devicePfj15HIP_vector_typeIjLj3EEjjjS8_jjjS8_jjjj,comdat
.Lfunc_end34:
	.size	_ZL13mul_mat_vec_qIL9ggml_type3ELi7ELb0ELb0EEvPKvS2_PKi31ggml_cuda_mm_fusion_args_devicePfj15HIP_vector_typeIjLj3EEjjjS8_jjjS8_jjjj, .Lfunc_end34-_ZL13mul_mat_vec_qIL9ggml_type3ELi7ELb0ELb0EEvPKvS2_PKi31ggml_cuda_mm_fusion_args_devicePfj15HIP_vector_typeIjLj3EEjjjS8_jjjS8_jjjj
                                        ; -- End function
	.set _ZL13mul_mat_vec_qIL9ggml_type3ELi7ELb0ELb0EEvPKvS2_PKi31ggml_cuda_mm_fusion_args_devicePfj15HIP_vector_typeIjLj3EEjjjS8_jjjS8_jjjj.num_vgpr, 59
	.set _ZL13mul_mat_vec_qIL9ggml_type3ELi7ELb0ELb0EEvPKvS2_PKi31ggml_cuda_mm_fusion_args_devicePfj15HIP_vector_typeIjLj3EEjjjS8_jjjS8_jjjj.num_agpr, 0
	.set _ZL13mul_mat_vec_qIL9ggml_type3ELi7ELb0ELb0EEvPKvS2_PKi31ggml_cuda_mm_fusion_args_devicePfj15HIP_vector_typeIjLj3EEjjjS8_jjjS8_jjjj.numbered_sgpr, 30
	.set _ZL13mul_mat_vec_qIL9ggml_type3ELi7ELb0ELb0EEvPKvS2_PKi31ggml_cuda_mm_fusion_args_devicePfj15HIP_vector_typeIjLj3EEjjjS8_jjjS8_jjjj.num_named_barrier, 0
	.set _ZL13mul_mat_vec_qIL9ggml_type3ELi7ELb0ELb0EEvPKvS2_PKi31ggml_cuda_mm_fusion_args_devicePfj15HIP_vector_typeIjLj3EEjjjS8_jjjS8_jjjj.private_seg_size, 0
	.set _ZL13mul_mat_vec_qIL9ggml_type3ELi7ELb0ELb0EEvPKvS2_PKi31ggml_cuda_mm_fusion_args_devicePfj15HIP_vector_typeIjLj3EEjjjS8_jjjS8_jjjj.uses_vcc, 1
	.set _ZL13mul_mat_vec_qIL9ggml_type3ELi7ELb0ELb0EEvPKvS2_PKi31ggml_cuda_mm_fusion_args_devicePfj15HIP_vector_typeIjLj3EEjjjS8_jjjS8_jjjj.uses_flat_scratch, 0
	.set _ZL13mul_mat_vec_qIL9ggml_type3ELi7ELb0ELb0EEvPKvS2_PKi31ggml_cuda_mm_fusion_args_devicePfj15HIP_vector_typeIjLj3EEjjjS8_jjjS8_jjjj.has_dyn_sized_stack, 0
	.set _ZL13mul_mat_vec_qIL9ggml_type3ELi7ELb0ELb0EEvPKvS2_PKi31ggml_cuda_mm_fusion_args_devicePfj15HIP_vector_typeIjLj3EEjjjS8_jjjS8_jjjj.has_recursion, 0
	.set _ZL13mul_mat_vec_qIL9ggml_type3ELi7ELb0ELb0EEvPKvS2_PKi31ggml_cuda_mm_fusion_args_devicePfj15HIP_vector_typeIjLj3EEjjjS8_jjjS8_jjjj.has_indirect_call, 0
	.section	.AMDGPU.csdata,"",@progbits
; Kernel info:
; codeLenInByte = 2628
; TotalNumSgprs: 32
; NumVgprs: 59
; ScratchSize: 0
; MemoryBound: 0
; FloatMode: 240
; IeeeMode: 1
; LDSByteSize: 0 bytes/workgroup (compile time only)
; SGPRBlocks: 0
; VGPRBlocks: 7
; NumSGPRsForWavesPerEU: 32
; NumVGPRsForWavesPerEU: 59
; Occupancy: 16
; WaveLimiterHint : 0
; COMPUTE_PGM_RSRC2:SCRATCH_EN: 0
; COMPUTE_PGM_RSRC2:USER_SGPR: 2
; COMPUTE_PGM_RSRC2:TRAP_HANDLER: 0
; COMPUTE_PGM_RSRC2:TGID_X_EN: 1
; COMPUTE_PGM_RSRC2:TGID_Y_EN: 1
; COMPUTE_PGM_RSRC2:TGID_Z_EN: 1
; COMPUTE_PGM_RSRC2:TIDIG_COMP_CNT: 1
	.section	.text._ZL13mul_mat_vec_qIL9ggml_type3ELi8ELb0ELb0EEvPKvS2_PKi31ggml_cuda_mm_fusion_args_devicePfj15HIP_vector_typeIjLj3EEjjjS8_jjjS8_jjjj,"axG",@progbits,_ZL13mul_mat_vec_qIL9ggml_type3ELi8ELb0ELb0EEvPKvS2_PKi31ggml_cuda_mm_fusion_args_devicePfj15HIP_vector_typeIjLj3EEjjjS8_jjjS8_jjjj,comdat
	.globl	_ZL13mul_mat_vec_qIL9ggml_type3ELi8ELb0ELb0EEvPKvS2_PKi31ggml_cuda_mm_fusion_args_devicePfj15HIP_vector_typeIjLj3EEjjjS8_jjjS8_jjjj ; -- Begin function _ZL13mul_mat_vec_qIL9ggml_type3ELi8ELb0ELb0EEvPKvS2_PKi31ggml_cuda_mm_fusion_args_devicePfj15HIP_vector_typeIjLj3EEjjjS8_jjjS8_jjjj
	.p2align	8
	.type	_ZL13mul_mat_vec_qIL9ggml_type3ELi8ELb0ELb0EEvPKvS2_PKi31ggml_cuda_mm_fusion_args_devicePfj15HIP_vector_typeIjLj3EEjjjS8_jjjS8_jjjj,@function
_ZL13mul_mat_vec_qIL9ggml_type3ELi8ELb0ELb0EEvPKvS2_PKi31ggml_cuda_mm_fusion_args_devicePfj15HIP_vector_typeIjLj3EEjjjS8_jjjS8_jjjj: ; @_ZL13mul_mat_vec_qIL9ggml_type3ELi8ELb0ELb0EEvPKvS2_PKi31ggml_cuda_mm_fusion_args_devicePfj15HIP_vector_typeIjLj3EEjjjS8_jjjS8_jjjj
; %bb.0:
	v_bfe_u32 v9, v0, 10, 10
	s_clause 0x5
	s_load_b32 s2, s[0:1], 0x40
	s_load_b96 s[16:18], s[0:1], 0x80
	s_load_b128 s[4:7], s[0:1], 0x50
	s_load_b32 s23, s[0:1], 0x60
	s_load_b128 s[8:11], s[0:1], 0x68
	s_load_b32 s24, s[0:1], 0x78
	v_dual_mov_b32 v3, 0 :: v_dual_and_b32 v6, 0x3ff, v0
	v_dual_mov_b32 v5, 0 :: v_dual_lshlrev_b32 v0, 5, v9
	v_dual_mov_b32 v4, 0 :: v_dual_mov_b32 v7, 0
	v_mov_b32_e32 v8, 0
	s_delay_alu instid0(VALU_DEP_3)
	v_add_nc_u16 v0, v0, v6
	v_mov_b32_e32 v10, 0
	v_mov_b32_e32 v12, 0
	s_and_b32 s19, ttmp7, 0xffff
	s_lshr_b32 s20, ttmp7, 16
	v_lshrrev_b16 v0, 1, v0
	v_mov_b32_e32 v2, 0
	s_mov_b32 s21, exec_lo
	s_delay_alu instid0(VALU_DEP_2)
	v_and_b32_e32 v11, 0xffff, v0
	s_wait_kmcnt 0x0
	s_lshr_b32 s22, s2, 5
	s_delay_alu instid0(VALU_DEP_1) | instid1(SALU_CYCLE_1)
	v_cmpx_gt_u32_e64 s22, v11
	s_cbranch_execz .LBB35_4
; %bb.1:
	s_load_b128 s[12:15], s[0:1], 0x0
	s_mul_i32 s2, s17, s20
	s_mov_b32 s3, 0
	s_mul_hi_u32 s7, s7, s19
	v_dual_mov_b32 v2, 0 :: v_dual_lshlrev_b32 v1, 1, v6
	s_mul_hi_u32 s11, s11, s20
	s_mul_u64 s[26:27], s[2:3], 36
	s_mul_i32 s2, s9, s19
	s_add_co_i32 s7, s19, s7
	s_add_co_i32 s9, s20, s11
	s_mul_u64 s[28:29], s[2:3], 36
	s_lshr_b32 s2, s7, s23
	v_and_b32_e32 v3, 1, v6
	v_and_b32_e32 v0, 0xffff, v0
	v_dual_mov_b32 v5, 0 :: v_dual_and_b32 v4, 2, v1
	s_lshr_b32 s7, s9, s24
	s_mul_i32 s2, s2, s8
	s_mul_i32 s4, s4, ttmp9
	s_wait_kmcnt 0x0
	s_add_nc_u64 s[8:9], s[14:15], s[26:27]
	v_dual_mov_b32 v7, 0 :: v_dual_lshlrev_b32 v14, 2, v4
	s_add_nc_u64 s[8:9], s[8:9], s[28:29]
	v_dual_mov_b32 v4, 0 :: v_dual_lshlrev_b32 v13, 3, v3
	v_dual_mov_b32 v8, 0 :: v_dual_mov_b32 v3, 0
	v_mad_co_u64_u32 v[0:1], null, v0, 36, s[8:9]
	v_mov_b32_e32 v10, 0
	v_mov_b32_e32 v12, 0
	s_mul_i32 s7, s7, s16
	s_add_co_i32 s2, s2, s4
	s_lshl_b32 s4, s5, 1
	s_add_co_i32 s2, s7, s2
	s_mul_i32 s7, s5, 3
	s_lshl_b32 s11, s5, 2
	s_mul_i32 s14, s5, 5
	s_mul_i32 s15, s5, 6
	;; [unrolled: 1-line block ×3, first 2 shown]
.LBB35_2:                               ; =>This Inner Loop Header: Depth=1
	v_add_nc_u32_e32 v17, s2, v11
	v_add_nc_u32_e32 v21, s5, v11
	;; [unrolled: 1-line block ×5, first 2 shown]
	v_mad_co_i64_i32 v[17:18], null, v17, 20, s[12:13]
	v_mad_co_u64_u32 v[21:22], null, v21, 36, s[8:9]
	v_mad_co_u64_u32 v[23:24], null, v23, 36, s[8:9]
	v_add_nc_u32_e32 v29, s14, v11
	v_add_co_u32 v15, vcc_lo, v0, v13
	v_mad_co_u64_u32 v[25:26], null, v25, 36, s[8:9]
	v_add_nc_u32_e32 v31, s15, v11
	s_wait_alu 0xfffd
	v_add_co_ci_u32_e64 v16, null, 0, v1, vcc_lo
	v_mad_co_u64_u32 v[27:28], null, v27, 36, s[8:9]
	v_add_co_u32 v35, vcc_lo, v17, v14
	v_add_nc_u32_e32 v33, s16, v11
	v_mad_co_u64_u32 v[29:30], null, v29, 36, s[8:9]
	s_wait_alu 0xfffd
	v_add_co_ci_u32_e64 v36, null, 0, v18, vcc_lo
	v_add_co_u32 v37, vcc_lo, v21, v14
	v_mad_co_u64_u32 v[31:32], null, v31, 36, s[8:9]
	s_wait_alu 0xfffd
	v_add_co_ci_u32_e64 v38, null, 0, v22, vcc_lo
	v_add_co_u32 v39, vcc_lo, v23, v14
	global_load_b32 v51, v[0:1], off
	v_mad_co_u64_u32 v[33:34], null, v33, 36, s[8:9]
	s_wait_alu 0xfffd
	v_add_co_ci_u32_e64 v40, null, 0, v24, vcc_lo
	v_add_co_u32 v41, vcc_lo, v25, v14
	s_wait_alu 0xfffd
	v_add_co_ci_u32_e64 v42, null, 0, v26, vcc_lo
	v_add_co_u32 v43, vcc_lo, v27, v14
	;; [unrolled: 3-line block ×3, first 2 shown]
	s_clause 0x1
	global_load_b64 v[19:20], v[15:16], off offset:4
	global_load_b64 v[15:16], v[15:16], off offset:20
	s_wait_alu 0xfffd
	v_add_co_ci_u32_e64 v46, null, 0, v30, vcc_lo
	v_add_co_u32 v47, vcc_lo, v31, v14
	s_wait_alu 0xfffd
	v_add_co_ci_u32_e64 v48, null, 0, v32, vcc_lo
	v_add_co_u32 v49, vcc_lo, v33, v14
	s_wait_alu 0xfffd
	v_add_co_ci_u32_e64 v50, null, 0, v34, vcc_lo
	s_clause 0x1
	global_load_b64 v[35:36], v[35:36], off offset:4
	global_load_b32 v52, v[17:18], off
	s_clause 0x14
	global_load_b64 v[17:18], v[37:38], off offset:20
	global_load_b32 v53, v[23:24], off
	global_load_b32 v54, v[21:22], off
	;; [unrolled: 1-line block ×3, first 2 shown]
	global_load_b64 v[21:22], v[43:44], off offset:20
	global_load_b32 v56, v[27:28], off
	global_load_b64 v[23:24], v[45:46], off offset:20
	global_load_b32 v57, v[31:32], off
	global_load_b32 v58, v[29:30], off
	;; [unrolled: 1-line block ×3, first 2 shown]
	global_load_b64 v[25:26], v[37:38], off offset:4
	global_load_b64 v[27:28], v[39:40], off offset:4
	global_load_b64 v[29:30], v[41:42], off offset:4
	global_load_b64 v[31:32], v[43:44], off offset:4
	global_load_b64 v[33:34], v[45:46], off offset:4
	global_load_b64 v[37:38], v[47:48], off offset:4
	global_load_b64 v[43:44], v[49:50], off offset:4
	global_load_b64 v[39:40], v[39:40], off offset:20
	global_load_b64 v[41:42], v[41:42], off offset:20
	global_load_b64 v[45:46], v[47:48], off offset:20
	global_load_b64 v[47:48], v[49:50], off offset:20
	v_add_nc_u32_e32 v11, 16, v11
	v_add_co_u32 v0, vcc_lo, 0x240, v0
	s_wait_alu 0xfffd
	v_add_co_ci_u32_e64 v1, null, 0, v1, vcc_lo
	s_delay_alu instid0(VALU_DEP_3)
	v_cmp_le_u32_e32 vcc_lo, s22, v11
	s_or_b32 s3, vcc_lo, s3
	s_wait_loadcnt 0x16
	v_and_b32_e32 v49, 0xf0f0f0f, v35
	v_lshrrev_b32_e32 v35, 4, v35
	s_wait_loadcnt 0x15
	v_pk_mul_f16 v51, v52, v51
	s_wait_loadcnt 0x13
	v_pk_mul_f16 v53, v52, v53
	;; [unrolled: 2-line block ×4, first 2 shown]
	v_and_b32_e32 v35, 0xf0f0f0f, v35
	s_wait_loadcnt 0xf
	v_pk_mul_f16 v56, v52, v56
	v_lshrrev_b32_e32 v61, 16, v53
	s_wait_loadcnt 0xd
	v_pk_mul_f16 v57, v52, v57
	s_wait_loadcnt 0xc
	v_pk_mul_f16 v58, v52, v58
	;; [unrolled: 2-line block ×3, first 2 shown]
	v_dot4_i32_iu8 v19, v49, v19, 0 neg_lo:[1,1,0]
	v_lshrrev_b32_e32 v59, 16, v51
	s_wait_loadcnt 0xa
	v_dot4_i32_iu8 v25, v49, v25, 0 neg_lo:[1,1,0]
	v_lshrrev_b32_e32 v60, 16, v54
	s_wait_loadcnt 0x9
	v_dot4_i32_iu8 v27, v49, v27, 0 neg_lo:[1,1,0]
	s_wait_loadcnt 0x8
	v_dot4_i32_iu8 v29, v49, v29, 0 neg_lo:[1,1,0]
	;; [unrolled: 2-line block ×3, first 2 shown]
	v_lshrrev_b32_e32 v63, 16, v56
	s_wait_loadcnt 0x6
	v_dot4_i32_iu8 v33, v49, v33, 0 neg_lo:[1,1,0]
	s_wait_loadcnt 0x5
	v_dot4_i32_iu8 v37, v49, v37, 0 neg_lo:[1,1,0]
	v_lshrrev_b32_e32 v64, 16, v58
	s_wait_loadcnt 0x4
	v_dot4_i32_iu8 v43, v49, v43, 0 neg_lo:[1,1,0]
	v_dot4_i32_iu8 v15, v35, v15, v19 neg_lo:[1,1,0]
	v_cvt_f32_f16_e32 v19, v59
	v_and_b32_e32 v50, 0xf0f0f0f, v36
	v_lshrrev_b32_e32 v36, 4, v36
	v_dot4_i32_iu8 v17, v35, v17, v25 neg_lo:[1,1,0]
	v_cvt_f32_f16_e32 v25, v60
	s_wait_loadcnt 0x3
	v_dot4_i32_iu8 v27, v35, v39, v27 neg_lo:[1,1,0]
	s_wait_loadcnt 0x2
	v_dot4_i32_iu8 v29, v35, v41, v29 neg_lo:[1,1,0]
	v_dot4_i32_iu8 v21, v35, v21, v31 neg_lo:[1,1,0]
	v_cvt_f32_f16_e32 v31, v63
	v_dot4_i32_iu8 v23, v35, v23, v33 neg_lo:[1,1,0]
	s_wait_loadcnt 0x1
	v_dot4_i32_iu8 v37, v35, v45, v37 neg_lo:[1,1,0]
	v_and_b32_e32 v36, 0xf0f0f0f, v36
	v_lshrrev_b32_e32 v62, 16, v55
	v_lshrrev_b32_e32 v65, 16, v57
	v_cvt_f32_f16_e32 v33, v64
	s_wait_loadcnt 0x0
	v_dot4_i32_iu8 v35, v35, v47, v43 neg_lo:[1,1,0]
	v_mul_f32_e32 v19, 0.5, v19
	v_dot4_i32_iu8 v15, v50, v20, v15 neg_lo:[1,1,0]
	v_dot4_i32_iu8 v17, v50, v26, v17 neg_lo:[1,1,0]
	v_mul_f32_e32 v20, 0.5, v25
	v_dot4_i32_iu8 v25, v50, v28, v27 neg_lo:[1,1,0]
	v_dot4_i32_iu8 v27, v50, v30, v29 neg_lo:[1,1,0]
	;; [unrolled: 1-line block ×3, first 2 shown]
	v_mul_f32_e32 v29, 0.5, v31
	v_dot4_i32_iu8 v23, v50, v34, v23 neg_lo:[1,1,0]
	v_dot4_i32_iu8 v31, v50, v38, v37 neg_lo:[1,1,0]
	v_lshrrev_b32_e32 v49, 16, v52
	v_cvt_f32_f16_e32 v41, v62
	v_cvt_f32_f16_e32 v45, v65
	v_mul_f32_e32 v30, 0.5, v33
	v_dot4_i32_iu8 v33, v50, v44, v35 neg_lo:[1,1,0]
	v_dot4_i32_iu8 v15, v36, v16, v15 neg_lo:[1,1,0]
	;; [unrolled: 1-line block ×7, first 2 shown]
	v_cvt_f32_f16_e32 v39, v61
	v_cvt_f32_f16_e32 v43, v49
	v_mul_f32_e32 v28, 0.5, v41
	v_mul_f32_e32 v32, 0.5, v45
	v_dot4_i32_iu8 v17, v36, v40, v25 neg_lo:[1,1,0]
	v_dot4_i32_iu8 v24, v36, v48, v33 neg_lo:[1,1,0]
	v_cvt_f32_i32_e32 v15, v15
	v_cvt_f32_i32_e32 v18, v18
	;; [unrolled: 1-line block ×8, first 2 shown]
	v_fma_mix_f32 v15, v15, v51, v19 op_sel_hi:[0,1,0]
	v_fma_mix_f32 v18, v18, v55, v28 op_sel_hi:[0,1,0]
	v_mul_f32_e32 v26, 0.5, v39
	v_fma_mix_f32 v19, v21, v56, v29 op_sel_hi:[0,1,0]
	v_fma_mix_f32 v21, v23, v57, v32 op_sel_hi:[0,1,0]
	v_mul_f32_e32 v34, 0.5, v43
	v_fma_mix_f32 v16, v16, v54, v20 op_sel_hi:[0,1,0]
	v_fma_mix_f32 v20, v22, v58, v30 op_sel_hi:[0,1,0]
	v_add_f32_e32 v7, v7, v18
	v_fma_mix_f32 v17, v17, v53, v26 op_sel_hi:[0,1,0]
	v_add_f32_e32 v3, v3, v21
	;; [unrolled: 2-line block ×3, first 2 shown]
	v_add_f32_e32 v10, v10, v16
	v_dual_add_f32 v8, v8, v17 :: v_dual_add_f32 v5, v5, v19
	v_add_f32_e32 v4, v4, v20
	v_add_f32_e32 v2, v2, v22
	s_wait_alu 0xfffe
	s_and_not1_b32 exec_lo, exec_lo, s3
	s_cbranch_execnz .LBB35_2
; %bb.3:
	s_or_b32 exec_lo, exec_lo, s3
.LBB35_4:
	s_delay_alu instid0(SALU_CYCLE_1)
	s_or_b32 exec_lo, exec_lo, s21
	s_mov_b32 s3, 0
	; wave barrier
	global_inv scope:SCOPE_SE
	s_mov_b32 s2, exec_lo
	v_cmpx_eq_u32_e32 0, v9
	s_cbranch_execz .LBB35_21
; %bb.5:
	v_mbcnt_lo_u32_b32 v13, -1, 0
	s_load_b64 s[0:1], s[0:1], 0x38
	s_mul_i32 s2, s10, s19
	s_mul_i32 s4, s18, s20
	s_wait_alu 0xfffe
	s_add_co_i32 s2, s2, ttmp9
	v_xor_b32_e32 v0, 16, v13
	v_xor_b32_e32 v1, 8, v13
	s_wait_alu 0xfffe
	s_add_co_i32 s2, s2, s4
	s_wait_alu 0xfffe
	s_lshl_b64 s[2:3], s[2:3], 2
	v_cmp_gt_i32_e32 vcc_lo, 32, v0
	s_wait_alu 0xfffd
	v_cndmask_b32_e32 v0, v13, v0, vcc_lo
	v_cmp_gt_i32_e32 vcc_lo, 32, v1
	s_wait_alu 0xfffd
	v_cndmask_b32_e32 v1, v13, v1, vcc_lo
	s_wait_kmcnt 0x0
	s_wait_alu 0xfffe
	s_add_nc_u64 s[0:1], s[0:1], s[2:3]
	s_delay_alu instid0(VALU_DEP_1)
	v_lshlrev_b32_e32 v1, 2, v1
	v_lshlrev_b32_e32 v0, 2, v0
	ds_bpermute_b32 v9, v0, v12
	s_wait_dscnt 0x0
	v_add_f32_e32 v11, v12, v9
	v_xor_b32_e32 v9, 4, v13
	ds_bpermute_b32 v12, v1, v11
	v_cmp_gt_i32_e32 vcc_lo, 32, v9
	s_wait_dscnt 0x0
	s_wait_alu 0xfffd
	v_dual_add_f32 v12, v11, v12 :: v_dual_cndmask_b32 v9, v13, v9
	v_xor_b32_e32 v11, 2, v13
	s_delay_alu instid0(VALU_DEP_2) | instskip(NEXT) | instid1(VALU_DEP_2)
	v_lshlrev_b32_e32 v9, 2, v9
	v_cmp_gt_i32_e32 vcc_lo, 32, v11
	ds_bpermute_b32 v14, v9, v12
	s_wait_dscnt 0x0
	s_wait_alu 0xfffd
	v_dual_cndmask_b32 v11, v13, v11 :: v_dual_add_f32 v14, v12, v14
	v_xor_b32_e32 v12, 1, v13
	s_delay_alu instid0(VALU_DEP_1) | instskip(SKIP_3) | instid1(VALU_DEP_2)
	v_cmp_gt_i32_e32 vcc_lo, 32, v12
	s_wait_alu 0xfffd
	v_cndmask_b32_e32 v12, v13, v12, vcc_lo
	v_cmp_eq_u32_e32 vcc_lo, 0, v6
	v_lshlrev_b32_e32 v12, 2, v12
	v_lshlrev_b32_e32 v11, 2, v11
	ds_bpermute_b32 v15, v11, v14
	s_wait_dscnt 0x0
	v_add_f32_e32 v13, v14, v15
	ds_bpermute_b32 v14, v12, v13
	s_and_saveexec_b32 s2, vcc_lo
	s_cbranch_execz .LBB35_7
; %bb.6:
	s_wait_dscnt 0x0
	v_dual_add_f32 v6, v13, v14 :: v_dual_mov_b32 v13, 0
	global_store_b32 v13, v6, s[0:1]
.LBB35_7:
	s_wait_alu 0xfffe
	s_or_b32 exec_lo, exec_lo, s2
	ds_bpermute_b32 v6, v0, v10
	s_wait_dscnt 0x0
	v_add_f32_e32 v6, v10, v6
	ds_bpermute_b32 v10, v1, v6
	s_wait_dscnt 0x0
	v_add_f32_e32 v6, v6, v10
	;; [unrolled: 3-line block ×4, first 2 shown]
	ds_bpermute_b32 v10, v12, v6
	s_and_saveexec_b32 s2, vcc_lo
	s_cbranch_execz .LBB35_9
; %bb.8:
	s_mov_b32 s7, 0
	s_wait_dscnt 0x0
	v_add_f32_e32 v6, v6, v10
	v_mov_b32_e32 v10, 0
	s_wait_alu 0xfffe
	s_lshl_b64 s[4:5], s[6:7], 2
	s_wait_alu 0xfffe
	s_add_nc_u64 s[4:5], s[0:1], s[4:5]
	global_store_b32 v10, v6, s[4:5]
.LBB35_9:
	s_wait_alu 0xfffe
	s_or_b32 exec_lo, exec_lo, s2
	ds_bpermute_b32 v6, v0, v8
	s_wait_dscnt 0x0
	v_add_f32_e32 v6, v8, v6
	ds_bpermute_b32 v8, v1, v6
	s_wait_dscnt 0x0
	v_add_f32_e32 v6, v6, v8
	;; [unrolled: 3-line block ×4, first 2 shown]
	ds_bpermute_b32 v8, v12, v6
	s_and_saveexec_b32 s2, vcc_lo
	s_cbranch_execz .LBB35_11
; %bb.10:
	s_lshl_b32 s4, s6, 1
	s_mov_b32 s5, 0
	s_wait_dscnt 0x0
	v_add_f32_e32 v6, v6, v8
	v_mov_b32_e32 v8, 0
	s_wait_alu 0xfffe
	s_lshl_b64 s[4:5], s[4:5], 2
	s_wait_alu 0xfffe
	s_add_nc_u64 s[4:5], s[0:1], s[4:5]
	global_store_b32 v8, v6, s[4:5]
.LBB35_11:
	s_wait_alu 0xfffe
	s_or_b32 exec_lo, exec_lo, s2
	ds_bpermute_b32 v6, v0, v7
	s_wait_dscnt 0x0
	v_add_f32_e32 v6, v7, v6
	ds_bpermute_b32 v7, v1, v6
	s_wait_dscnt 0x0
	v_add_f32_e32 v6, v6, v7
	;; [unrolled: 3-line block ×4, first 2 shown]
	ds_bpermute_b32 v7, v12, v6
	s_and_saveexec_b32 s2, vcc_lo
	s_cbranch_execz .LBB35_13
; %bb.12:
	s_mul_i32 s4, s6, 3
	s_mov_b32 s5, 0
	s_wait_dscnt 0x0
	v_dual_add_f32 v6, v6, v7 :: v_dual_mov_b32 v7, 0
	s_wait_alu 0xfffe
	s_lshl_b64 s[4:5], s[4:5], 2
	s_wait_alu 0xfffe
	s_add_nc_u64 s[4:5], s[0:1], s[4:5]
	global_store_b32 v7, v6, s[4:5]
.LBB35_13:
	s_wait_alu 0xfffe
	s_or_b32 exec_lo, exec_lo, s2
	ds_bpermute_b32 v6, v0, v5
	s_wait_dscnt 0x0
	v_add_f32_e32 v5, v5, v6
	ds_bpermute_b32 v6, v1, v5
	s_wait_dscnt 0x0
	v_add_f32_e32 v5, v5, v6
	;; [unrolled: 3-line block ×4, first 2 shown]
	ds_bpermute_b32 v6, v12, v5
	s_and_saveexec_b32 s2, vcc_lo
	s_cbranch_execz .LBB35_15
; %bb.14:
	s_lshl_b32 s4, s6, 2
	s_mov_b32 s5, 0
	s_wait_dscnt 0x0
	v_dual_add_f32 v5, v5, v6 :: v_dual_mov_b32 v6, 0
	s_wait_alu 0xfffe
	s_lshl_b64 s[4:5], s[4:5], 2
	s_wait_alu 0xfffe
	s_add_nc_u64 s[4:5], s[0:1], s[4:5]
	global_store_b32 v6, v5, s[4:5]
.LBB35_15:
	s_wait_alu 0xfffe
	s_or_b32 exec_lo, exec_lo, s2
	ds_bpermute_b32 v5, v0, v4
	s_wait_dscnt 0x0
	v_add_f32_e32 v4, v4, v5
	ds_bpermute_b32 v5, v1, v4
	s_wait_dscnt 0x0
	v_add_f32_e32 v4, v4, v5
	;; [unrolled: 3-line block ×4, first 2 shown]
	ds_bpermute_b32 v5, v12, v4
	s_and_saveexec_b32 s2, vcc_lo
	s_cbranch_execz .LBB35_17
; %bb.16:
	s_mul_i32 s4, s6, 5
	s_mov_b32 s5, 0
	s_wait_dscnt 0x0
	v_dual_add_f32 v4, v4, v5 :: v_dual_mov_b32 v5, 0
	s_wait_alu 0xfffe
	s_lshl_b64 s[4:5], s[4:5], 2
	s_wait_alu 0xfffe
	s_add_nc_u64 s[4:5], s[0:1], s[4:5]
	global_store_b32 v5, v4, s[4:5]
.LBB35_17:
	s_wait_alu 0xfffe
	s_or_b32 exec_lo, exec_lo, s2
	ds_bpermute_b32 v4, v0, v3
	s_wait_dscnt 0x0
	v_add_f32_e32 v3, v3, v4
	ds_bpermute_b32 v4, v1, v3
	s_wait_dscnt 0x0
	v_add_f32_e32 v3, v3, v4
	;; [unrolled: 3-line block ×4, first 2 shown]
	ds_bpermute_b32 v4, v12, v3
	s_and_saveexec_b32 s2, vcc_lo
	s_cbranch_execz .LBB35_19
; %bb.18:
	s_mul_i32 s4, s6, 6
	s_mov_b32 s5, 0
	s_wait_dscnt 0x0
	v_dual_add_f32 v3, v3, v4 :: v_dual_mov_b32 v4, 0
	s_wait_alu 0xfffe
	s_lshl_b64 s[4:5], s[4:5], 2
	s_wait_alu 0xfffe
	s_add_nc_u64 s[4:5], s[0:1], s[4:5]
	global_store_b32 v4, v3, s[4:5]
.LBB35_19:
	s_wait_alu 0xfffe
	s_or_b32 exec_lo, exec_lo, s2
	ds_bpermute_b32 v0, v0, v2
	s_wait_dscnt 0x0
	v_add_f32_e32 v0, v2, v0
	ds_bpermute_b32 v1, v1, v0
	s_wait_dscnt 0x0
	v_add_f32_e32 v0, v0, v1
	;; [unrolled: 3-line block ×4, first 2 shown]
	ds_bpermute_b32 v1, v12, v0
	s_and_b32 exec_lo, exec_lo, vcc_lo
	s_cbranch_execz .LBB35_21
; %bb.20:
	s_mul_i32 s2, s6, 7
	s_mov_b32 s3, 0
	s_wait_dscnt 0x0
	v_dual_add_f32 v0, v0, v1 :: v_dual_mov_b32 v1, 0
	s_wait_alu 0xfffe
	s_lshl_b64 s[2:3], s[2:3], 2
	s_wait_alu 0xfffe
	s_add_nc_u64 s[0:1], s[0:1], s[2:3]
	global_store_b32 v1, v0, s[0:1]
.LBB35_21:
	s_endpgm
	.section	.rodata,"a",@progbits
	.p2align	6, 0x0
	.amdhsa_kernel _ZL13mul_mat_vec_qIL9ggml_type3ELi8ELb0ELb0EEvPKvS2_PKi31ggml_cuda_mm_fusion_args_devicePfj15HIP_vector_typeIjLj3EEjjjS8_jjjS8_jjjj
		.amdhsa_group_segment_fixed_size 0
		.amdhsa_private_segment_fixed_size 0
		.amdhsa_kernarg_size 144
		.amdhsa_user_sgpr_count 2
		.amdhsa_user_sgpr_dispatch_ptr 0
		.amdhsa_user_sgpr_queue_ptr 0
		.amdhsa_user_sgpr_kernarg_segment_ptr 1
		.amdhsa_user_sgpr_dispatch_id 0
		.amdhsa_user_sgpr_private_segment_size 0
		.amdhsa_wavefront_size32 1
		.amdhsa_uses_dynamic_stack 0
		.amdhsa_enable_private_segment 0
		.amdhsa_system_sgpr_workgroup_id_x 1
		.amdhsa_system_sgpr_workgroup_id_y 1
		.amdhsa_system_sgpr_workgroup_id_z 1
		.amdhsa_system_sgpr_workgroup_info 0
		.amdhsa_system_vgpr_workitem_id 1
		.amdhsa_next_free_vgpr 66
		.amdhsa_next_free_sgpr 30
		.amdhsa_reserve_vcc 1
		.amdhsa_float_round_mode_32 0
		.amdhsa_float_round_mode_16_64 0
		.amdhsa_float_denorm_mode_32 3
		.amdhsa_float_denorm_mode_16_64 3
		.amdhsa_fp16_overflow 0
		.amdhsa_workgroup_processor_mode 1
		.amdhsa_memory_ordered 1
		.amdhsa_forward_progress 1
		.amdhsa_inst_pref_size 23
		.amdhsa_round_robin_scheduling 0
		.amdhsa_exception_fp_ieee_invalid_op 0
		.amdhsa_exception_fp_denorm_src 0
		.amdhsa_exception_fp_ieee_div_zero 0
		.amdhsa_exception_fp_ieee_overflow 0
		.amdhsa_exception_fp_ieee_underflow 0
		.amdhsa_exception_fp_ieee_inexact 0
		.amdhsa_exception_int_div_zero 0
	.end_amdhsa_kernel
	.section	.text._ZL13mul_mat_vec_qIL9ggml_type3ELi8ELb0ELb0EEvPKvS2_PKi31ggml_cuda_mm_fusion_args_devicePfj15HIP_vector_typeIjLj3EEjjjS8_jjjS8_jjjj,"axG",@progbits,_ZL13mul_mat_vec_qIL9ggml_type3ELi8ELb0ELb0EEvPKvS2_PKi31ggml_cuda_mm_fusion_args_devicePfj15HIP_vector_typeIjLj3EEjjjS8_jjjS8_jjjj,comdat
.Lfunc_end35:
	.size	_ZL13mul_mat_vec_qIL9ggml_type3ELi8ELb0ELb0EEvPKvS2_PKi31ggml_cuda_mm_fusion_args_devicePfj15HIP_vector_typeIjLj3EEjjjS8_jjjS8_jjjj, .Lfunc_end35-_ZL13mul_mat_vec_qIL9ggml_type3ELi8ELb0ELb0EEvPKvS2_PKi31ggml_cuda_mm_fusion_args_devicePfj15HIP_vector_typeIjLj3EEjjjS8_jjjS8_jjjj
                                        ; -- End function
	.set _ZL13mul_mat_vec_qIL9ggml_type3ELi8ELb0ELb0EEvPKvS2_PKi31ggml_cuda_mm_fusion_args_devicePfj15HIP_vector_typeIjLj3EEjjjS8_jjjS8_jjjj.num_vgpr, 66
	.set _ZL13mul_mat_vec_qIL9ggml_type3ELi8ELb0ELb0EEvPKvS2_PKi31ggml_cuda_mm_fusion_args_devicePfj15HIP_vector_typeIjLj3EEjjjS8_jjjS8_jjjj.num_agpr, 0
	.set _ZL13mul_mat_vec_qIL9ggml_type3ELi8ELb0ELb0EEvPKvS2_PKi31ggml_cuda_mm_fusion_args_devicePfj15HIP_vector_typeIjLj3EEjjjS8_jjjS8_jjjj.numbered_sgpr, 30
	.set _ZL13mul_mat_vec_qIL9ggml_type3ELi8ELb0ELb0EEvPKvS2_PKi31ggml_cuda_mm_fusion_args_devicePfj15HIP_vector_typeIjLj3EEjjjS8_jjjS8_jjjj.num_named_barrier, 0
	.set _ZL13mul_mat_vec_qIL9ggml_type3ELi8ELb0ELb0EEvPKvS2_PKi31ggml_cuda_mm_fusion_args_devicePfj15HIP_vector_typeIjLj3EEjjjS8_jjjS8_jjjj.private_seg_size, 0
	.set _ZL13mul_mat_vec_qIL9ggml_type3ELi8ELb0ELb0EEvPKvS2_PKi31ggml_cuda_mm_fusion_args_devicePfj15HIP_vector_typeIjLj3EEjjjS8_jjjS8_jjjj.uses_vcc, 1
	.set _ZL13mul_mat_vec_qIL9ggml_type3ELi8ELb0ELb0EEvPKvS2_PKi31ggml_cuda_mm_fusion_args_devicePfj15HIP_vector_typeIjLj3EEjjjS8_jjjS8_jjjj.uses_flat_scratch, 0
	.set _ZL13mul_mat_vec_qIL9ggml_type3ELi8ELb0ELb0EEvPKvS2_PKi31ggml_cuda_mm_fusion_args_devicePfj15HIP_vector_typeIjLj3EEjjjS8_jjjS8_jjjj.has_dyn_sized_stack, 0
	.set _ZL13mul_mat_vec_qIL9ggml_type3ELi8ELb0ELb0EEvPKvS2_PKi31ggml_cuda_mm_fusion_args_devicePfj15HIP_vector_typeIjLj3EEjjjS8_jjjS8_jjjj.has_recursion, 0
	.set _ZL13mul_mat_vec_qIL9ggml_type3ELi8ELb0ELb0EEvPKvS2_PKi31ggml_cuda_mm_fusion_args_devicePfj15HIP_vector_typeIjLj3EEjjjS8_jjjS8_jjjj.has_indirect_call, 0
	.section	.AMDGPU.csdata,"",@progbits
; Kernel info:
; codeLenInByte = 2940
; TotalNumSgprs: 32
; NumVgprs: 66
; ScratchSize: 0
; MemoryBound: 0
; FloatMode: 240
; IeeeMode: 1
; LDSByteSize: 0 bytes/workgroup (compile time only)
; SGPRBlocks: 0
; VGPRBlocks: 8
; NumSGPRsForWavesPerEU: 32
; NumVGPRsForWavesPerEU: 66
; Occupancy: 16
; WaveLimiterHint : 0
; COMPUTE_PGM_RSRC2:SCRATCH_EN: 0
; COMPUTE_PGM_RSRC2:USER_SGPR: 2
; COMPUTE_PGM_RSRC2:TRAP_HANDLER: 0
; COMPUTE_PGM_RSRC2:TGID_X_EN: 1
; COMPUTE_PGM_RSRC2:TGID_Y_EN: 1
; COMPUTE_PGM_RSRC2:TGID_Z_EN: 1
; COMPUTE_PGM_RSRC2:TIDIG_COMP_CNT: 1
	.section	.text._ZL17mul_mat_vec_q_moeIL9ggml_type6ELi2EEvPKvS2_PKiPfj15HIP_vector_typeIjLj3EEjjjjjjjjj,"axG",@progbits,_ZL17mul_mat_vec_q_moeIL9ggml_type6ELi2EEvPKvS2_PKiPfj15HIP_vector_typeIjLj3EEjjjjjjjjj,comdat
	.globl	_ZL17mul_mat_vec_q_moeIL9ggml_type6ELi2EEvPKvS2_PKiPfj15HIP_vector_typeIjLj3EEjjjjjjjjj ; -- Begin function _ZL17mul_mat_vec_q_moeIL9ggml_type6ELi2EEvPKvS2_PKiPfj15HIP_vector_typeIjLj3EEjjjjjjjjj
	.p2align	8
	.type	_ZL17mul_mat_vec_q_moeIL9ggml_type6ELi2EEvPKvS2_PKiPfj15HIP_vector_typeIjLj3EEjjjjjjjjj,@function
_ZL17mul_mat_vec_q_moeIL9ggml_type6ELi2EEvPKvS2_PKiPfj15HIP_vector_typeIjLj3EEjjjjjjjjj: ; @_ZL17mul_mat_vec_q_moeIL9ggml_type6ELi2EEvPKvS2_PKiPfj15HIP_vector_typeIjLj3EEjjjjjjjjj
; %bb.0:
	s_load_b256 s[4:11], s[0:1], 0x30
	v_bfe_u32 v6, v0, 10, 10
	s_mov_b32 s2, exec_lo
	s_wait_kmcnt 0x0
	s_delay_alu instid0(VALU_DEP_1)
	v_cmpx_gt_u32_e64 s11, v6
	s_cbranch_execz .LBB36_7
; %bb.1:
	s_clause 0x2
	s_load_b32 s2, s[0:1], 0x20
	s_load_b32 s20, s[0:1], 0x50
	s_load_b256 s[12:19], s[0:1], 0x0
	v_bfe_u32 v8, v0, 1, 9
	v_dual_mov_b32 v0, 0 :: v_dual_and_b32 v7, 0x3ff, v0
	v_mov_b32_e32 v1, 0
	s_mov_b32 s11, exec_lo
	s_wait_kmcnt 0x0
	s_lshr_b32 s3, s2, 5
	s_lshl_b32 s2, ttmp9, 1
	v_cmpx_gt_u32_e64 s3, v8
	s_cbranch_execz .LBB36_5
; %bb.2:
	s_mov_b32 s22, ttmp7
	v_lshrrev_b32_e32 v5, 1, v7
	v_mad_co_u64_u32 v[0:1], null, s20, v6, s[22:23]
	v_dual_mov_b32 v1, 0 :: v_dual_and_b32 v4, 1, v7
	s_load_b96 s[20:22], s[0:1], 0x24
	s_mov_b32 s1, 0
	s_delay_alu instid0(VALU_DEP_1) | instskip(NEXT) | instid1(VALU_DEP_2)
	v_lshlrev_b32_e32 v9, 3, v4
	v_lshlrev_b64_e32 v[2:3], 2, v[0:1]
	s_delay_alu instid0(VALU_DEP_1) | instskip(NEXT) | instid1(VALU_DEP_1)
	v_add_co_u32 v2, vcc_lo, s16, v2
	v_add_co_ci_u32_e64 v3, null, s17, v3, vcc_lo
	global_load_b32 v0, v[2:3], off
	v_mul_lo_u32 v2, s6, v6
	v_lshlrev_b32_e32 v3, 1, v7
	s_wait_kmcnt 0x0
	s_mul_hi_u32 s0, s20, ttmp7
	s_add_co_i32 s6, s2, 1
	s_add_co_i32 s0, ttmp7, s0
	v_and_b32_e32 v11, 2, v3
	s_lshr_b32 s0, s0, s21
	v_mad_co_u64_u32 v[2:3], null, v2, 36, 0
	s_mul_i32 s0, s0, s22
	v_lshlrev_b32_e32 v10, 2, v11
	s_sub_co_i32 s0, ttmp7, s0
	v_lshlrev_b32_e32 v14, 1, v11
	s_mul_i32 s0, s0, s9
	v_mad_co_u64_u32 v[12:13], null, v5, 36, v[2:3]
	v_or_b32_e32 v11, 4, v10
	s_wait_loadcnt 0x0
	v_mul_lo_u32 v0, v0, s8
	s_mul_u64 s[8:9], s[0:1], 36
	s_wait_alu 0xfffe
	s_add_nc_u64 s[8:9], s[14:15], s[8:9]
	s_delay_alu instid0(VALU_DEP_1)
	v_mad_co_u64_u32 v[2:3], null, s2, s5, v[0:1]
	v_mad_co_u64_u32 v[3:4], null, s5, s6, v[0:1]
	s_wait_alu 0xfffe
	v_add_co_u32 v4, vcc_lo, s8, v12
	s_wait_alu 0xfffd
	v_add_co_ci_u32_e64 v5, null, s9, v13, vcc_lo
	v_lshlrev_b32_e32 v12, 1, v14
	v_mov_b32_e32 v0, v1
.LBB36_3:                               ; =>This Inner Loop Header: Depth=1
	v_add_nc_u32_e32 v13, v2, v8
	v_add_nc_u32_e32 v15, v3, v8
	;; [unrolled: 1-line block ×3, first 2 shown]
	s_delay_alu instid0(VALU_DEP_3) | instskip(NEXT) | instid1(VALU_DEP_3)
	v_mad_co_i64_i32 v[13:14], null, v13, 22, s[12:13]
	v_mad_co_i64_i32 v[15:16], null, v15, 22, s[12:13]
	s_delay_alu instid0(VALU_DEP_3)
	v_cmp_le_u32_e64 s0, s3, v8
	s_clause 0x1
	global_load_b32 v25, v[13:14], off offset:2
	global_load_b32 v26, v[15:16], off offset:2
	v_add_co_u32 v17, vcc_lo, v13, v12
	s_wait_alu 0xfffd
	v_add_co_ci_u32_e64 v18, null, 0, v14, vcc_lo
	v_add_co_u32 v19, vcc_lo, v15, v12
	s_wait_alu 0xfffd
	v_add_co_ci_u32_e64 v20, null, 0, v16, vcc_lo
	s_clause 0x1
	global_load_b64 v[17:18], v[17:18], off offset:6
	global_load_b64 v[19:20], v[19:20], off offset:6
	v_add_co_u32 v21, vcc_lo, v4, v9
	s_wait_alu 0xfffd
	v_add_co_ci_u32_e64 v22, null, 0, v5, vcc_lo
	s_clause 0x2
	global_load_b64 v[23:24], v[21:22], off offset:4
	global_load_b64 v[21:22], v[21:22], off offset:20
	global_load_b32 v27, v[4:5], off
	s_clause 0x1
	global_load_u16 v15, v[15:16], off
	global_load_u16 v13, v[13:14], off
	v_add_co_u32 v4, vcc_lo, 0x240, v4
	s_wait_alu 0xfffd
	v_add_co_ci_u32_e64 v5, null, 0, v5, vcc_lo
	s_or_b32 s1, s0, s1
	s_wait_loadcnt 0x8
	v_ashrrev_i32_e32 v14, v10, v25
	v_ashrrev_i32_e32 v16, v11, v25
	s_wait_loadcnt 0x7
	v_ashrrev_i32_e32 v25, v10, v26
	v_ashrrev_i32_e32 v26, v11, v26
	v_lshlrev_b32_e32 v29, 4, v14
	v_lshlrev_b32_e32 v30, 11, v14
	s_delay_alu instid0(VALU_DEP_4)
	v_lshlrev_b32_e32 v45, 4, v25
	v_lshlrev_b32_e32 v46, 11, v25
	;; [unrolled: 1-line block ×4, first 2 shown]
	s_wait_loadcnt 0x6
	v_and_b32_e32 v28, 0xf0f0f0f, v17
	v_lshrrev_b32_e32 v33, 12, v14
	v_lshrrev_b32_e32 v34, 5, v14
	v_lshlrev_b32_e32 v35, 2, v14
	s_wait_loadcnt 0x5
	v_and_b32_e32 v44, 0xf0f0f0f, v19
	v_lshlrev_b32_e32 v47, 18, v25
	v_lshlrev_b32_e32 v48, 25, v25
	v_lshrrev_b32_e32 v49, 12, v25
	v_lshrrev_b32_e32 v50, 5, v25
	v_lshlrev_b32_e32 v51, 2, v25
	v_and_b32_e32 v29, 16, v29
	v_and_b32_e32 v30, 0x1000, v30
	;; [unrolled: 1-line block ×4, first 2 shown]
	v_lshrrev_b32_e32 v17, 4, v17
	v_lshlrev_b32_e32 v14, 9, v14
	v_lshlrev_b32_e32 v37, 4, v16
	;; [unrolled: 1-line block ×4, first 2 shown]
	v_lshrrev_b32_e32 v19, 4, v19
	v_lshlrev_b32_e32 v25, 9, v25
	v_lshlrev_b32_e32 v53, 4, v26
	;; [unrolled: 1-line block ×4, first 2 shown]
	v_and_b32_e32 v31, 0x100000, v31
	v_and_b32_e32 v32, 0x10000000, v32
	;; [unrolled: 1-line block ×10, first 2 shown]
	v_or3_b32 v28, v29, v28, v30
	v_or3_b32 v30, v45, v44, v46
	v_lshlrev_b32_e32 v40, 25, v16
	v_lshrrev_b32_e32 v41, 12, v16
	v_lshrrev_b32_e32 v42, 5, v16
	v_lshlrev_b32_e32 v43, 2, v16
	v_lshlrev_b32_e32 v56, 25, v26
	v_lshrrev_b32_e32 v57, 12, v26
	v_lshrrev_b32_e32 v58, 5, v26
	v_lshlrev_b32_e32 v59, 2, v26
	v_and_b32_e32 v17, 0xf0f0f0f, v17
	v_and_b32_e32 v14, 0x10000000, v14
	v_and_b32_e32 v37, 16, v37
	v_and_b32_e32 v38, 0x1000, v38
	v_and_b32_e32 v39, 0x100000, v39
	v_and_b32_e32 v19, 0xf0f0f0f, v19
	v_and_b32_e32 v25, 0x10000000, v25
	v_and_b32_e32 v53, 16, v53
	v_and_b32_e32 v54, 0x1000, v54
	v_and_b32_e32 v55, 0x100000, v55
	v_or3_b32 v29, v34, v33, v35
	v_or3_b32 v35, v50, v49, v51
	v_or3_b32 v28, v28, v31, v32
	v_or3_b32 v30, v30, v47, v48
	v_and_b32_e32 v36, 0xf0f0f0f, v18
	v_lshrrev_b32_e32 v18, 4, v18
	v_lshlrev_b32_e32 v16, 9, v16
	v_and_b32_e32 v52, 0xf0f0f0f, v20
	v_lshrrev_b32_e32 v20, 4, v20
	v_lshlrev_b32_e32 v26, 9, v26
	v_and_b32_e32 v40, 0x10000000, v40
	v_and_b32_e32 v41, 16, v41
	;; [unrolled: 1-line block ×8, first 2 shown]
	v_or3_b32 v33, v38, v37, v39
	v_or3_b32 v31, v54, v53, v55
	;; [unrolled: 1-line block ×4, first 2 shown]
	s_wait_loadcnt 0x4
	v_dot4_i32_iu8 v19, v28, v23, 0 neg_lo:[1,1,0]
	v_dot4_i32_iu8 v23, v30, v23, 0 neg_lo:[1,1,0]
	v_and_b32_e32 v18, 0xf0f0f0f, v18
	v_and_b32_e32 v16, 0x10000000, v16
	;; [unrolled: 1-line block ×4, first 2 shown]
	v_or3_b32 v34, v42, v41, v43
	v_or3_b32 v25, v58, v57, v59
	;; [unrolled: 1-line block ×4, first 2 shown]
	s_wait_loadcnt 0x3
	v_dot4_i32_iu8 v14, v14, v21, v19 neg_lo:[1,1,0]
	v_dot4_i32_iu8 v17, v17, v21, v23 neg_lo:[1,1,0]
	s_wait_loadcnt 0x2
	v_lshrrev_b32_e32 v19, 16, v27
	v_or3_b32 v16, v34, v16, v18
	v_or3_b32 v18, v25, v26, v20
	v_dot4_i32_iu8 v14, v28, v24, v14 neg_lo:[1,1,0]
	v_dot4_i32_iu8 v17, v29, v24, v17 neg_lo:[1,1,0]
	v_cvt_f32_f16_e32 v19, v19
	s_delay_alu instid0(VALU_DEP_3) | instskip(NEXT) | instid1(VALU_DEP_3)
	v_dot4_i32_iu8 v14, v16, v22, v14 neg_lo:[1,1,0]
	v_dot4_i32_iu8 v16, v18, v22, v17 neg_lo:[1,1,0]
	s_delay_alu instid0(VALU_DEP_3) | instskip(NEXT) | instid1(VALU_DEP_3)
	v_mul_f32_e32 v17, 0xc1000000, v19
	v_cvt_f32_i32_e32 v14, v14
	s_delay_alu instid0(VALU_DEP_3) | instskip(NEXT) | instid1(VALU_DEP_2)
	v_cvt_f32_i32_e32 v16, v16
	v_fma_mix_f32 v14, v27, v14, v17 op_sel_hi:[1,0,0]
	s_delay_alu instid0(VALU_DEP_2) | instskip(SKIP_1) | instid1(VALU_DEP_2)
	v_fma_mix_f32 v16, v27, v16, v17 op_sel_hi:[1,0,0]
	s_wait_loadcnt 0x0
	v_fma_mix_f32 v1, v14, v13, v1 op_sel_hi:[0,1,0]
	s_delay_alu instid0(VALU_DEP_2)
	v_fma_mix_f32 v0, v16, v15, v0 op_sel_hi:[0,1,0]
	s_and_not1_b32 exec_lo, exec_lo, s1
	s_cbranch_execnz .LBB36_3
; %bb.4:
	s_or_b32 exec_lo, exec_lo, s1
.LBB36_5:
	s_wait_alu 0xfffe
	s_or_b32 exec_lo, exec_lo, s11
	v_mbcnt_lo_u32_b32 v2, -1, 0
	s_delay_alu instid0(VALU_DEP_1) | instskip(SKIP_1) | instid1(VALU_DEP_2)
	v_xor_b32_e32 v3, 16, v2
	v_xor_b32_e32 v5, 8, v2
	v_cmp_gt_i32_e32 vcc_lo, 32, v3
	s_wait_alu 0xfffd
	v_cndmask_b32_e32 v3, v2, v3, vcc_lo
	s_delay_alu instid0(VALU_DEP_3) | instskip(NEXT) | instid1(VALU_DEP_2)
	v_cmp_gt_i32_e32 vcc_lo, 32, v5
	v_lshlrev_b32_e32 v3, 2, v3
	ds_bpermute_b32 v4, v3, v1
	ds_bpermute_b32 v3, v3, v0
	s_wait_alu 0xfffd
	v_cndmask_b32_e32 v5, v2, v5, vcc_lo
	s_wait_dscnt 0x0
	v_dual_add_f32 v1, v1, v4 :: v_dual_add_f32 v0, v0, v3
	s_delay_alu instid0(VALU_DEP_2) | instskip(SKIP_3) | instid1(VALU_DEP_1)
	v_lshlrev_b32_e32 v5, 2, v5
	ds_bpermute_b32 v3, v5, v1
	ds_bpermute_b32 v4, v5, v0
	v_xor_b32_e32 v5, 4, v2
	v_cmp_gt_i32_e32 vcc_lo, 32, v5
	s_wait_alu 0xfffd
	v_cndmask_b32_e32 v5, v2, v5, vcc_lo
	s_delay_alu instid0(VALU_DEP_1)
	v_lshlrev_b32_e32 v5, 2, v5
	s_wait_dscnt 0x0
	v_dual_add_f32 v1, v1, v3 :: v_dual_add_f32 v0, v0, v4
	ds_bpermute_b32 v3, v5, v1
	ds_bpermute_b32 v4, v5, v0
	v_xor_b32_e32 v5, 2, v2
	s_delay_alu instid0(VALU_DEP_1) | instskip(SKIP_2) | instid1(VALU_DEP_1)
	v_cmp_gt_i32_e32 vcc_lo, 32, v5
	s_wait_alu 0xfffd
	v_cndmask_b32_e32 v5, v2, v5, vcc_lo
	v_lshlrev_b32_e32 v5, 2, v5
	s_wait_dscnt 0x1
	v_add_f32_e32 v1, v1, v3
	s_wait_dscnt 0x0
	v_add_f32_e32 v3, v0, v4
	ds_bpermute_b32 v0, v5, v1
	ds_bpermute_b32 v4, v5, v3
	v_xor_b32_e32 v5, 1, v2
	s_delay_alu instid0(VALU_DEP_1) | instskip(SKIP_4) | instid1(VALU_DEP_2)
	v_cmp_gt_i32_e32 vcc_lo, 32, v5
	s_wait_alu 0xfffd
	v_cndmask_b32_e32 v2, v2, v5, vcc_lo
	v_cmp_gt_u32_e32 vcc_lo, 2, v7
	s_wait_dscnt 0x1
	v_dual_add_f32 v0, v1, v0 :: v_dual_lshlrev_b32 v5, 2, v2
	s_wait_dscnt 0x0
	v_dual_add_f32 v1, v3, v4 :: v_dual_add_nc_u32 v4, s2, v7
	ds_bpermute_b32 v2, v5, v0
	ds_bpermute_b32 v3, v5, v1
	v_cmp_gt_u32_e64 s0, s4, v4
	s_and_b32 s0, vcc_lo, s0
	s_delay_alu instid0(SALU_CYCLE_1)
	s_and_b32 exec_lo, exec_lo, s0
	s_cbranch_execz .LBB36_7
; %bb.6:
	v_mul_lo_u32 v4, s7, v6
	v_or_b32_e32 v6, s2, v7
	s_mul_i32 s0, s10, ttmp7
	s_wait_dscnt 0x1
	v_dual_mov_b32 v5, 0 :: v_dual_add_f32 v2, v0, v2
	s_wait_dscnt 0x0
	v_add_f32_e32 v3, v1, v3
	v_cmp_eq_u32_e32 vcc_lo, 1, v7
	v_add3_u32 v4, v6, v4, s0
	s_wait_alu 0xfffd
	s_delay_alu instid0(VALU_DEP_3) | instskip(NEXT) | instid1(VALU_DEP_2)
	v_cndmask_b32_e32 v2, v2, v3, vcc_lo
	v_lshlrev_b64_e32 v[0:1], 2, v[4:5]
	s_delay_alu instid0(VALU_DEP_1) | instskip(SKIP_1) | instid1(VALU_DEP_2)
	v_add_co_u32 v0, vcc_lo, s18, v0
	s_wait_alu 0xfffd
	v_add_co_ci_u32_e64 v1, null, s19, v1, vcc_lo
	global_store_b32 v[0:1], v2, off
.LBB36_7:
	s_endpgm
	.section	.rodata,"a",@progbits
	.p2align	6, 0x0
	.amdhsa_kernel _ZL17mul_mat_vec_q_moeIL9ggml_type6ELi2EEvPKvS2_PKiPfj15HIP_vector_typeIjLj3EEjjjjjjjjj
		.amdhsa_group_segment_fixed_size 0
		.amdhsa_private_segment_fixed_size 0
		.amdhsa_kernarg_size 84
		.amdhsa_user_sgpr_count 2
		.amdhsa_user_sgpr_dispatch_ptr 0
		.amdhsa_user_sgpr_queue_ptr 0
		.amdhsa_user_sgpr_kernarg_segment_ptr 1
		.amdhsa_user_sgpr_dispatch_id 0
		.amdhsa_user_sgpr_private_segment_size 0
		.amdhsa_wavefront_size32 1
		.amdhsa_uses_dynamic_stack 0
		.amdhsa_enable_private_segment 0
		.amdhsa_system_sgpr_workgroup_id_x 1
		.amdhsa_system_sgpr_workgroup_id_y 1
		.amdhsa_system_sgpr_workgroup_id_z 0
		.amdhsa_system_sgpr_workgroup_info 0
		.amdhsa_system_vgpr_workitem_id 1
		.amdhsa_next_free_vgpr 60
		.amdhsa_next_free_sgpr 24
		.amdhsa_reserve_vcc 1
		.amdhsa_float_round_mode_32 0
		.amdhsa_float_round_mode_16_64 0
		.amdhsa_float_denorm_mode_32 3
		.amdhsa_float_denorm_mode_16_64 3
		.amdhsa_fp16_overflow 0
		.amdhsa_workgroup_processor_mode 1
		.amdhsa_memory_ordered 1
		.amdhsa_forward_progress 1
		.amdhsa_inst_pref_size 14
		.amdhsa_round_robin_scheduling 0
		.amdhsa_exception_fp_ieee_invalid_op 0
		.amdhsa_exception_fp_denorm_src 0
		.amdhsa_exception_fp_ieee_div_zero 0
		.amdhsa_exception_fp_ieee_overflow 0
		.amdhsa_exception_fp_ieee_underflow 0
		.amdhsa_exception_fp_ieee_inexact 0
		.amdhsa_exception_int_div_zero 0
	.end_amdhsa_kernel
	.section	.text._ZL17mul_mat_vec_q_moeIL9ggml_type6ELi2EEvPKvS2_PKiPfj15HIP_vector_typeIjLj3EEjjjjjjjjj,"axG",@progbits,_ZL17mul_mat_vec_q_moeIL9ggml_type6ELi2EEvPKvS2_PKiPfj15HIP_vector_typeIjLj3EEjjjjjjjjj,comdat
.Lfunc_end36:
	.size	_ZL17mul_mat_vec_q_moeIL9ggml_type6ELi2EEvPKvS2_PKiPfj15HIP_vector_typeIjLj3EEjjjjjjjjj, .Lfunc_end36-_ZL17mul_mat_vec_q_moeIL9ggml_type6ELi2EEvPKvS2_PKiPfj15HIP_vector_typeIjLj3EEjjjjjjjjj
                                        ; -- End function
	.set _ZL17mul_mat_vec_q_moeIL9ggml_type6ELi2EEvPKvS2_PKiPfj15HIP_vector_typeIjLj3EEjjjjjjjjj.num_vgpr, 60
	.set _ZL17mul_mat_vec_q_moeIL9ggml_type6ELi2EEvPKvS2_PKiPfj15HIP_vector_typeIjLj3EEjjjjjjjjj.num_agpr, 0
	.set _ZL17mul_mat_vec_q_moeIL9ggml_type6ELi2EEvPKvS2_PKiPfj15HIP_vector_typeIjLj3EEjjjjjjjjj.numbered_sgpr, 24
	.set _ZL17mul_mat_vec_q_moeIL9ggml_type6ELi2EEvPKvS2_PKiPfj15HIP_vector_typeIjLj3EEjjjjjjjjj.num_named_barrier, 0
	.set _ZL17mul_mat_vec_q_moeIL9ggml_type6ELi2EEvPKvS2_PKiPfj15HIP_vector_typeIjLj3EEjjjjjjjjj.private_seg_size, 0
	.set _ZL17mul_mat_vec_q_moeIL9ggml_type6ELi2EEvPKvS2_PKiPfj15HIP_vector_typeIjLj3EEjjjjjjjjj.uses_vcc, 1
	.set _ZL17mul_mat_vec_q_moeIL9ggml_type6ELi2EEvPKvS2_PKiPfj15HIP_vector_typeIjLj3EEjjjjjjjjj.uses_flat_scratch, 0
	.set _ZL17mul_mat_vec_q_moeIL9ggml_type6ELi2EEvPKvS2_PKiPfj15HIP_vector_typeIjLj3EEjjjjjjjjj.has_dyn_sized_stack, 0
	.set _ZL17mul_mat_vec_q_moeIL9ggml_type6ELi2EEvPKvS2_PKiPfj15HIP_vector_typeIjLj3EEjjjjjjjjj.has_recursion, 0
	.set _ZL17mul_mat_vec_q_moeIL9ggml_type6ELi2EEvPKvS2_PKiPfj15HIP_vector_typeIjLj3EEjjjjjjjjj.has_indirect_call, 0
	.section	.AMDGPU.csdata,"",@progbits
; Kernel info:
; codeLenInByte = 1784
; TotalNumSgprs: 26
; NumVgprs: 60
; ScratchSize: 0
; MemoryBound: 0
; FloatMode: 240
; IeeeMode: 1
; LDSByteSize: 0 bytes/workgroup (compile time only)
; SGPRBlocks: 0
; VGPRBlocks: 7
; NumSGPRsForWavesPerEU: 26
; NumVGPRsForWavesPerEU: 60
; Occupancy: 16
; WaveLimiterHint : 1
; COMPUTE_PGM_RSRC2:SCRATCH_EN: 0
; COMPUTE_PGM_RSRC2:USER_SGPR: 2
; COMPUTE_PGM_RSRC2:TRAP_HANDLER: 0
; COMPUTE_PGM_RSRC2:TGID_X_EN: 1
; COMPUTE_PGM_RSRC2:TGID_Y_EN: 1
; COMPUTE_PGM_RSRC2:TGID_Z_EN: 0
; COMPUTE_PGM_RSRC2:TIDIG_COMP_CNT: 1
	.section	.text._ZL13mul_mat_vec_qIL9ggml_type6ELi1ELb1ELb1EEvPKvS2_PKi31ggml_cuda_mm_fusion_args_devicePfj15HIP_vector_typeIjLj3EEjjjS8_jjjS8_jjjj,"axG",@progbits,_ZL13mul_mat_vec_qIL9ggml_type6ELi1ELb1ELb1EEvPKvS2_PKi31ggml_cuda_mm_fusion_args_devicePfj15HIP_vector_typeIjLj3EEjjjS8_jjjS8_jjjj,comdat
	.globl	_ZL13mul_mat_vec_qIL9ggml_type6ELi1ELb1ELb1EEvPKvS2_PKi31ggml_cuda_mm_fusion_args_devicePfj15HIP_vector_typeIjLj3EEjjjS8_jjjS8_jjjj ; -- Begin function _ZL13mul_mat_vec_qIL9ggml_type6ELi1ELb1ELb1EEvPKvS2_PKi31ggml_cuda_mm_fusion_args_devicePfj15HIP_vector_typeIjLj3EEjjjS8_jjjS8_jjjj
	.p2align	8
	.type	_ZL13mul_mat_vec_qIL9ggml_type6ELi1ELb1ELb1EEvPKvS2_PKi31ggml_cuda_mm_fusion_args_devicePfj15HIP_vector_typeIjLj3EEjjjS8_jjjS8_jjjj,@function
_ZL13mul_mat_vec_qIL9ggml_type6ELi1ELb1ELb1EEvPKvS2_PKi31ggml_cuda_mm_fusion_args_devicePfj15HIP_vector_typeIjLj3EEjjjS8_jjjS8_jjjj: ; @_ZL13mul_mat_vec_qIL9ggml_type6ELi1ELb1ELb1EEvPKvS2_PKi31ggml_cuda_mm_fusion_args_devicePfj15HIP_vector_typeIjLj3EEjjjS8_jjjS8_jjjj
; %bb.0:
	s_clause 0x3
	s_load_b256 s[8:15], s[0:1], 0x0
	s_load_b128 s[16:19], s[0:1], 0x20
	s_load_b128 s[20:23], s[0:1], 0x40
	;; [unrolled: 1-line block ×3, first 2 shown]
	s_and_b32 s27, ttmp7, 0xffff
	s_wait_kmcnt 0x0
	s_cmp_lg_u64 s[12:13], 0
	s_cselect_b32 s2, -1, 0
	s_cmp_eq_u64 s[12:13], 0
	s_cbranch_scc1 .LBB37_42
; %bb.1:
	s_lshl_b32 s3, s27, 2
	s_load_b32 s28, s[12:13], s3 offset:0x0
	s_clause 0x1
	s_load_b32 s29, s[0:1], 0x50
	s_load_b32 s30, s[0:1], 0x78
	s_cbranch_execnz .LBB37_3
.LBB37_2:
	s_load_b64 s[12:13], s[0:1], 0x5c
	s_wait_kmcnt 0x0
	s_mul_hi_u32 s3, s12, s27
	s_delay_alu instid0(SALU_CYCLE_1) | instskip(NEXT) | instid1(SALU_CYCLE_1)
	s_add_co_i32 s3, s27, s3
	s_lshr_b32 s28, s3, s13
.LBB37_3:
	s_and_not1_b32 vcc_lo, exec_lo, s2
	s_mov_b32 s3, s27
	s_mov_b32 s31, s27
	s_cbranch_vccnz .LBB37_5
; %bb.4:
	s_mul_hi_u32 s2, s21, s27
	s_wait_kmcnt 0x0
	s_mov_b32 s3, s28
	s_add_co_i32 s2, s27, s2
	s_delay_alu instid0(SALU_CYCLE_1) | instskip(NEXT) | instid1(SALU_CYCLE_1)
	s_lshr_b32 s2, s2, s22
	s_mul_i32 s2, s2, s23
	s_delay_alu instid0(SALU_CYCLE_1)
	s_sub_co_i32 s31, s27, s2
.LBB37_5:
	s_load_b96 s[24:26], s[0:1], 0x80
	v_bfe_u32 v14, v0, 10, 10
	v_dual_mov_b32 v10, 0 :: v_dual_and_b32 v9, 0x3ff, v0
	s_lshr_b32 s21, ttmp7, 16
	s_cmp_lg_u64 s[14:15], 0
	s_delay_alu instid0(VALU_DEP_1) | instskip(SKIP_4) | instid1(VALU_DEP_1)
	v_dual_mov_b32 v11, 0 :: v_dual_lshlrev_b32 v8, 2, v9
	v_or_b32_e32 v0, v9, v14
	s_cselect_b32 s2, -1, 0
	s_mov_b32 s23, 0
	s_mul_i32 s12, s3, s6
	v_cmp_eq_u32_e32 vcc_lo, 0, v0
	s_and_b32 s13, s2, vcc_lo
	s_delay_alu instid0(SALU_CYCLE_1)
	s_and_saveexec_b32 s3, s13
	s_cbranch_execz .LBB37_7
; %bb.6:
	s_wait_kmcnt 0x0
	s_mul_i32 s22, s26, s21
	s_mov_b32 s13, s23
	s_lshl_b64 s[36:37], s[22:23], 2
	s_mov_b32 s34, ttmp9
	s_add_nc_u64 s[14:15], s[14:15], s[36:37]
	s_lshl_b64 s[22:23], s[12:13], 2
	s_ashr_i32 s35, ttmp9, 31
	s_add_nc_u64 s[14:15], s[14:15], s[22:23]
	s_lshl_b64 s[22:23], s[34:35], 2
	s_delay_alu instid0(SALU_CYCLE_1)
	s_add_nc_u64 s[14:15], s[14:15], s[22:23]
	global_load_b32 v11, v8, s[14:15]
.LBB37_7:
	s_or_b32 exec_lo, exec_lo, s3
	s_cmp_lg_u64 s[16:17], 0
	s_cselect_b32 s14, -1, 0
	s_cmp_lg_u64 s[18:19], 0
	s_cselect_b32 s3, -1, 0
	s_delay_alu instid0(SALU_CYCLE_1) | instskip(NEXT) | instid1(SALU_CYCLE_1)
	s_and_b32 s13, s3, s14
	s_and_b32 s13, s13, vcc_lo
	s_delay_alu instid0(SALU_CYCLE_1)
	s_and_saveexec_b32 s15, s13
	s_cbranch_execz .LBB37_9
; %bb.8:
	s_wait_kmcnt 0x0
	s_mul_i32 s34, s26, s21
	s_mov_b32 s35, 0
	s_mov_b32 s22, ttmp9
	s_lshl_b64 s[36:37], s[34:35], 2
	s_mov_b32 s13, s35
	s_add_nc_u64 s[18:19], s[18:19], s[36:37]
	s_lshl_b64 s[12:13], s[12:13], 2
	s_ashr_i32 s23, ttmp9, 31
	s_add_nc_u64 s[12:13], s[18:19], s[12:13]
	s_lshl_b64 s[18:19], s[22:23], 2
	s_delay_alu instid0(SALU_CYCLE_1)
	s_add_nc_u64 s[12:13], s[12:13], s[18:19]
	global_load_b32 v10, v8, s[12:13]
.LBB37_9:
	s_or_b32 exec_lo, exec_lo, s15
	v_dual_mov_b32 v15, 0 :: v_dual_lshlrev_b32 v0, 5, v14
	v_cndmask_b32_e64 v12, 0, 1, s14
	s_lshr_b32 s15, s20, 5
	s_mov_b32 s18, exec_lo
	s_delay_alu instid0(VALU_DEP_2) | instskip(SKIP_1) | instid1(VALU_DEP_2)
	v_add_nc_u16 v1, v0, v9
	v_mov_b32_e32 v13, 0
	v_lshrrev_b16 v1, 1, v1
	s_delay_alu instid0(VALU_DEP_1) | instskip(SKIP_1) | instid1(VALU_DEP_1)
	v_and_b32_e32 v16, 0xffff, v1
	s_wait_alu 0xfffe
	v_cmpx_gt_u32_e64 s15, v16
	s_cbranch_execz .LBB37_15
; %bb.10:
	v_lshlrev_b32_e32 v1, 1, v9
	s_mul_i32 s22, s31, s5
	s_mul_hi_u32 s5, s7, s21
	v_dual_mov_b32 v15, 0 :: v_dual_add_nc_u32 v0, v0, v9
	s_add_co_i32 s5, s21, s5
	s_wait_kmcnt 0x0
	s_mul_i32 s12, s25, s21
	s_mov_b32 s13, 0
	s_lshr_b32 s5, s5, s30
	v_and_b32_e32 v1, 2, v1
	s_mov_b32 s23, s13
	s_mul_i32 s7, s28, s4
	s_mul_i32 s19, s5, s24
	s_mul_u64 s[4:5], s[12:13], 36
	v_lshrrev_b32_e32 v0, 1, v0
	s_mul_u64 s[22:23], s[22:23], 36
	s_add_nc_u64 s[4:5], s[10:11], s[4:5]
	v_dual_mov_b32 v13, 0 :: v_dual_lshlrev_b32 v2, 1, v1
	v_lshlrev_b32_e32 v17, 2, v1
	v_and_b32_e32 v3, 1, v9
	s_add_nc_u64 s[4:5], s[4:5], s[22:23]
	s_mul_i32 s29, s29, ttmp9
	v_mad_co_u64_u32 v[0:1], null, v0, 36, s[4:5]
	v_or_b32_e32 v18, 4, v17
	v_lshlrev_b32_e32 v19, 3, v3
	v_lshlrev_b32_e32 v20, 1, v2
	s_add_co_i32 s19, s19, s29
	s_delay_alu instid0(SALU_CYCLE_1)
	s_add_co_i32 s5, s7, s19
	s_branch .LBB37_12
.LBB37_11:                              ;   in Loop: Header=BB37_12 Depth=1
	s_wait_loadcnt 0x2
	v_ashrrev_i32_e32 v25, v17, v24
	s_wait_loadcnt 0x1
	v_and_b32_e32 v26, 0xf0f0f0f, v6
	v_lshrrev_b32_e32 v6, 4, v6
	v_ashrrev_i32_e32 v24, v18, v24
	v_add_nc_u32_e32 v16, 0x80, v16
	v_lshlrev_b32_e32 v27, 4, v25
	v_lshlrev_b32_e32 v28, 11, v25
	;; [unrolled: 1-line block ×4, first 2 shown]
	v_lshrrev_b32_e32 v31, 12, v25
	v_and_b32_e32 v27, 16, v27
	v_and_b32_e32 v28, 0x1000, v28
	v_lshrrev_b32_e32 v32, 5, v25
	v_lshlrev_b32_e32 v33, 2, v25
	v_and_b32_e32 v29, 0x100000, v29
	v_and_b32_e32 v30, 0x10000000, v30
	v_or3_b32 v26, v27, v26, v28
	v_lshlrev_b32_e32 v25, 9, v25
	v_and_b32_e32 v27, 16, v31
	v_and_b32_e32 v28, 0x1000, v32
	v_and_b32_e32 v31, 0x100000, v33
	v_or3_b32 v26, v26, v29, v30
	v_and_b32_e32 v6, 0xf0f0f0f, v6
	v_and_b32_e32 v25, 0x10000000, v25
	v_lshlrev_b32_e32 v29, 18, v24
	v_or3_b32 v27, v28, v27, v31
	v_lshlrev_b32_e32 v28, 4, v24
	v_dot4_i32_iu8 v4, v26, v4, 0 neg_lo:[1,1,0]
	v_lshlrev_b32_e32 v26, 11, v24
	v_lshrrev_b32_e32 v30, 12, v24
	v_or3_b32 v6, v27, v25, v6
	v_and_b32_e32 v27, 16, v28
	v_and_b32_e32 v28, 0x100000, v29
	;; [unrolled: 1-line block ×3, first 2 shown]
	v_lshlrev_b32_e32 v25, 25, v24
	v_lshrrev_b32_e32 v31, 5, v24
	v_and_b32_e32 v29, 0xf0f0f0f, v7
	v_lshrrev_b32_e32 v7, 4, v7
	v_or3_b32 v26, v26, v27, v28
	v_lshlrev_b32_e32 v27, 2, v24
	v_and_b32_e32 v25, 0x10000000, v25
	v_and_b32_e32 v28, 16, v30
	;; [unrolled: 1-line block ×3, first 2 shown]
	v_lshlrev_b32_e32 v24, 9, v24
	v_and_b32_e32 v27, 0x100000, v27
	v_dot4_i32_iu8 v2, v6, v2, v4 neg_lo:[1,1,0]
	v_or3_b32 v4, v26, v25, v29
	v_and_b32_e32 v6, 0xf0f0f0f, v7
	v_and_b32_e32 v7, 0x10000000, v24
	v_or3_b32 v24, v30, v28, v27
	v_cmp_le_u32_e32 vcc_lo, s15, v16
	v_dot4_i32_iu8 v2, v4, v5, v2 neg_lo:[1,1,0]
	v_add_co_u32 v0, s4, 0x1200, v0
	s_delay_alu instid0(VALU_DEP_4) | instskip(SKIP_4) | instid1(VALU_DEP_1)
	v_or3_b32 v4, v24, v7, v6
	s_wait_alu 0xf1ff
	v_add_co_ci_u32_e64 v1, null, 0, v1, s4
	s_or_b32 s13, vcc_lo, s13
	v_dot4_i32_iu8 v2, v4, v3, v2 neg_lo:[1,1,0]
	v_cvt_f32_i32_e32 v2, v2
	s_delay_alu instid0(VALU_DEP_1) | instskip(SKIP_1) | instid1(VALU_DEP_1)
	v_fma_f32 v2, v22, v2, -v23
	s_wait_loadcnt 0x0
	v_fma_mix_f32 v15, v2, v21, v15 op_sel_hi:[0,1,0]
	s_and_not1_b32 exec_lo, exec_lo, s13
	s_cbranch_execz .LBB37_14
.LBB37_12:                              ; =>This Inner Loop Header: Depth=1
	s_wait_alu 0xfffe
	v_add_nc_u32_e32 v25, s5, v16
	global_load_b32 v23, v[0:1], off
	v_add_co_u32 v2, vcc_lo, v0, v19
	s_wait_alu 0xfffd
	v_add_co_ci_u32_e64 v3, null, 0, v1, vcc_lo
	v_mad_co_i64_i32 v[21:22], null, v25, 22, s[8:9]
	s_delay_alu instid0(VALU_DEP_1) | instskip(SKIP_1) | instid1(VALU_DEP_2)
	v_add_co_u32 v6, vcc_lo, v21, v20
	s_wait_alu 0xfffd
	v_add_co_ci_u32_e64 v7, null, 0, v22, vcc_lo
	s_clause 0x1
	global_load_b64 v[4:5], v[2:3], off offset:4
	global_load_b64 v[2:3], v[2:3], off offset:20
	s_clause 0x2
	global_load_b32 v24, v[21:22], off offset:2
	global_load_b64 v[6:7], v[6:7], off offset:6
	global_load_u16 v21, v[21:22], off
	s_and_not1_b32 vcc_lo, exec_lo, s14
	s_wait_loadcnt 0x5
	v_lshrrev_b32_e32 v22, 16, v23
	s_delay_alu instid0(VALU_DEP_1) | instskip(SKIP_1) | instid1(VALU_DEP_2)
	v_cvt_f32_f16_e32 v26, v22
	v_cvt_f32_f16_e32 v22, v23
	v_mul_f32_e32 v23, 0x41000000, v26
	s_wait_alu 0xfffe
	s_cbranch_vccnz .LBB37_11
; %bb.13:                               ;   in Loop: Header=BB37_12 Depth=1
	v_mad_co_i64_i32 v[25:26], null, v25, 22, s[16:17]
	s_delay_alu instid0(VALU_DEP_1) | instskip(SKIP_1) | instid1(VALU_DEP_2)
	v_add_co_u32 v27, vcc_lo, v25, v20
	s_wait_alu 0xfffd
	v_add_co_ci_u32_e64 v28, null, 0, v26, vcc_lo
	s_clause 0x2
	global_load_b32 v29, v[25:26], off offset:2
	global_load_b64 v[27:28], v[27:28], off offset:6
	global_load_u16 v25, v[25:26], off
	s_wait_loadcnt 0x2
	v_ashrrev_i32_e32 v26, v17, v29
	v_ashrrev_i32_e32 v29, v18, v29
	s_wait_loadcnt 0x1
	v_and_b32_e32 v30, 0xf0f0f0f, v27
	v_lshrrev_b32_e32 v27, 4, v27
	v_and_b32_e32 v38, 0xf0f0f0f, v28
	v_lshlrev_b32_e32 v31, 4, v26
	v_lshlrev_b32_e32 v32, 11, v26
	;; [unrolled: 1-line block ×4, first 2 shown]
	v_lshrrev_b32_e32 v35, 12, v26
	v_lshrrev_b32_e32 v36, 5, v26
	v_lshlrev_b32_e32 v37, 2, v26
	v_and_b32_e32 v31, 16, v31
	v_and_b32_e32 v32, 0x1000, v32
	v_lshlrev_b32_e32 v26, 9, v26
	v_lshlrev_b32_e32 v39, 4, v29
	;; [unrolled: 1-line block ×3, first 2 shown]
	v_and_b32_e32 v33, 0x100000, v33
	v_and_b32_e32 v34, 0x10000000, v34
	;; [unrolled: 1-line block ×5, first 2 shown]
	v_or3_b32 v30, v31, v30, v32
	v_lshlrev_b32_e32 v41, 18, v29
	v_lshlrev_b32_e32 v42, 25, v29
	v_lshrrev_b32_e32 v43, 12, v29
	v_lshrrev_b32_e32 v44, 5, v29
	v_lshlrev_b32_e32 v45, 2, v29
	v_and_b32_e32 v27, 0xf0f0f0f, v27
	v_and_b32_e32 v26, 0x10000000, v26
	;; [unrolled: 1-line block ×4, first 2 shown]
	v_or3_b32 v35, v36, v35, v37
	v_or3_b32 v30, v30, v33, v34
	v_lshrrev_b32_e32 v28, 4, v28
	v_lshlrev_b32_e32 v29, 9, v29
	v_and_b32_e32 v32, 0x100000, v41
	v_and_b32_e32 v40, 0x10000000, v42
	;; [unrolled: 1-line block ×4, first 2 shown]
	v_or3_b32 v31, v39, v38, v31
	v_or3_b32 v26, v35, v26, v27
	v_dot4_i32_iu8 v27, v30, v4, 0 neg_lo:[1,1,0]
	v_and_b32_e32 v30, 0x100000, v45
	v_and_b32_e32 v28, 0xf0f0f0f, v28
	;; [unrolled: 1-line block ×3, first 2 shown]
	v_or3_b32 v31, v31, v32, v40
	v_dot4_i32_iu8 v26, v26, v2, v27 neg_lo:[1,1,0]
	v_or3_b32 v27, v34, v33, v30
	s_delay_alu instid0(VALU_DEP_2) | instskip(NEXT) | instid1(VALU_DEP_2)
	v_dot4_i32_iu8 v26, v31, v5, v26 neg_lo:[1,1,0]
	v_or3_b32 v27, v27, v29, v28
	s_delay_alu instid0(VALU_DEP_1) | instskip(NEXT) | instid1(VALU_DEP_1)
	v_dot4_i32_iu8 v26, v27, v3, v26 neg_lo:[1,1,0]
	v_cvt_f32_i32_e32 v26, v26
	s_delay_alu instid0(VALU_DEP_1) | instskip(SKIP_1) | instid1(VALU_DEP_1)
	v_fma_f32 v26, v22, v26, -v23
	s_wait_loadcnt 0x0
	v_fma_mix_f32 v13, v26, v25, v13 op_sel_hi:[0,1,0]
	s_branch .LBB37_11
.LBB37_14:
	s_or_b32 exec_lo, exec_lo, s13
.LBB37_15:
	s_delay_alu instid0(SALU_CYCLE_1)
	s_or_b32 exec_lo, exec_lo, s18
	s_load_b32 s5, s[0:1], 0x30
	v_cmp_eq_u32_e64 s4, 0, v14
	s_mov_b32 s7, exec_lo
	v_cmpx_ne_u32_e32 0, v14
	s_cbranch_execz .LBB37_19
; %bb.16:
	v_add_nc_u32_e32 v0, -1, v14
	s_and_b32 vcc_lo, exec_lo, s14
	s_delay_alu instid0(VALU_DEP_1)
	v_lshlrev_b32_e32 v0, 7, v0
	s_wait_alu 0xfffe
	s_cbranch_vccz .LBB37_18
; %bb.17:
	s_delay_alu instid0(VALU_DEP_1)
	v_lshl_add_u32 v1, v9, 2, v0
	ds_store_b32 v1, v13 offset:896
.LBB37_18:
	s_delay_alu instid0(VALU_DEP_1)
	v_lshl_add_u32 v0, v9, 2, v0
	ds_store_b32 v0, v15
.LBB37_19:
	s_or_b32 exec_lo, exec_lo, s7
	s_wait_loadcnt_dscnt 0x0
	s_barrier_signal -1
	s_barrier_wait -1
	global_inv scope:SCOPE_SE
	s_and_saveexec_b32 s7, s4
	s_cbranch_execz .LBB37_61
; %bb.20:
	ds_load_b32 v0, v8
	v_cmp_ne_u32_e32 vcc_lo, 1, v12
	v_add_nc_u32_e32 v1, 0x380, v8
	s_cbranch_vccnz .LBB37_22
; %bb.21:
	ds_load_b32 v2, v1
	s_wait_dscnt 0x0
	v_add_f32_e32 v13, v13, v2
.LBB37_22:
	ds_load_b32 v2, v8 offset:128
	v_cmp_ne_u32_e32 vcc_lo, 1, v12
	s_cbranch_vccnz .LBB37_24
; %bb.23:
	ds_load_b32 v3, v1 offset:128
	s_wait_dscnt 0x0
	v_add_f32_e32 v13, v13, v3
.LBB37_24:
	ds_load_b32 v3, v8 offset:256
	v_cmp_ne_u32_e32 vcc_lo, 1, v12
	s_cbranch_vccnz .LBB37_26
; %bb.25:
	ds_load_b32 v4, v1 offset:256
	s_wait_dscnt 0x0
	v_add_f32_e32 v13, v13, v4
.LBB37_26:
	;; [unrolled: 8-line block ×6, first 2 shown]
	v_mbcnt_lo_u32_b32 v1, -1, 0
	s_wait_dscnt 0x6
	v_add_f32_e32 v0, v15, v0
	s_wait_dscnt 0x5
	s_delay_alu instid0(VALU_DEP_1) | instskip(SKIP_2) | instid1(VALU_DEP_2)
	v_add_f32_e32 v0, v0, v2
	v_xor_b32_e32 v2, 16, v1
	s_wait_dscnt 0x4
	v_add_f32_e32 v0, v0, v3
	s_delay_alu instid0(VALU_DEP_2) | instskip(SKIP_2) | instid1(VALU_DEP_3)
	v_cmp_gt_i32_e32 vcc_lo, 32, v2
	v_xor_b32_e32 v3, 8, v1
	s_wait_dscnt 0x3
	v_add_f32_e32 v0, v0, v4
	s_wait_alu 0xfffd
	v_cndmask_b32_e32 v2, v1, v2, vcc_lo
	v_cmp_gt_i32_e32 vcc_lo, 32, v3
	s_wait_dscnt 0x2
	s_wait_alu 0xfffd
	v_dual_add_f32 v0, v0, v5 :: v_dual_cndmask_b32 v3, v1, v3
	s_wait_dscnt 0x1
	s_delay_alu instid0(VALU_DEP_1) | instskip(SKIP_1) | instid1(VALU_DEP_1)
	v_dual_add_f32 v0, v0, v6 :: v_dual_lshlrev_b32 v3, 2, v3
	s_wait_dscnt 0x0
	v_add_f32_e32 v4, v0, v7
	v_lshlrev_b32_e32 v0, 2, v2
	ds_bpermute_b32 v2, v0, v4
	s_wait_dscnt 0x0
	v_add_f32_e32 v2, v4, v2
	v_xor_b32_e32 v4, 4, v1
	ds_bpermute_b32 v5, v3, v2
	v_cmp_gt_i32_e32 vcc_lo, 32, v4
	s_wait_alu 0xfffd
	v_cndmask_b32_e32 v4, v1, v4, vcc_lo
	s_delay_alu instid0(VALU_DEP_1)
	v_lshlrev_b32_e32 v4, 2, v4
	s_wait_dscnt 0x0
	v_add_f32_e32 v2, v2, v5
	v_xor_b32_e32 v5, 2, v1
	ds_bpermute_b32 v6, v4, v2
	v_cmp_gt_i32_e32 vcc_lo, 32, v5
	s_wait_alu 0xfffd
	v_cndmask_b32_e32 v5, v1, v5, vcc_lo
	s_wait_dscnt 0x0
	s_delay_alu instid0(VALU_DEP_1)
	v_dual_add_f32 v2, v2, v6 :: v_dual_lshlrev_b32 v5, 2, v5
	v_xor_b32_e32 v6, 1, v1
	ds_bpermute_b32 v7, v5, v2
	v_cmp_gt_i32_e32 vcc_lo, 32, v6
	s_wait_alu 0xfffd
	v_cndmask_b32_e32 v1, v1, v6, vcc_lo
	v_cmp_ne_u32_e32 vcc_lo, 1, v12
	s_delay_alu instid0(VALU_DEP_2)
	v_lshlrev_b32_e32 v6, 2, v1
	s_wait_dscnt 0x0
	v_add_f32_e32 v1, v2, v7
	ds_bpermute_b32 v2, v6, v1
	s_cbranch_vccnz .LBB37_36
; %bb.35:
	ds_bpermute_b32 v0, v0, v13
	s_wait_dscnt 0x0
	v_add_f32_e32 v0, v13, v0
	ds_bpermute_b32 v3, v3, v0
	s_wait_dscnt 0x0
	v_add_f32_e32 v0, v0, v3
	;; [unrolled: 3-line block ×5, first 2 shown]
.LBB37_36:
	v_cmp_eq_u32_e32 vcc_lo, 0, v9
	s_and_b32 exec_lo, exec_lo, vcc_lo
	s_cbranch_execz .LBB37_61
; %bb.37:
	s_wait_dscnt 0x0
	v_add_f32_e32 v0, v1, v2
	v_cmp_ne_u32_e32 vcc_lo, 1, v12
	s_delay_alu instid0(VALU_DEP_2) | instskip(NEXT) | instid1(VALU_DEP_1)
	v_add_f32_e32 v1, v11, v0
	v_cndmask_b32_e64 v0, v0, v1, s2
	s_cbranch_vccnz .LBB37_60
; %bb.38:
	v_add_f32_e32 v1, v10, v13
	s_wait_kmcnt 0x0
	s_cmp_lt_i32 s5, 2
	s_mov_b32 s2, 0
	s_delay_alu instid0(VALU_DEP_1)
	v_cndmask_b32_e64 v1, v13, v1, s3
	s_cbranch_scc1 .LBB37_43
; %bb.39:
	s_cmp_gt_i32 s5, 2
	s_cbranch_scc0 .LBB37_44
; %bb.40:
	s_cmp_eq_u32 s5, 3
	s_cbranch_scc0 .LBB37_45
; %bb.41:
	v_max_num_f32_e32 v2, v1, v1
	s_mov_b32 s3, 0xc0e00000
	s_delay_alu instid0(VALU_DEP_1) | instskip(NEXT) | instid1(VALU_DEP_1)
	v_min_num_f32_e32 v2, 0x40e00000, v2
	v_mul_f32_e32 v3, 0xbfd9db23, v2
	s_delay_alu instid0(VALU_DEP_1) | instskip(NEXT) | instid1(VALU_DEP_1)
	v_mul_f32_e32 v4, 0x3fb8aa3b, v3
	v_fma_f32 v5, 0x3fb8aa3b, v3, -v4
	v_rndne_f32_e32 v6, v4
	s_delay_alu instid0(VALU_DEP_1) | instskip(NEXT) | instid1(VALU_DEP_1)
	v_dual_fmamk_f32 v5, v3, 0x32a5705f, v5 :: v_dual_sub_f32 v4, v4, v6
	v_add_f32_e32 v4, v4, v5
	v_cvt_i32_f32_e32 v5, v6
	v_cmp_ngt_f32_e32 vcc_lo, 0xc2ce8ed0, v3
	s_delay_alu instid0(VALU_DEP_3) | instskip(NEXT) | instid1(TRANS32_DEP_1)
	v_exp_f32_e32 v4, v4
	v_ldexp_f32 v4, v4, v5
	s_wait_alu 0xfffd
	s_delay_alu instid0(VALU_DEP_1) | instskip(SKIP_2) | instid1(VALU_DEP_2)
	v_cndmask_b32_e32 v4, 0, v4, vcc_lo
	v_cmp_nlt_f32_e32 vcc_lo, 0x42b17218, v3
	s_wait_alu 0xfffd
	v_cndmask_b32_e32 v3, 0x7f800000, v4, vcc_lo
	s_delay_alu instid0(VALU_DEP_1) | instskip(NEXT) | instid1(VALU_DEP_1)
	v_add_f32_e32 v3, 1.0, v3
	v_div_scale_f32 v4, null, v3, v3, v2
	v_div_scale_f32 v7, vcc_lo, v2, v3, v2
	s_delay_alu instid0(VALU_DEP_2) | instskip(NEXT) | instid1(TRANS32_DEP_1)
	v_rcp_f32_e32 v5, v4
	v_fma_f32 v6, -v4, v5, 1.0
	s_delay_alu instid0(VALU_DEP_1) | instskip(NEXT) | instid1(VALU_DEP_1)
	v_fmac_f32_e32 v5, v6, v5
	v_mul_f32_e32 v6, v7, v5
	s_delay_alu instid0(VALU_DEP_1) | instskip(NEXT) | instid1(VALU_DEP_1)
	v_fma_f32 v9, -v4, v6, v7
	v_fmac_f32_e32 v6, v9, v5
	s_delay_alu instid0(VALU_DEP_1) | instskip(SKIP_2) | instid1(VALU_DEP_2)
	v_fma_f32 v4, -v4, v6, v7
	v_max_num_f32_e32 v7, v0, v0
	s_wait_alu 0xfffd
	v_div_fmas_f32 v4, v4, v5, v6
	s_wait_alu 0xfffe
	s_delay_alu instid0(VALU_DEP_2) | instskip(SKIP_1) | instid1(VALU_DEP_2)
	v_minmax_num_f32 v5, v7, 0x40e00000, s3
	s_mov_b32 s3, 0
	v_div_fixup_f32 v2, v4, v3, v2
	s_delay_alu instid0(VALU_DEP_2) | instskip(NEXT) | instid1(VALU_DEP_1)
	v_add_f32_e32 v3, 1.0, v5
	v_mul_f32_e32 v2, v3, v2
	s_branch .LBB37_46
.LBB37_42:
                                        ; implicit-def: $sgpr28
	s_clause 0x1
	s_load_b32 s29, s[0:1], 0x50
	s_load_b32 s30, s[0:1], 0x78
	s_branch .LBB37_2
.LBB37_43:
	s_mov_b32 s3, 0
                                        ; implicit-def: $vgpr2
	s_cbranch_execnz .LBB37_50
	s_branch .LBB37_51
.LBB37_44:
	s_mov_b32 s4, -1
	s_mov_b32 s3, 0
                                        ; implicit-def: $vgpr2
	s_branch .LBB37_47
.LBB37_45:
	s_mov_b32 s3, -1
                                        ; implicit-def: $vgpr2
.LBB37_46:
	s_mov_b32 s4, 0
.LBB37_47:
	s_wait_alu 0xfffe
	s_and_b32 vcc_lo, exec_lo, s4
	s_wait_alu 0xfffe
	s_cbranch_vccz .LBB37_49
; %bb.48:
	v_mul_f32_e32 v2, 0xbfb8aa3b, v1
	v_cmp_nlt_f32_e32 vcc_lo, 0x42ce8ed0, v1
	s_delay_alu instid0(VALU_DEP_2) | instskip(SKIP_1) | instid1(VALU_DEP_2)
	v_rndne_f32_e32 v3, v2
	v_fma_f32 v4, 0xbfb8aa3b, v1, -v2
	v_sub_f32_e32 v2, v2, v3
	s_delay_alu instid0(VALU_DEP_2) | instskip(SKIP_1) | instid1(VALU_DEP_2)
	v_fmamk_f32 v4, v1, 0xb2a5705f, v4
	v_cvt_i32_f32_e32 v3, v3
	v_add_f32_e32 v2, v2, v4
	s_delay_alu instid0(VALU_DEP_1) | instskip(NEXT) | instid1(TRANS32_DEP_1)
	v_exp_f32_e32 v2, v2
	v_ldexp_f32 v2, v2, v3
	s_wait_alu 0xfffd
	s_delay_alu instid0(VALU_DEP_1) | instskip(SKIP_2) | instid1(VALU_DEP_2)
	v_cndmask_b32_e32 v2, 0, v2, vcc_lo
	v_cmp_ngt_f32_e32 vcc_lo, 0xc2b17218, v1
	s_wait_alu 0xfffd
	v_cndmask_b32_e32 v2, 0x7f800000, v2, vcc_lo
	s_delay_alu instid0(VALU_DEP_1) | instskip(NEXT) | instid1(VALU_DEP_1)
	v_add_f32_e32 v2, 1.0, v2
	v_div_scale_f32 v3, null, v2, v2, v1
	s_delay_alu instid0(VALU_DEP_1) | instskip(NEXT) | instid1(TRANS32_DEP_1)
	v_rcp_f32_e32 v4, v3
	v_fma_f32 v5, -v3, v4, 1.0
	s_delay_alu instid0(VALU_DEP_1) | instskip(SKIP_1) | instid1(VALU_DEP_1)
	v_fmac_f32_e32 v4, v5, v4
	v_div_scale_f32 v5, vcc_lo, v1, v2, v1
	v_mul_f32_e32 v6, v5, v4
	s_delay_alu instid0(VALU_DEP_1) | instskip(NEXT) | instid1(VALU_DEP_1)
	v_fma_f32 v7, -v3, v6, v5
	v_fmac_f32_e32 v6, v7, v4
	s_delay_alu instid0(VALU_DEP_1) | instskip(SKIP_1) | instid1(VALU_DEP_1)
	v_fma_f32 v3, -v3, v6, v5
	s_wait_alu 0xfffd
	v_div_fmas_f32 v3, v3, v4, v6
	s_delay_alu instid0(VALU_DEP_1) | instskip(NEXT) | instid1(VALU_DEP_1)
	v_div_fixup_f32 v2, v3, v2, v1
	v_mul_f32_e32 v2, v0, v2
.LBB37_49:
	s_branch .LBB37_51
.LBB37_50:
	s_cmp_lg_u32 s5, 1
	s_mov_b32 s2, -1
	s_cselect_b32 s3, -1, 0
.LBB37_51:
	s_wait_alu 0xfffe
	s_and_not1_b32 vcc_lo, exec_lo, s3
	s_wait_alu 0xfffe
	s_cbranch_vccz .LBB37_53
; %bb.52:
	s_and_not1_b32 vcc_lo, exec_lo, s2
	s_wait_alu 0xfffe
	s_cbranch_vccz .LBB37_54
	s_branch .LBB37_59
.LBB37_53:
	v_mul_f32_e32 v2, v1, v0
	s_cbranch_execnz .LBB37_59
.LBB37_54:
	v_mul_f32_e32 v2, 0x3d372713, v1
	v_mul_f32_e32 v3, 0x3f4c422a, v1
	s_delay_alu instid0(VALU_DEP_2) | instskip(NEXT) | instid1(VALU_DEP_1)
	v_fma_f32 v2, v1, v2, 1.0
	v_mul_f32_e32 v2, v3, v2
                                        ; implicit-def: $vgpr3
	s_delay_alu instid0(VALU_DEP_1)
	v_cmp_ngt_f32_e64 s2, 0x3f200000, |v2|
	s_and_saveexec_b32 s3, s2
	s_wait_alu 0xfffe
	s_xor_b32 s2, exec_lo, s3
	s_cbranch_execz .LBB37_56
; %bb.55:
	v_add_f32_e64 v3, |v2|, |v2|
	s_delay_alu instid0(VALU_DEP_1) | instskip(SKIP_1) | instid1(VALU_DEP_2)
	v_mul_f32_e32 v4, 0x3fb8aa3b, v3
	v_cmp_ngt_f32_e32 vcc_lo, 0xc2ce8ed0, v3
	v_rndne_f32_e32 v5, v4
	v_fma_f32 v6, 0x3fb8aa3b, v3, -v4
	s_delay_alu instid0(VALU_DEP_2) | instskip(NEXT) | instid1(VALU_DEP_2)
	v_sub_f32_e32 v4, v4, v5
	v_fmamk_f32 v6, v3, 0x32a5705f, v6
	v_cvt_i32_f32_e32 v5, v5
	s_delay_alu instid0(VALU_DEP_2) | instskip(NEXT) | instid1(VALU_DEP_1)
	v_add_f32_e32 v4, v4, v6
	v_exp_f32_e32 v4, v4
	s_delay_alu instid0(TRANS32_DEP_1) | instskip(SKIP_1) | instid1(VALU_DEP_1)
	v_ldexp_f32 v4, v4, v5
	s_wait_alu 0xfffd
	v_cndmask_b32_e32 v4, 0, v4, vcc_lo
	v_cmp_nlt_f32_e32 vcc_lo, 0x42b17218, v3
	s_wait_alu 0xfffd
	s_delay_alu instid0(VALU_DEP_2) | instskip(NEXT) | instid1(VALU_DEP_1)
	v_cndmask_b32_e32 v3, 0x7f800000, v4, vcc_lo
	v_add_f32_e32 v3, 1.0, v3
	s_delay_alu instid0(VALU_DEP_1) | instskip(NEXT) | instid1(TRANS32_DEP_1)
	v_rcp_f32_e32 v3, v3
	v_fma_f32 v3, v3, -2.0, 1.0
.LBB37_56:
	s_wait_alu 0xfffe
	s_and_not1_saveexec_b32 s2, s2
	s_cbranch_execz .LBB37_58
; %bb.57:
	v_mul_f32_e32 v3, v2, v2
	s_mov_b32 s3, 0xbbbac73d
	s_wait_alu 0xfffe
	s_delay_alu instid0(VALU_DEP_1) | instskip(NEXT) | instid1(VALU_DEP_1)
	v_fmaak_f32 v4, s3, v3, 0x3ca908c9
	v_fmaak_f32 v4, v3, v4, 0xbd5c1c4e
	s_delay_alu instid0(VALU_DEP_1) | instskip(NEXT) | instid1(VALU_DEP_1)
	v_fmaak_f32 v4, v3, v4, 0x3e088382
	v_fmaak_f32 v4, v3, v4, 0xbeaaaa99
	s_delay_alu instid0(VALU_DEP_1) | instskip(NEXT) | instid1(VALU_DEP_1)
	v_mul_f32_e64 v4, |v2|, v4
	v_fma_f32 v3, v3, v4, |v2|
.LBB37_58:
	s_wait_alu 0xfffe
	s_or_b32 exec_lo, exec_lo, s2
	s_delay_alu instid0(VALU_DEP_1) | instskip(NEXT) | instid1(VALU_DEP_1)
	v_bfi_b32 v2, 0x7fffffff, v3, v2
	v_dual_mul_f32 v1, 0.5, v1 :: v_dual_add_f32 v2, 1.0, v2
	s_delay_alu instid0(VALU_DEP_1) | instskip(NEXT) | instid1(VALU_DEP_1)
	v_mul_f32_e32 v1, v1, v2
	v_mul_f32_e32 v2, v0, v1
.LBB37_59:
	s_delay_alu instid0(VALU_DEP_1)
	v_mov_b32_e32 v0, v2
.LBB37_60:
	s_load_b64 s[0:1], s[0:1], 0x38
	s_mul_i32 s2, s6, s27
	s_wait_kmcnt 0x0
	s_mul_i32 s3, s26, s21
	s_wait_alu 0xfffe
	s_add_co_i32 s2, s2, ttmp9
	s_wait_alu 0xfffe
	s_add_co_i32 s2, s2, s3
	s_mov_b32 s3, 0
	s_wait_alu 0xfffe
	s_lshl_b64 s[2:3], s[2:3], 2
	s_wait_alu 0xfffe
	s_add_nc_u64 s[0:1], s[0:1], s[2:3]
	global_store_b32 v8, v0, s[0:1]
.LBB37_61:
	s_endpgm
	.section	.rodata,"a",@progbits
	.p2align	6, 0x0
	.amdhsa_kernel _ZL13mul_mat_vec_qIL9ggml_type6ELi1ELb1ELb1EEvPKvS2_PKi31ggml_cuda_mm_fusion_args_devicePfj15HIP_vector_typeIjLj3EEjjjS8_jjjS8_jjjj
		.amdhsa_group_segment_fixed_size 1792
		.amdhsa_private_segment_fixed_size 0
		.amdhsa_kernarg_size 144
		.amdhsa_user_sgpr_count 2
		.amdhsa_user_sgpr_dispatch_ptr 0
		.amdhsa_user_sgpr_queue_ptr 0
		.amdhsa_user_sgpr_kernarg_segment_ptr 1
		.amdhsa_user_sgpr_dispatch_id 0
		.amdhsa_user_sgpr_private_segment_size 0
		.amdhsa_wavefront_size32 1
		.amdhsa_uses_dynamic_stack 0
		.amdhsa_enable_private_segment 0
		.amdhsa_system_sgpr_workgroup_id_x 1
		.amdhsa_system_sgpr_workgroup_id_y 1
		.amdhsa_system_sgpr_workgroup_id_z 1
		.amdhsa_system_sgpr_workgroup_info 0
		.amdhsa_system_vgpr_workitem_id 1
		.amdhsa_next_free_vgpr 46
		.amdhsa_next_free_sgpr 38
		.amdhsa_reserve_vcc 1
		.amdhsa_float_round_mode_32 0
		.amdhsa_float_round_mode_16_64 0
		.amdhsa_float_denorm_mode_32 3
		.amdhsa_float_denorm_mode_16_64 3
		.amdhsa_fp16_overflow 0
		.amdhsa_workgroup_processor_mode 1
		.amdhsa_memory_ordered 1
		.amdhsa_forward_progress 1
		.amdhsa_inst_pref_size 28
		.amdhsa_round_robin_scheduling 0
		.amdhsa_exception_fp_ieee_invalid_op 0
		.amdhsa_exception_fp_denorm_src 0
		.amdhsa_exception_fp_ieee_div_zero 0
		.amdhsa_exception_fp_ieee_overflow 0
		.amdhsa_exception_fp_ieee_underflow 0
		.amdhsa_exception_fp_ieee_inexact 0
		.amdhsa_exception_int_div_zero 0
	.end_amdhsa_kernel
	.section	.text._ZL13mul_mat_vec_qIL9ggml_type6ELi1ELb1ELb1EEvPKvS2_PKi31ggml_cuda_mm_fusion_args_devicePfj15HIP_vector_typeIjLj3EEjjjS8_jjjS8_jjjj,"axG",@progbits,_ZL13mul_mat_vec_qIL9ggml_type6ELi1ELb1ELb1EEvPKvS2_PKi31ggml_cuda_mm_fusion_args_devicePfj15HIP_vector_typeIjLj3EEjjjS8_jjjS8_jjjj,comdat
.Lfunc_end37:
	.size	_ZL13mul_mat_vec_qIL9ggml_type6ELi1ELb1ELb1EEvPKvS2_PKi31ggml_cuda_mm_fusion_args_devicePfj15HIP_vector_typeIjLj3EEjjjS8_jjjS8_jjjj, .Lfunc_end37-_ZL13mul_mat_vec_qIL9ggml_type6ELi1ELb1ELb1EEvPKvS2_PKi31ggml_cuda_mm_fusion_args_devicePfj15HIP_vector_typeIjLj3EEjjjS8_jjjS8_jjjj
                                        ; -- End function
	.set _ZL13mul_mat_vec_qIL9ggml_type6ELi1ELb1ELb1EEvPKvS2_PKi31ggml_cuda_mm_fusion_args_devicePfj15HIP_vector_typeIjLj3EEjjjS8_jjjS8_jjjj.num_vgpr, 46
	.set _ZL13mul_mat_vec_qIL9ggml_type6ELi1ELb1ELb1EEvPKvS2_PKi31ggml_cuda_mm_fusion_args_devicePfj15HIP_vector_typeIjLj3EEjjjS8_jjjS8_jjjj.num_agpr, 0
	.set _ZL13mul_mat_vec_qIL9ggml_type6ELi1ELb1ELb1EEvPKvS2_PKi31ggml_cuda_mm_fusion_args_devicePfj15HIP_vector_typeIjLj3EEjjjS8_jjjS8_jjjj.numbered_sgpr, 38
	.set _ZL13mul_mat_vec_qIL9ggml_type6ELi1ELb1ELb1EEvPKvS2_PKi31ggml_cuda_mm_fusion_args_devicePfj15HIP_vector_typeIjLj3EEjjjS8_jjjS8_jjjj.num_named_barrier, 0
	.set _ZL13mul_mat_vec_qIL9ggml_type6ELi1ELb1ELb1EEvPKvS2_PKi31ggml_cuda_mm_fusion_args_devicePfj15HIP_vector_typeIjLj3EEjjjS8_jjjS8_jjjj.private_seg_size, 0
	.set _ZL13mul_mat_vec_qIL9ggml_type6ELi1ELb1ELb1EEvPKvS2_PKi31ggml_cuda_mm_fusion_args_devicePfj15HIP_vector_typeIjLj3EEjjjS8_jjjS8_jjjj.uses_vcc, 1
	.set _ZL13mul_mat_vec_qIL9ggml_type6ELi1ELb1ELb1EEvPKvS2_PKi31ggml_cuda_mm_fusion_args_devicePfj15HIP_vector_typeIjLj3EEjjjS8_jjjS8_jjjj.uses_flat_scratch, 0
	.set _ZL13mul_mat_vec_qIL9ggml_type6ELi1ELb1ELb1EEvPKvS2_PKi31ggml_cuda_mm_fusion_args_devicePfj15HIP_vector_typeIjLj3EEjjjS8_jjjS8_jjjj.has_dyn_sized_stack, 0
	.set _ZL13mul_mat_vec_qIL9ggml_type6ELi1ELb1ELb1EEvPKvS2_PKi31ggml_cuda_mm_fusion_args_devicePfj15HIP_vector_typeIjLj3EEjjjS8_jjjS8_jjjj.has_recursion, 0
	.set _ZL13mul_mat_vec_qIL9ggml_type6ELi1ELb1ELb1EEvPKvS2_PKi31ggml_cuda_mm_fusion_args_devicePfj15HIP_vector_typeIjLj3EEjjjS8_jjjS8_jjjj.has_indirect_call, 0
	.section	.AMDGPU.csdata,"",@progbits
; Kernel info:
; codeLenInByte = 3528
; TotalNumSgprs: 40
; NumVgprs: 46
; ScratchSize: 0
; MemoryBound: 0
; FloatMode: 240
; IeeeMode: 1
; LDSByteSize: 1792 bytes/workgroup (compile time only)
; SGPRBlocks: 0
; VGPRBlocks: 5
; NumSGPRsForWavesPerEU: 40
; NumVGPRsForWavesPerEU: 46
; Occupancy: 16
; WaveLimiterHint : 0
; COMPUTE_PGM_RSRC2:SCRATCH_EN: 0
; COMPUTE_PGM_RSRC2:USER_SGPR: 2
; COMPUTE_PGM_RSRC2:TRAP_HANDLER: 0
; COMPUTE_PGM_RSRC2:TGID_X_EN: 1
; COMPUTE_PGM_RSRC2:TGID_Y_EN: 1
; COMPUTE_PGM_RSRC2:TGID_Z_EN: 1
; COMPUTE_PGM_RSRC2:TIDIG_COMP_CNT: 1
	.section	.text._ZL13mul_mat_vec_qIL9ggml_type6ELi1ELb0ELb1EEvPKvS2_PKi31ggml_cuda_mm_fusion_args_devicePfj15HIP_vector_typeIjLj3EEjjjS8_jjjS8_jjjj,"axG",@progbits,_ZL13mul_mat_vec_qIL9ggml_type6ELi1ELb0ELb1EEvPKvS2_PKi31ggml_cuda_mm_fusion_args_devicePfj15HIP_vector_typeIjLj3EEjjjS8_jjjS8_jjjj,comdat
	.globl	_ZL13mul_mat_vec_qIL9ggml_type6ELi1ELb0ELb1EEvPKvS2_PKi31ggml_cuda_mm_fusion_args_devicePfj15HIP_vector_typeIjLj3EEjjjS8_jjjS8_jjjj ; -- Begin function _ZL13mul_mat_vec_qIL9ggml_type6ELi1ELb0ELb1EEvPKvS2_PKi31ggml_cuda_mm_fusion_args_devicePfj15HIP_vector_typeIjLj3EEjjjS8_jjjS8_jjjj
	.p2align	8
	.type	_ZL13mul_mat_vec_qIL9ggml_type6ELi1ELb0ELb1EEvPKvS2_PKi31ggml_cuda_mm_fusion_args_devicePfj15HIP_vector_typeIjLj3EEjjjS8_jjjS8_jjjj,@function
_ZL13mul_mat_vec_qIL9ggml_type6ELi1ELb0ELb1EEvPKvS2_PKi31ggml_cuda_mm_fusion_args_devicePfj15HIP_vector_typeIjLj3EEjjjS8_jjjS8_jjjj: ; @_ZL13mul_mat_vec_qIL9ggml_type6ELi1ELb0ELb1EEvPKvS2_PKi31ggml_cuda_mm_fusion_args_devicePfj15HIP_vector_typeIjLj3EEjjjS8_jjjS8_jjjj
; %bb.0:
	s_clause 0x1
	s_load_b64 s[2:3], s[0:1], 0x10
	s_load_b128 s[8:11], s[0:1], 0x40
	s_and_b32 s15, ttmp7, 0xffff
	s_wait_kmcnt 0x0
	s_cmp_lg_u64 s[2:3], 0
	s_cselect_b32 s12, -1, 0
	s_cmp_eq_u64 s[2:3], 0
	s_cbranch_scc1 .LBB38_15
; %bb.1:
	s_lshl_b32 s4, s15, 2
	s_load_b32 s19, s[2:3], s4 offset:0x0
	s_clause 0x1
	s_load_b128 s[4:7], s[0:1], 0x68
	s_load_b32 s20, s[0:1], 0x50
	s_cbranch_execnz .LBB38_3
.LBB38_2:
	s_load_b64 s[2:3], s[0:1], 0x5c
	s_wait_kmcnt 0x0
	s_mul_hi_u32 s2, s2, s15
	s_delay_alu instid0(SALU_CYCLE_1) | instskip(NEXT) | instid1(SALU_CYCLE_1)
	s_add_co_i32 s2, s15, s2
	s_lshr_b32 s19, s2, s3
.LBB38_3:
	s_load_b32 s21, s[0:1], 0x78
	s_and_not1_b32 vcc_lo, exec_lo, s12
	s_mov_b32 s22, s15
	s_cbranch_vccnz .LBB38_5
; %bb.4:
	s_mul_hi_u32 s2, s9, s15
	s_delay_alu instid0(SALU_CYCLE_1) | instskip(NEXT) | instid1(SALU_CYCLE_1)
	s_add_co_i32 s2, s15, s2
	s_lshr_b32 s2, s2, s10
	s_delay_alu instid0(SALU_CYCLE_1) | instskip(NEXT) | instid1(SALU_CYCLE_1)
	s_mul_i32 s2, s2, s11
	s_sub_co_i32 s22, s15, s2
.LBB38_5:
	v_bfe_u32 v3, v0, 10, 10
	v_and_b32_e32 v2, 0x3ff, v0
	s_load_b96 s[12:14], s[0:1], 0x80
	s_lshr_b32 s18, s8, 5
	s_lshr_b32 s16, ttmp7, 16
	v_lshlrev_b32_e32 v0, 5, v3
	s_mov_b32 s17, exec_lo
	v_mov_b32_e32 v4, 0
	s_delay_alu instid0(VALU_DEP_2) | instskip(NEXT) | instid1(VALU_DEP_1)
	v_add_nc_u16 v1, v0, v2
	v_lshrrev_b16 v1, 1, v1
	s_delay_alu instid0(VALU_DEP_1) | instskip(NEXT) | instid1(VALU_DEP_1)
	v_and_b32_e32 v5, 0xffff, v1
	v_cmpx_gt_u32_e64 s18, v5
	s_cbranch_execz .LBB38_9
; %bb.6:
	s_load_b128 s[8:11], s[0:1], 0x0
	v_dual_mov_b32 v4, 0 :: v_dual_lshlrev_b32 v1, 1, v2
	s_wait_kmcnt 0x0
	s_mul_i32 s22, s22, s5
	s_mul_hi_u32 s5, s7, s16
	v_add_nc_u32_e32 v0, v0, v2
	s_add_co_i32 s5, s16, s5
	s_mul_i32 s2, s13, s16
	s_mov_b32 s3, 0
	s_lshr_b32 s5, s5, s21
	v_and_b32_e32 v1, 2, v1
	s_mov_b32 s23, s3
	s_mul_i32 s7, s19, s4
	s_mul_i32 s19, s5, s12
	s_mul_u64 s[4:5], s[2:3], 36
	v_lshrrev_b32_e32 v0, 1, v0
	s_mul_u64 s[12:13], s[22:23], 36
	v_lshlrev_b32_e32 v9, 1, v1
	v_lshlrev_b32_e32 v6, 2, v1
	v_and_b32_e32 v8, 1, v2
	s_add_nc_u64 s[4:5], s[10:11], s[4:5]
	s_mul_i32 s20, s20, ttmp9
	s_add_nc_u64 s[4:5], s[4:5], s[12:13]
	v_or_b32_e32 v7, 4, v6
	v_mad_co_u64_u32 v[0:1], null, v0, 36, s[4:5]
	v_lshlrev_b32_e32 v8, 3, v8
	v_lshlrev_b32_e32 v9, 1, v9
	s_wait_alu 0xfffe
	s_add_co_i32 s19, s19, s20
	s_wait_alu 0xfffe
	s_add_co_i32 s4, s7, s19
.LBB38_7:                               ; =>This Inner Loop Header: Depth=1
	s_wait_alu 0xfffe
	v_add_nc_u32_e32 v10, s4, v5
	v_add_nc_u32_e32 v5, 0x80, v5
	s_delay_alu instid0(VALU_DEP_2) | instskip(NEXT) | instid1(VALU_DEP_1)
	v_mad_co_i64_i32 v[10:11], null, v10, 22, s[8:9]
	v_add_co_u32 v12, vcc_lo, v10, v9
	s_wait_alu 0xfffd
	s_delay_alu instid0(VALU_DEP_2)
	v_add_co_ci_u32_e64 v13, null, 0, v11, vcc_lo
	v_add_co_u32 v14, vcc_lo, v0, v8
	s_clause 0x1
	global_load_b32 v18, v[10:11], off offset:2
	global_load_b64 v[12:13], v[12:13], off offset:6
	s_wait_alu 0xfffd
	v_add_co_ci_u32_e64 v15, null, 0, v1, vcc_lo
	s_clause 0x2
	global_load_b64 v[16:17], v[14:15], off offset:4
	global_load_b64 v[14:15], v[14:15], off offset:20
	global_load_b32 v19, v[0:1], off
	global_load_u16 v10, v[10:11], off
	v_cmp_le_u32_e32 vcc_lo, s18, v5
	v_add_co_u32 v0, s2, 0x1200, v0
	s_wait_alu 0xf1ff
	v_add_co_ci_u32_e64 v1, null, 0, v1, s2
	s_or_b32 s3, vcc_lo, s3
	s_wait_loadcnt 0x5
	v_ashrrev_i32_e32 v11, v6, v18
	v_ashrrev_i32_e32 v18, v7, v18
	s_wait_loadcnt 0x4
	v_and_b32_e32 v20, 0xf0f0f0f, v12
	v_lshrrev_b32_e32 v12, 4, v12
	v_and_b32_e32 v28, 0xf0f0f0f, v13
	v_lshlrev_b32_e32 v21, 4, v11
	v_lshlrev_b32_e32 v22, 11, v11
	;; [unrolled: 1-line block ×4, first 2 shown]
	v_lshrrev_b32_e32 v25, 12, v11
	v_lshrrev_b32_e32 v26, 5, v11
	v_lshlrev_b32_e32 v27, 2, v11
	v_and_b32_e32 v21, 16, v21
	v_and_b32_e32 v22, 0x1000, v22
	v_lshlrev_b32_e32 v11, 9, v11
	v_lshlrev_b32_e32 v29, 4, v18
	;; [unrolled: 1-line block ×4, first 2 shown]
	v_and_b32_e32 v23, 0x100000, v23
	v_and_b32_e32 v24, 0x10000000, v24
	;; [unrolled: 1-line block ×5, first 2 shown]
	v_or3_b32 v20, v21, v20, v22
	v_lshlrev_b32_e32 v32, 25, v18
	v_lshrrev_b32_e32 v33, 12, v18
	v_lshrrev_b32_e32 v34, 5, v18
	v_lshlrev_b32_e32 v35, 2, v18
	v_and_b32_e32 v12, 0xf0f0f0f, v12
	v_and_b32_e32 v11, 0x10000000, v11
	;; [unrolled: 1-line block ×5, first 2 shown]
	v_or3_b32 v21, v26, v25, v27
	v_or3_b32 v20, v20, v23, v24
	v_lshrrev_b32_e32 v13, 4, v13
	v_lshlrev_b32_e32 v18, 9, v18
	v_and_b32_e32 v32, 0x10000000, v32
	v_and_b32_e32 v33, 16, v33
	;; [unrolled: 1-line block ×4, first 2 shown]
	v_or3_b32 v22, v30, v29, v31
	v_or3_b32 v11, v21, v11, v12
	s_wait_loadcnt 0x3
	v_dot4_i32_iu8 v12, v20, v16, 0 neg_lo:[1,1,0]
	v_and_b32_e32 v13, 0xf0f0f0f, v13
	v_and_b32_e32 v18, 0x10000000, v18
	v_or3_b32 v16, v34, v33, v35
	v_or3_b32 v20, v22, v32, v28
	s_wait_loadcnt 0x2
	v_dot4_i32_iu8 v11, v11, v14, v12 neg_lo:[1,1,0]
	s_wait_loadcnt 0x1
	v_lshrrev_b32_e32 v12, 16, v19
	v_or3_b32 v13, v16, v18, v13
	s_delay_alu instid0(VALU_DEP_3) | instskip(NEXT) | instid1(VALU_DEP_3)
	v_dot4_i32_iu8 v11, v20, v17, v11 neg_lo:[1,1,0]
	v_cvt_f32_f16_e32 v12, v12
	s_delay_alu instid0(VALU_DEP_2) | instskip(NEXT) | instid1(VALU_DEP_2)
	v_dot4_i32_iu8 v11, v13, v15, v11 neg_lo:[1,1,0]
	v_mul_f32_e32 v12, 0xc1000000, v12
	s_delay_alu instid0(VALU_DEP_2) | instskip(NEXT) | instid1(VALU_DEP_1)
	v_cvt_f32_i32_e32 v11, v11
	v_fma_mix_f32 v11, v19, v11, v12 op_sel_hi:[1,0,0]
	s_wait_loadcnt 0x0
	s_delay_alu instid0(VALU_DEP_1)
	v_fma_mix_f32 v4, v11, v10, v4 op_sel_hi:[0,1,0]
	s_wait_alu 0xfffe
	s_and_not1_b32 exec_lo, exec_lo, s3
	s_cbranch_execnz .LBB38_7
; %bb.8:
	s_or_b32 exec_lo, exec_lo, s3
.LBB38_9:
	s_delay_alu instid0(SALU_CYCLE_1)
	s_or_b32 exec_lo, exec_lo, s17
	v_lshlrev_b32_e32 v0, 2, v2
	s_mov_b32 s3, exec_lo
	v_cmp_eq_u32_e32 vcc_lo, 0, v3
	v_cmpx_ne_u32_e32 0, v3
; %bb.10:
	v_lshlrev_b32_e32 v1, 7, v3
	s_delay_alu instid0(VALU_DEP_1)
	v_add3_u32 v1, v1, v0, 0xffffff80
	ds_store_b32 v1, v4
; %bb.11:
	s_wait_alu 0xfffe
	s_or_b32 exec_lo, exec_lo, s3
	s_wait_dscnt 0x0
	s_barrier_signal -1
	s_barrier_wait -1
	global_inv scope:SCOPE_SE
	s_and_saveexec_b32 s2, vcc_lo
	s_cbranch_execz .LBB38_14
; %bb.12:
	ds_load_2addr_b32 v[5:6], v0 offset1:32
	ds_load_2addr_b32 v[7:8], v0 offset0:64 offset1:96
	ds_load_2addr_b32 v[9:10], v0 offset0:128 offset1:160
	v_mbcnt_lo_u32_b32 v3, -1, 0
	ds_load_b32 v0, v0 offset:768
	s_mov_b32 s3, 0
	s_wait_dscnt 0x3
	v_add_f32_e32 v1, v4, v5
	v_xor_b32_e32 v4, 16, v3
	s_delay_alu instid0(VALU_DEP_1) | instskip(SKIP_1) | instid1(VALU_DEP_3)
	v_cmp_gt_i32_e32 vcc_lo, 32, v4
	s_wait_alu 0xfffd
	v_dual_cndmask_b32 v4, v3, v4 :: v_dual_add_f32 v1, v1, v6
	s_wait_dscnt 0x2
	s_delay_alu instid0(VALU_DEP_1) | instskip(NEXT) | instid1(VALU_DEP_1)
	v_add_f32_e32 v1, v1, v7
	v_add_f32_e32 v1, v1, v8
	s_wait_dscnt 0x1
	s_delay_alu instid0(VALU_DEP_1) | instskip(NEXT) | instid1(VALU_DEP_1)
	v_add_f32_e32 v1, v1, v9
	v_add_f32_e32 v1, v1, v10
	s_wait_dscnt 0x0
	s_delay_alu instid0(VALU_DEP_1)
	v_add_f32_e32 v0, v1, v0
	v_lshlrev_b32_e32 v1, 2, v4
	v_xor_b32_e32 v4, 8, v3
	ds_bpermute_b32 v1, v1, v0
	v_cmp_gt_i32_e32 vcc_lo, 32, v4
	s_wait_alu 0xfffd
	v_cndmask_b32_e32 v4, v3, v4, vcc_lo
	s_delay_alu instid0(VALU_DEP_1) | instskip(SKIP_4) | instid1(VALU_DEP_1)
	v_lshlrev_b32_e32 v4, 2, v4
	s_wait_dscnt 0x0
	v_add_f32_e32 v0, v0, v1
	ds_bpermute_b32 v1, v4, v0
	v_xor_b32_e32 v4, 4, v3
	v_cmp_gt_i32_e32 vcc_lo, 32, v4
	s_wait_alu 0xfffd
	v_cndmask_b32_e32 v4, v3, v4, vcc_lo
	s_delay_alu instid0(VALU_DEP_1) | instskip(SKIP_4) | instid1(VALU_DEP_1)
	v_lshlrev_b32_e32 v4, 2, v4
	s_wait_dscnt 0x0
	v_add_f32_e32 v0, v0, v1
	ds_bpermute_b32 v1, v4, v0
	v_xor_b32_e32 v4, 2, v3
	;; [unrolled: 9-line block ×3, first 2 shown]
	v_cmp_gt_i32_e32 vcc_lo, 32, v4
	s_wait_alu 0xfffd
	v_cndmask_b32_e32 v3, v3, v4, vcc_lo
	v_cmp_eq_u32_e32 vcc_lo, 0, v2
	s_wait_dscnt 0x0
	s_delay_alu instid0(VALU_DEP_2)
	v_dual_add_f32 v0, v0, v1 :: v_dual_lshlrev_b32 v3, 2, v3
	ds_bpermute_b32 v1, v3, v0
	s_and_b32 exec_lo, exec_lo, vcc_lo
	s_cbranch_execz .LBB38_14
; %bb.13:
	s_load_b64 s[0:1], s[0:1], 0x38
	s_wait_kmcnt 0x0
	s_mul_i32 s2, s6, s15
	s_mul_i32 s4, s14, s16
	s_wait_alu 0xfffe
	s_add_co_i32 s2, s2, ttmp9
	v_mov_b32_e32 v2, 0
	s_wait_alu 0xfffe
	s_add_co_i32 s2, s2, s4
	s_wait_dscnt 0x0
	v_add_f32_e32 v0, v0, v1
	s_wait_alu 0xfffe
	s_lshl_b64 s[2:3], s[2:3], 2
	s_wait_alu 0xfffe
	s_add_nc_u64 s[0:1], s[0:1], s[2:3]
	global_store_b32 v2, v0, s[0:1]
.LBB38_14:
	s_endpgm
.LBB38_15:
                                        ; implicit-def: $sgpr19
	s_clause 0x1
	s_load_b128 s[4:7], s[0:1], 0x68
	s_load_b32 s20, s[0:1], 0x50
	s_branch .LBB38_2
	.section	.rodata,"a",@progbits
	.p2align	6, 0x0
	.amdhsa_kernel _ZL13mul_mat_vec_qIL9ggml_type6ELi1ELb0ELb1EEvPKvS2_PKi31ggml_cuda_mm_fusion_args_devicePfj15HIP_vector_typeIjLj3EEjjjS8_jjjS8_jjjj
		.amdhsa_group_segment_fixed_size 896
		.amdhsa_private_segment_fixed_size 0
		.amdhsa_kernarg_size 144
		.amdhsa_user_sgpr_count 2
		.amdhsa_user_sgpr_dispatch_ptr 0
		.amdhsa_user_sgpr_queue_ptr 0
		.amdhsa_user_sgpr_kernarg_segment_ptr 1
		.amdhsa_user_sgpr_dispatch_id 0
		.amdhsa_user_sgpr_private_segment_size 0
		.amdhsa_wavefront_size32 1
		.amdhsa_uses_dynamic_stack 0
		.amdhsa_enable_private_segment 0
		.amdhsa_system_sgpr_workgroup_id_x 1
		.amdhsa_system_sgpr_workgroup_id_y 1
		.amdhsa_system_sgpr_workgroup_id_z 1
		.amdhsa_system_sgpr_workgroup_info 0
		.amdhsa_system_vgpr_workitem_id 1
		.amdhsa_next_free_vgpr 36
		.amdhsa_next_free_sgpr 24
		.amdhsa_reserve_vcc 1
		.amdhsa_float_round_mode_32 0
		.amdhsa_float_round_mode_16_64 0
		.amdhsa_float_denorm_mode_32 3
		.amdhsa_float_denorm_mode_16_64 3
		.amdhsa_fp16_overflow 0
		.amdhsa_workgroup_processor_mode 1
		.amdhsa_memory_ordered 1
		.amdhsa_forward_progress 1
		.amdhsa_inst_pref_size 12
		.amdhsa_round_robin_scheduling 0
		.amdhsa_exception_fp_ieee_invalid_op 0
		.amdhsa_exception_fp_denorm_src 0
		.amdhsa_exception_fp_ieee_div_zero 0
		.amdhsa_exception_fp_ieee_overflow 0
		.amdhsa_exception_fp_ieee_underflow 0
		.amdhsa_exception_fp_ieee_inexact 0
		.amdhsa_exception_int_div_zero 0
	.end_amdhsa_kernel
	.section	.text._ZL13mul_mat_vec_qIL9ggml_type6ELi1ELb0ELb1EEvPKvS2_PKi31ggml_cuda_mm_fusion_args_devicePfj15HIP_vector_typeIjLj3EEjjjS8_jjjS8_jjjj,"axG",@progbits,_ZL13mul_mat_vec_qIL9ggml_type6ELi1ELb0ELb1EEvPKvS2_PKi31ggml_cuda_mm_fusion_args_devicePfj15HIP_vector_typeIjLj3EEjjjS8_jjjS8_jjjj,comdat
.Lfunc_end38:
	.size	_ZL13mul_mat_vec_qIL9ggml_type6ELi1ELb0ELb1EEvPKvS2_PKi31ggml_cuda_mm_fusion_args_devicePfj15HIP_vector_typeIjLj3EEjjjS8_jjjS8_jjjj, .Lfunc_end38-_ZL13mul_mat_vec_qIL9ggml_type6ELi1ELb0ELb1EEvPKvS2_PKi31ggml_cuda_mm_fusion_args_devicePfj15HIP_vector_typeIjLj3EEjjjS8_jjjS8_jjjj
                                        ; -- End function
	.set _ZL13mul_mat_vec_qIL9ggml_type6ELi1ELb0ELb1EEvPKvS2_PKi31ggml_cuda_mm_fusion_args_devicePfj15HIP_vector_typeIjLj3EEjjjS8_jjjS8_jjjj.num_vgpr, 36
	.set _ZL13mul_mat_vec_qIL9ggml_type6ELi1ELb0ELb1EEvPKvS2_PKi31ggml_cuda_mm_fusion_args_devicePfj15HIP_vector_typeIjLj3EEjjjS8_jjjS8_jjjj.num_agpr, 0
	.set _ZL13mul_mat_vec_qIL9ggml_type6ELi1ELb0ELb1EEvPKvS2_PKi31ggml_cuda_mm_fusion_args_devicePfj15HIP_vector_typeIjLj3EEjjjS8_jjjS8_jjjj.numbered_sgpr, 24
	.set _ZL13mul_mat_vec_qIL9ggml_type6ELi1ELb0ELb1EEvPKvS2_PKi31ggml_cuda_mm_fusion_args_devicePfj15HIP_vector_typeIjLj3EEjjjS8_jjjS8_jjjj.num_named_barrier, 0
	.set _ZL13mul_mat_vec_qIL9ggml_type6ELi1ELb0ELb1EEvPKvS2_PKi31ggml_cuda_mm_fusion_args_devicePfj15HIP_vector_typeIjLj3EEjjjS8_jjjS8_jjjj.private_seg_size, 0
	.set _ZL13mul_mat_vec_qIL9ggml_type6ELi1ELb0ELb1EEvPKvS2_PKi31ggml_cuda_mm_fusion_args_devicePfj15HIP_vector_typeIjLj3EEjjjS8_jjjS8_jjjj.uses_vcc, 1
	.set _ZL13mul_mat_vec_qIL9ggml_type6ELi1ELb0ELb1EEvPKvS2_PKi31ggml_cuda_mm_fusion_args_devicePfj15HIP_vector_typeIjLj3EEjjjS8_jjjS8_jjjj.uses_flat_scratch, 0
	.set _ZL13mul_mat_vec_qIL9ggml_type6ELi1ELb0ELb1EEvPKvS2_PKi31ggml_cuda_mm_fusion_args_devicePfj15HIP_vector_typeIjLj3EEjjjS8_jjjS8_jjjj.has_dyn_sized_stack, 0
	.set _ZL13mul_mat_vec_qIL9ggml_type6ELi1ELb0ELb1EEvPKvS2_PKi31ggml_cuda_mm_fusion_args_devicePfj15HIP_vector_typeIjLj3EEjjjS8_jjjS8_jjjj.has_recursion, 0
	.set _ZL13mul_mat_vec_qIL9ggml_type6ELi1ELb0ELb1EEvPKvS2_PKi31ggml_cuda_mm_fusion_args_devicePfj15HIP_vector_typeIjLj3EEjjjS8_jjjS8_jjjj.has_indirect_call, 0
	.section	.AMDGPU.csdata,"",@progbits
; Kernel info:
; codeLenInByte = 1480
; TotalNumSgprs: 26
; NumVgprs: 36
; ScratchSize: 0
; MemoryBound: 0
; FloatMode: 240
; IeeeMode: 1
; LDSByteSize: 896 bytes/workgroup (compile time only)
; SGPRBlocks: 0
; VGPRBlocks: 4
; NumSGPRsForWavesPerEU: 26
; NumVGPRsForWavesPerEU: 36
; Occupancy: 16
; WaveLimiterHint : 0
; COMPUTE_PGM_RSRC2:SCRATCH_EN: 0
; COMPUTE_PGM_RSRC2:USER_SGPR: 2
; COMPUTE_PGM_RSRC2:TRAP_HANDLER: 0
; COMPUTE_PGM_RSRC2:TGID_X_EN: 1
; COMPUTE_PGM_RSRC2:TGID_Y_EN: 1
; COMPUTE_PGM_RSRC2:TGID_Z_EN: 1
; COMPUTE_PGM_RSRC2:TIDIG_COMP_CNT: 1
	.section	.text._ZL13mul_mat_vec_qIL9ggml_type6ELi1ELb1ELb0EEvPKvS2_PKi31ggml_cuda_mm_fusion_args_devicePfj15HIP_vector_typeIjLj3EEjjjS8_jjjS8_jjjj,"axG",@progbits,_ZL13mul_mat_vec_qIL9ggml_type6ELi1ELb1ELb0EEvPKvS2_PKi31ggml_cuda_mm_fusion_args_devicePfj15HIP_vector_typeIjLj3EEjjjS8_jjjS8_jjjj,comdat
	.globl	_ZL13mul_mat_vec_qIL9ggml_type6ELi1ELb1ELb0EEvPKvS2_PKi31ggml_cuda_mm_fusion_args_devicePfj15HIP_vector_typeIjLj3EEjjjS8_jjjS8_jjjj ; -- Begin function _ZL13mul_mat_vec_qIL9ggml_type6ELi1ELb1ELb0EEvPKvS2_PKi31ggml_cuda_mm_fusion_args_devicePfj15HIP_vector_typeIjLj3EEjjjS8_jjjS8_jjjj
	.p2align	8
	.type	_ZL13mul_mat_vec_qIL9ggml_type6ELi1ELb1ELb0EEvPKvS2_PKi31ggml_cuda_mm_fusion_args_devicePfj15HIP_vector_typeIjLj3EEjjjS8_jjjS8_jjjj,@function
_ZL13mul_mat_vec_qIL9ggml_type6ELi1ELb1ELb0EEvPKvS2_PKi31ggml_cuda_mm_fusion_args_devicePfj15HIP_vector_typeIjLj3EEjjjS8_jjjS8_jjjj: ; @_ZL13mul_mat_vec_qIL9ggml_type6ELi1ELb1ELb0EEvPKvS2_PKi31ggml_cuda_mm_fusion_args_devicePfj15HIP_vector_typeIjLj3EEjjjS8_jjjS8_jjjj
; %bb.0:
	s_clause 0x3
	s_load_b256 s[8:15], s[0:1], 0x0
	s_load_b128 s[16:19], s[0:1], 0x20
	s_load_b128 s[20:23], s[0:1], 0x40
	;; [unrolled: 1-line block ×3, first 2 shown]
	s_and_b32 s27, ttmp7, 0xffff
	s_wait_kmcnt 0x0
	s_cmp_lg_u64 s[12:13], 0
	s_cselect_b32 s2, -1, 0
	s_cmp_eq_u64 s[12:13], 0
	s_cbranch_scc1 .LBB39_42
; %bb.1:
	s_lshl_b32 s3, s27, 2
	s_load_b32 s28, s[12:13], s3 offset:0x0
	s_clause 0x1
	s_load_b32 s29, s[0:1], 0x50
	s_load_b32 s30, s[0:1], 0x78
	s_cbranch_execnz .LBB39_3
.LBB39_2:
	s_load_b64 s[12:13], s[0:1], 0x5c
	s_wait_kmcnt 0x0
	s_mul_hi_u32 s3, s12, s27
	s_delay_alu instid0(SALU_CYCLE_1) | instskip(NEXT) | instid1(SALU_CYCLE_1)
	s_add_co_i32 s3, s27, s3
	s_lshr_b32 s28, s3, s13
.LBB39_3:
	s_and_not1_b32 vcc_lo, exec_lo, s2
	s_mov_b32 s3, s27
	s_mov_b32 s31, s27
	s_cbranch_vccnz .LBB39_5
; %bb.4:
	s_mul_hi_u32 s2, s21, s27
	s_wait_kmcnt 0x0
	s_mov_b32 s3, s28
	s_add_co_i32 s2, s27, s2
	s_delay_alu instid0(SALU_CYCLE_1) | instskip(NEXT) | instid1(SALU_CYCLE_1)
	s_lshr_b32 s2, s2, s22
	s_mul_i32 s2, s2, s23
	s_delay_alu instid0(SALU_CYCLE_1)
	s_sub_co_i32 s31, s27, s2
.LBB39_5:
	s_load_b96 s[24:26], s[0:1], 0x80
	v_bfe_u32 v14, v0, 10, 10
	v_dual_mov_b32 v10, 0 :: v_dual_and_b32 v9, 0x3ff, v0
	s_lshr_b32 s21, ttmp7, 16
	s_cmp_lg_u64 s[14:15], 0
	s_delay_alu instid0(VALU_DEP_1) | instskip(SKIP_4) | instid1(VALU_DEP_1)
	v_dual_mov_b32 v11, 0 :: v_dual_lshlrev_b32 v8, 2, v9
	v_or_b32_e32 v0, v9, v14
	s_cselect_b32 s2, -1, 0
	s_mov_b32 s23, 0
	s_mul_i32 s12, s3, s6
	v_cmp_eq_u32_e32 vcc_lo, 0, v0
	s_and_b32 s13, s2, vcc_lo
	s_delay_alu instid0(SALU_CYCLE_1)
	s_and_saveexec_b32 s3, s13
	s_cbranch_execz .LBB39_7
; %bb.6:
	s_wait_kmcnt 0x0
	s_mul_i32 s22, s26, s21
	s_mov_b32 s13, s23
	s_lshl_b64 s[36:37], s[22:23], 2
	s_mov_b32 s34, ttmp9
	s_add_nc_u64 s[14:15], s[14:15], s[36:37]
	s_lshl_b64 s[22:23], s[12:13], 2
	s_ashr_i32 s35, ttmp9, 31
	s_add_nc_u64 s[14:15], s[14:15], s[22:23]
	s_lshl_b64 s[22:23], s[34:35], 2
	s_delay_alu instid0(SALU_CYCLE_1)
	s_add_nc_u64 s[14:15], s[14:15], s[22:23]
	global_load_b32 v11, v8, s[14:15]
.LBB39_7:
	s_or_b32 exec_lo, exec_lo, s3
	s_cmp_lg_u64 s[16:17], 0
	s_cselect_b32 s14, -1, 0
	s_cmp_lg_u64 s[18:19], 0
	s_cselect_b32 s3, -1, 0
	s_delay_alu instid0(SALU_CYCLE_1) | instskip(NEXT) | instid1(SALU_CYCLE_1)
	s_and_b32 s13, s3, s14
	s_and_b32 s13, s13, vcc_lo
	s_delay_alu instid0(SALU_CYCLE_1)
	s_and_saveexec_b32 s15, s13
	s_cbranch_execz .LBB39_9
; %bb.8:
	s_wait_kmcnt 0x0
	s_mul_i32 s34, s26, s21
	s_mov_b32 s35, 0
	s_mov_b32 s22, ttmp9
	s_lshl_b64 s[36:37], s[34:35], 2
	s_mov_b32 s13, s35
	s_add_nc_u64 s[18:19], s[18:19], s[36:37]
	s_lshl_b64 s[12:13], s[12:13], 2
	s_ashr_i32 s23, ttmp9, 31
	s_add_nc_u64 s[12:13], s[18:19], s[12:13]
	s_lshl_b64 s[18:19], s[22:23], 2
	s_delay_alu instid0(SALU_CYCLE_1)
	s_add_nc_u64 s[12:13], s[12:13], s[18:19]
	global_load_b32 v10, v8, s[12:13]
.LBB39_9:
	s_or_b32 exec_lo, exec_lo, s15
	v_dual_mov_b32 v15, 0 :: v_dual_lshlrev_b32 v0, 5, v14
	v_cndmask_b32_e64 v12, 0, 1, s14
	s_lshr_b32 s15, s20, 5
	s_mov_b32 s18, exec_lo
	s_delay_alu instid0(VALU_DEP_2) | instskip(SKIP_1) | instid1(VALU_DEP_2)
	v_add_nc_u16 v1, v0, v9
	v_mov_b32_e32 v13, 0
	v_lshrrev_b16 v1, 1, v1
	s_delay_alu instid0(VALU_DEP_1) | instskip(SKIP_1) | instid1(VALU_DEP_1)
	v_and_b32_e32 v16, 0xffff, v1
	s_wait_alu 0xfffe
	v_cmpx_gt_u32_e64 s15, v16
	s_cbranch_execz .LBB39_15
; %bb.10:
	v_lshlrev_b32_e32 v1, 1, v9
	s_mul_i32 s22, s31, s5
	s_mul_hi_u32 s5, s7, s21
	v_dual_mov_b32 v15, 0 :: v_dual_add_nc_u32 v0, v0, v9
	s_add_co_i32 s5, s21, s5
	s_wait_kmcnt 0x0
	s_mul_i32 s12, s25, s21
	s_mov_b32 s13, 0
	s_lshr_b32 s5, s5, s30
	v_and_b32_e32 v1, 2, v1
	s_mov_b32 s23, s13
	s_mul_i32 s7, s28, s4
	s_mul_i32 s19, s5, s24
	s_mul_u64 s[4:5], s[12:13], 36
	v_lshrrev_b32_e32 v0, 1, v0
	s_mul_u64 s[22:23], s[22:23], 36
	s_add_nc_u64 s[4:5], s[10:11], s[4:5]
	v_dual_mov_b32 v13, 0 :: v_dual_lshlrev_b32 v2, 1, v1
	v_lshlrev_b32_e32 v17, 2, v1
	v_and_b32_e32 v3, 1, v9
	s_add_nc_u64 s[4:5], s[4:5], s[22:23]
	s_mul_i32 s29, s29, ttmp9
	v_mad_co_u64_u32 v[0:1], null, v0, 36, s[4:5]
	v_or_b32_e32 v18, 4, v17
	v_lshlrev_b32_e32 v19, 3, v3
	v_lshlrev_b32_e32 v20, 1, v2
	s_add_co_i32 s19, s19, s29
	s_delay_alu instid0(SALU_CYCLE_1)
	s_add_co_i32 s5, s7, s19
	s_branch .LBB39_12
.LBB39_11:                              ;   in Loop: Header=BB39_12 Depth=1
	s_wait_loadcnt 0x2
	v_ashrrev_i32_e32 v25, v17, v24
	s_wait_loadcnt 0x1
	v_and_b32_e32 v26, 0xf0f0f0f, v6
	v_lshrrev_b32_e32 v6, 4, v6
	v_ashrrev_i32_e32 v24, v18, v24
	v_add_nc_u32_e32 v16, 0x80, v16
	v_lshlrev_b32_e32 v27, 4, v25
	v_lshlrev_b32_e32 v28, 11, v25
	;; [unrolled: 1-line block ×4, first 2 shown]
	v_lshrrev_b32_e32 v31, 12, v25
	v_and_b32_e32 v27, 16, v27
	v_and_b32_e32 v28, 0x1000, v28
	v_lshrrev_b32_e32 v32, 5, v25
	v_lshlrev_b32_e32 v33, 2, v25
	v_and_b32_e32 v29, 0x100000, v29
	v_and_b32_e32 v30, 0x10000000, v30
	v_or3_b32 v26, v27, v26, v28
	v_lshlrev_b32_e32 v25, 9, v25
	v_and_b32_e32 v27, 16, v31
	v_and_b32_e32 v28, 0x1000, v32
	;; [unrolled: 1-line block ×3, first 2 shown]
	v_or3_b32 v26, v26, v29, v30
	v_and_b32_e32 v6, 0xf0f0f0f, v6
	v_and_b32_e32 v25, 0x10000000, v25
	v_lshlrev_b32_e32 v29, 18, v24
	v_or3_b32 v27, v28, v27, v31
	v_lshlrev_b32_e32 v28, 4, v24
	v_dot4_i32_iu8 v4, v26, v4, 0 neg_lo:[1,1,0]
	v_lshlrev_b32_e32 v26, 11, v24
	v_lshrrev_b32_e32 v30, 12, v24
	v_or3_b32 v6, v27, v25, v6
	v_and_b32_e32 v27, 16, v28
	v_and_b32_e32 v28, 0x100000, v29
	;; [unrolled: 1-line block ×3, first 2 shown]
	v_lshlrev_b32_e32 v25, 25, v24
	v_lshrrev_b32_e32 v31, 5, v24
	v_and_b32_e32 v29, 0xf0f0f0f, v7
	v_lshrrev_b32_e32 v7, 4, v7
	v_or3_b32 v26, v26, v27, v28
	v_lshlrev_b32_e32 v27, 2, v24
	v_and_b32_e32 v25, 0x10000000, v25
	v_and_b32_e32 v28, 16, v30
	;; [unrolled: 1-line block ×3, first 2 shown]
	v_lshlrev_b32_e32 v24, 9, v24
	v_and_b32_e32 v27, 0x100000, v27
	v_dot4_i32_iu8 v2, v6, v2, v4 neg_lo:[1,1,0]
	v_or3_b32 v4, v26, v25, v29
	v_and_b32_e32 v6, 0xf0f0f0f, v7
	v_and_b32_e32 v7, 0x10000000, v24
	v_or3_b32 v24, v30, v28, v27
	v_cmp_le_u32_e32 vcc_lo, s15, v16
	v_dot4_i32_iu8 v2, v4, v5, v2 neg_lo:[1,1,0]
	v_add_co_u32 v0, s4, 0x1200, v0
	s_delay_alu instid0(VALU_DEP_4) | instskip(SKIP_4) | instid1(VALU_DEP_1)
	v_or3_b32 v4, v24, v7, v6
	s_wait_alu 0xf1ff
	v_add_co_ci_u32_e64 v1, null, 0, v1, s4
	s_or_b32 s13, vcc_lo, s13
	v_dot4_i32_iu8 v2, v4, v3, v2 neg_lo:[1,1,0]
	v_cvt_f32_i32_e32 v2, v2
	s_delay_alu instid0(VALU_DEP_1) | instskip(SKIP_1) | instid1(VALU_DEP_1)
	v_fma_f32 v2, v22, v2, -v23
	s_wait_loadcnt 0x0
	v_fma_mix_f32 v15, v2, v21, v15 op_sel_hi:[0,1,0]
	s_and_not1_b32 exec_lo, exec_lo, s13
	s_cbranch_execz .LBB39_14
.LBB39_12:                              ; =>This Inner Loop Header: Depth=1
	s_wait_alu 0xfffe
	v_add_nc_u32_e32 v25, s5, v16
	global_load_b32 v23, v[0:1], off
	v_add_co_u32 v2, vcc_lo, v0, v19
	s_wait_alu 0xfffd
	v_add_co_ci_u32_e64 v3, null, 0, v1, vcc_lo
	v_mad_co_i64_i32 v[21:22], null, v25, 22, s[8:9]
	s_delay_alu instid0(VALU_DEP_1) | instskip(SKIP_1) | instid1(VALU_DEP_2)
	v_add_co_u32 v6, vcc_lo, v21, v20
	s_wait_alu 0xfffd
	v_add_co_ci_u32_e64 v7, null, 0, v22, vcc_lo
	s_clause 0x1
	global_load_b64 v[4:5], v[2:3], off offset:4
	global_load_b64 v[2:3], v[2:3], off offset:20
	s_clause 0x2
	global_load_b32 v24, v[21:22], off offset:2
	global_load_b64 v[6:7], v[6:7], off offset:6
	global_load_u16 v21, v[21:22], off
	s_and_not1_b32 vcc_lo, exec_lo, s14
	s_wait_loadcnt 0x5
	v_lshrrev_b32_e32 v22, 16, v23
	s_delay_alu instid0(VALU_DEP_1) | instskip(SKIP_1) | instid1(VALU_DEP_2)
	v_cvt_f32_f16_e32 v26, v22
	v_cvt_f32_f16_e32 v22, v23
	v_mul_f32_e32 v23, 0x41000000, v26
	s_wait_alu 0xfffe
	s_cbranch_vccnz .LBB39_11
; %bb.13:                               ;   in Loop: Header=BB39_12 Depth=1
	v_mad_co_i64_i32 v[25:26], null, v25, 22, s[16:17]
	s_delay_alu instid0(VALU_DEP_1) | instskip(SKIP_1) | instid1(VALU_DEP_2)
	v_add_co_u32 v27, vcc_lo, v25, v20
	s_wait_alu 0xfffd
	v_add_co_ci_u32_e64 v28, null, 0, v26, vcc_lo
	s_clause 0x2
	global_load_b32 v29, v[25:26], off offset:2
	global_load_b64 v[27:28], v[27:28], off offset:6
	global_load_u16 v25, v[25:26], off
	s_wait_loadcnt 0x2
	v_ashrrev_i32_e32 v26, v17, v29
	v_ashrrev_i32_e32 v29, v18, v29
	s_wait_loadcnt 0x1
	v_and_b32_e32 v30, 0xf0f0f0f, v27
	v_lshrrev_b32_e32 v27, 4, v27
	v_and_b32_e32 v38, 0xf0f0f0f, v28
	v_lshlrev_b32_e32 v31, 4, v26
	v_lshlrev_b32_e32 v32, 11, v26
	;; [unrolled: 1-line block ×4, first 2 shown]
	v_lshrrev_b32_e32 v35, 12, v26
	v_lshrrev_b32_e32 v36, 5, v26
	v_lshlrev_b32_e32 v37, 2, v26
	v_and_b32_e32 v31, 16, v31
	v_and_b32_e32 v32, 0x1000, v32
	v_lshlrev_b32_e32 v26, 9, v26
	v_lshlrev_b32_e32 v39, 4, v29
	;; [unrolled: 1-line block ×3, first 2 shown]
	v_and_b32_e32 v33, 0x100000, v33
	v_and_b32_e32 v34, 0x10000000, v34
	;; [unrolled: 1-line block ×5, first 2 shown]
	v_or3_b32 v30, v31, v30, v32
	v_lshlrev_b32_e32 v41, 18, v29
	v_lshlrev_b32_e32 v42, 25, v29
	v_lshrrev_b32_e32 v43, 12, v29
	v_lshrrev_b32_e32 v44, 5, v29
	v_lshlrev_b32_e32 v45, 2, v29
	v_and_b32_e32 v27, 0xf0f0f0f, v27
	v_and_b32_e32 v26, 0x10000000, v26
	;; [unrolled: 1-line block ×4, first 2 shown]
	v_or3_b32 v35, v36, v35, v37
	v_or3_b32 v30, v30, v33, v34
	v_lshrrev_b32_e32 v28, 4, v28
	v_lshlrev_b32_e32 v29, 9, v29
	v_and_b32_e32 v32, 0x100000, v41
	v_and_b32_e32 v40, 0x10000000, v42
	v_and_b32_e32 v33, 16, v43
	v_and_b32_e32 v34, 0x1000, v44
	v_or3_b32 v31, v39, v38, v31
	v_or3_b32 v26, v35, v26, v27
	v_dot4_i32_iu8 v27, v30, v4, 0 neg_lo:[1,1,0]
	v_and_b32_e32 v30, 0x100000, v45
	v_and_b32_e32 v28, 0xf0f0f0f, v28
	;; [unrolled: 1-line block ×3, first 2 shown]
	v_or3_b32 v31, v31, v32, v40
	v_dot4_i32_iu8 v26, v26, v2, v27 neg_lo:[1,1,0]
	v_or3_b32 v27, v34, v33, v30
	s_delay_alu instid0(VALU_DEP_2) | instskip(NEXT) | instid1(VALU_DEP_2)
	v_dot4_i32_iu8 v26, v31, v5, v26 neg_lo:[1,1,0]
	v_or3_b32 v27, v27, v29, v28
	s_delay_alu instid0(VALU_DEP_1) | instskip(NEXT) | instid1(VALU_DEP_1)
	v_dot4_i32_iu8 v26, v27, v3, v26 neg_lo:[1,1,0]
	v_cvt_f32_i32_e32 v26, v26
	s_delay_alu instid0(VALU_DEP_1) | instskip(SKIP_1) | instid1(VALU_DEP_1)
	v_fma_f32 v26, v22, v26, -v23
	s_wait_loadcnt 0x0
	v_fma_mix_f32 v13, v26, v25, v13 op_sel_hi:[0,1,0]
	s_branch .LBB39_11
.LBB39_14:
	s_or_b32 exec_lo, exec_lo, s13
.LBB39_15:
	s_delay_alu instid0(SALU_CYCLE_1)
	s_or_b32 exec_lo, exec_lo, s18
	s_load_b32 s5, s[0:1], 0x30
	v_cmp_eq_u32_e64 s4, 0, v14
	s_mov_b32 s7, exec_lo
	v_cmpx_ne_u32_e32 0, v14
	s_cbranch_execz .LBB39_19
; %bb.16:
	v_add_nc_u32_e32 v0, -1, v14
	s_and_b32 vcc_lo, exec_lo, s14
	s_delay_alu instid0(VALU_DEP_1)
	v_lshlrev_b32_e32 v0, 7, v0
	s_wait_alu 0xfffe
	s_cbranch_vccz .LBB39_18
; %bb.17:
	s_delay_alu instid0(VALU_DEP_1)
	v_lshl_add_u32 v1, v9, 2, v0
	ds_store_b32 v1, v13 offset:896
.LBB39_18:
	s_delay_alu instid0(VALU_DEP_1)
	v_lshl_add_u32 v0, v9, 2, v0
	ds_store_b32 v0, v15
.LBB39_19:
	s_or_b32 exec_lo, exec_lo, s7
	s_wait_loadcnt_dscnt 0x0
	s_barrier_signal -1
	s_barrier_wait -1
	global_inv scope:SCOPE_SE
	s_and_saveexec_b32 s7, s4
	s_cbranch_execz .LBB39_61
; %bb.20:
	ds_load_b32 v0, v8
	v_cmp_ne_u32_e32 vcc_lo, 1, v12
	v_add_nc_u32_e32 v1, 0x380, v8
	s_cbranch_vccnz .LBB39_22
; %bb.21:
	ds_load_b32 v2, v1
	s_wait_dscnt 0x0
	v_add_f32_e32 v13, v13, v2
.LBB39_22:
	ds_load_b32 v2, v8 offset:128
	v_cmp_ne_u32_e32 vcc_lo, 1, v12
	s_cbranch_vccnz .LBB39_24
; %bb.23:
	ds_load_b32 v3, v1 offset:128
	s_wait_dscnt 0x0
	v_add_f32_e32 v13, v13, v3
.LBB39_24:
	ds_load_b32 v3, v8 offset:256
	v_cmp_ne_u32_e32 vcc_lo, 1, v12
	s_cbranch_vccnz .LBB39_26
; %bb.25:
	ds_load_b32 v4, v1 offset:256
	s_wait_dscnt 0x0
	v_add_f32_e32 v13, v13, v4
.LBB39_26:
	;; [unrolled: 8-line block ×6, first 2 shown]
	v_mbcnt_lo_u32_b32 v1, -1, 0
	s_wait_dscnt 0x6
	v_add_f32_e32 v0, v15, v0
	s_wait_dscnt 0x5
	s_delay_alu instid0(VALU_DEP_1) | instskip(SKIP_2) | instid1(VALU_DEP_2)
	v_add_f32_e32 v0, v0, v2
	v_xor_b32_e32 v2, 16, v1
	s_wait_dscnt 0x4
	v_add_f32_e32 v0, v0, v3
	s_delay_alu instid0(VALU_DEP_2) | instskip(SKIP_2) | instid1(VALU_DEP_3)
	v_cmp_gt_i32_e32 vcc_lo, 32, v2
	v_xor_b32_e32 v3, 8, v1
	s_wait_dscnt 0x3
	v_add_f32_e32 v0, v0, v4
	s_wait_alu 0xfffd
	v_cndmask_b32_e32 v2, v1, v2, vcc_lo
	v_cmp_gt_i32_e32 vcc_lo, 32, v3
	s_wait_dscnt 0x2
	s_wait_alu 0xfffd
	v_dual_add_f32 v0, v0, v5 :: v_dual_cndmask_b32 v3, v1, v3
	s_wait_dscnt 0x1
	s_delay_alu instid0(VALU_DEP_1) | instskip(SKIP_1) | instid1(VALU_DEP_1)
	v_dual_add_f32 v0, v0, v6 :: v_dual_lshlrev_b32 v3, 2, v3
	s_wait_dscnt 0x0
	v_add_f32_e32 v4, v0, v7
	v_lshlrev_b32_e32 v0, 2, v2
	ds_bpermute_b32 v2, v0, v4
	s_wait_dscnt 0x0
	v_add_f32_e32 v2, v4, v2
	v_xor_b32_e32 v4, 4, v1
	ds_bpermute_b32 v5, v3, v2
	v_cmp_gt_i32_e32 vcc_lo, 32, v4
	s_wait_alu 0xfffd
	v_cndmask_b32_e32 v4, v1, v4, vcc_lo
	s_delay_alu instid0(VALU_DEP_1)
	v_lshlrev_b32_e32 v4, 2, v4
	s_wait_dscnt 0x0
	v_add_f32_e32 v2, v2, v5
	v_xor_b32_e32 v5, 2, v1
	ds_bpermute_b32 v6, v4, v2
	v_cmp_gt_i32_e32 vcc_lo, 32, v5
	s_wait_alu 0xfffd
	v_cndmask_b32_e32 v5, v1, v5, vcc_lo
	s_wait_dscnt 0x0
	s_delay_alu instid0(VALU_DEP_1)
	v_dual_add_f32 v2, v2, v6 :: v_dual_lshlrev_b32 v5, 2, v5
	v_xor_b32_e32 v6, 1, v1
	ds_bpermute_b32 v7, v5, v2
	v_cmp_gt_i32_e32 vcc_lo, 32, v6
	s_wait_alu 0xfffd
	v_cndmask_b32_e32 v1, v1, v6, vcc_lo
	v_cmp_ne_u32_e32 vcc_lo, 1, v12
	s_delay_alu instid0(VALU_DEP_2)
	v_lshlrev_b32_e32 v6, 2, v1
	s_wait_dscnt 0x0
	v_add_f32_e32 v1, v2, v7
	ds_bpermute_b32 v2, v6, v1
	s_cbranch_vccnz .LBB39_36
; %bb.35:
	ds_bpermute_b32 v0, v0, v13
	s_wait_dscnt 0x0
	v_add_f32_e32 v0, v13, v0
	ds_bpermute_b32 v3, v3, v0
	s_wait_dscnt 0x0
	v_add_f32_e32 v0, v0, v3
	ds_bpermute_b32 v3, v4, v0
	s_wait_dscnt 0x0
	v_add_f32_e32 v0, v0, v3
	ds_bpermute_b32 v3, v5, v0
	s_wait_dscnt 0x0
	v_add_f32_e32 v0, v0, v3
	ds_bpermute_b32 v3, v6, v0
	s_wait_dscnt 0x0
	v_add_f32_e32 v13, v0, v3
.LBB39_36:
	v_cmp_eq_u32_e32 vcc_lo, 0, v9
	s_and_b32 exec_lo, exec_lo, vcc_lo
	s_cbranch_execz .LBB39_61
; %bb.37:
	s_wait_dscnt 0x0
	v_add_f32_e32 v0, v1, v2
	v_cmp_ne_u32_e32 vcc_lo, 1, v12
	s_delay_alu instid0(VALU_DEP_2) | instskip(NEXT) | instid1(VALU_DEP_1)
	v_add_f32_e32 v1, v11, v0
	v_cndmask_b32_e64 v0, v0, v1, s2
	s_cbranch_vccnz .LBB39_60
; %bb.38:
	v_add_f32_e32 v1, v10, v13
	s_wait_kmcnt 0x0
	s_cmp_lt_i32 s5, 2
	s_mov_b32 s2, 0
	s_delay_alu instid0(VALU_DEP_1)
	v_cndmask_b32_e64 v1, v13, v1, s3
	s_cbranch_scc1 .LBB39_43
; %bb.39:
	s_cmp_gt_i32 s5, 2
	s_cbranch_scc0 .LBB39_44
; %bb.40:
	s_cmp_eq_u32 s5, 3
	s_cbranch_scc0 .LBB39_45
; %bb.41:
	v_max_num_f32_e32 v2, v1, v1
	s_mov_b32 s3, 0xc0e00000
	s_delay_alu instid0(VALU_DEP_1) | instskip(NEXT) | instid1(VALU_DEP_1)
	v_min_num_f32_e32 v2, 0x40e00000, v2
	v_mul_f32_e32 v3, 0xbfd9db23, v2
	s_delay_alu instid0(VALU_DEP_1) | instskip(NEXT) | instid1(VALU_DEP_1)
	v_mul_f32_e32 v4, 0x3fb8aa3b, v3
	v_fma_f32 v5, 0x3fb8aa3b, v3, -v4
	v_rndne_f32_e32 v6, v4
	s_delay_alu instid0(VALU_DEP_1) | instskip(NEXT) | instid1(VALU_DEP_1)
	v_dual_fmamk_f32 v5, v3, 0x32a5705f, v5 :: v_dual_sub_f32 v4, v4, v6
	v_add_f32_e32 v4, v4, v5
	v_cvt_i32_f32_e32 v5, v6
	v_cmp_ngt_f32_e32 vcc_lo, 0xc2ce8ed0, v3
	s_delay_alu instid0(VALU_DEP_3) | instskip(NEXT) | instid1(TRANS32_DEP_1)
	v_exp_f32_e32 v4, v4
	v_ldexp_f32 v4, v4, v5
	s_wait_alu 0xfffd
	s_delay_alu instid0(VALU_DEP_1) | instskip(SKIP_2) | instid1(VALU_DEP_2)
	v_cndmask_b32_e32 v4, 0, v4, vcc_lo
	v_cmp_nlt_f32_e32 vcc_lo, 0x42b17218, v3
	s_wait_alu 0xfffd
	v_cndmask_b32_e32 v3, 0x7f800000, v4, vcc_lo
	s_delay_alu instid0(VALU_DEP_1) | instskip(NEXT) | instid1(VALU_DEP_1)
	v_add_f32_e32 v3, 1.0, v3
	v_div_scale_f32 v4, null, v3, v3, v2
	v_div_scale_f32 v7, vcc_lo, v2, v3, v2
	s_delay_alu instid0(VALU_DEP_2) | instskip(NEXT) | instid1(TRANS32_DEP_1)
	v_rcp_f32_e32 v5, v4
	v_fma_f32 v6, -v4, v5, 1.0
	s_delay_alu instid0(VALU_DEP_1) | instskip(NEXT) | instid1(VALU_DEP_1)
	v_fmac_f32_e32 v5, v6, v5
	v_mul_f32_e32 v6, v7, v5
	s_delay_alu instid0(VALU_DEP_1) | instskip(NEXT) | instid1(VALU_DEP_1)
	v_fma_f32 v9, -v4, v6, v7
	v_fmac_f32_e32 v6, v9, v5
	s_delay_alu instid0(VALU_DEP_1) | instskip(SKIP_2) | instid1(VALU_DEP_2)
	v_fma_f32 v4, -v4, v6, v7
	v_max_num_f32_e32 v7, v0, v0
	s_wait_alu 0xfffd
	v_div_fmas_f32 v4, v4, v5, v6
	s_wait_alu 0xfffe
	s_delay_alu instid0(VALU_DEP_2) | instskip(SKIP_1) | instid1(VALU_DEP_2)
	v_minmax_num_f32 v5, v7, 0x40e00000, s3
	s_mov_b32 s3, 0
	v_div_fixup_f32 v2, v4, v3, v2
	s_delay_alu instid0(VALU_DEP_2) | instskip(NEXT) | instid1(VALU_DEP_1)
	v_add_f32_e32 v3, 1.0, v5
	v_mul_f32_e32 v2, v3, v2
	s_branch .LBB39_46
.LBB39_42:
                                        ; implicit-def: $sgpr28
	s_clause 0x1
	s_load_b32 s29, s[0:1], 0x50
	s_load_b32 s30, s[0:1], 0x78
	s_branch .LBB39_2
.LBB39_43:
	s_mov_b32 s3, 0
                                        ; implicit-def: $vgpr2
	s_cbranch_execnz .LBB39_50
	s_branch .LBB39_51
.LBB39_44:
	s_mov_b32 s4, -1
	s_mov_b32 s3, 0
                                        ; implicit-def: $vgpr2
	s_branch .LBB39_47
.LBB39_45:
	s_mov_b32 s3, -1
                                        ; implicit-def: $vgpr2
.LBB39_46:
	s_mov_b32 s4, 0
.LBB39_47:
	s_wait_alu 0xfffe
	s_and_b32 vcc_lo, exec_lo, s4
	s_wait_alu 0xfffe
	s_cbranch_vccz .LBB39_49
; %bb.48:
	v_mul_f32_e32 v2, 0xbfb8aa3b, v1
	v_cmp_nlt_f32_e32 vcc_lo, 0x42ce8ed0, v1
	s_delay_alu instid0(VALU_DEP_2) | instskip(SKIP_1) | instid1(VALU_DEP_2)
	v_rndne_f32_e32 v3, v2
	v_fma_f32 v4, 0xbfb8aa3b, v1, -v2
	v_sub_f32_e32 v2, v2, v3
	s_delay_alu instid0(VALU_DEP_2) | instskip(SKIP_1) | instid1(VALU_DEP_2)
	v_fmamk_f32 v4, v1, 0xb2a5705f, v4
	v_cvt_i32_f32_e32 v3, v3
	v_add_f32_e32 v2, v2, v4
	s_delay_alu instid0(VALU_DEP_1) | instskip(NEXT) | instid1(TRANS32_DEP_1)
	v_exp_f32_e32 v2, v2
	v_ldexp_f32 v2, v2, v3
	s_wait_alu 0xfffd
	s_delay_alu instid0(VALU_DEP_1) | instskip(SKIP_2) | instid1(VALU_DEP_2)
	v_cndmask_b32_e32 v2, 0, v2, vcc_lo
	v_cmp_ngt_f32_e32 vcc_lo, 0xc2b17218, v1
	s_wait_alu 0xfffd
	v_cndmask_b32_e32 v2, 0x7f800000, v2, vcc_lo
	s_delay_alu instid0(VALU_DEP_1) | instskip(NEXT) | instid1(VALU_DEP_1)
	v_add_f32_e32 v2, 1.0, v2
	v_div_scale_f32 v3, null, v2, v2, v1
	s_delay_alu instid0(VALU_DEP_1) | instskip(NEXT) | instid1(TRANS32_DEP_1)
	v_rcp_f32_e32 v4, v3
	v_fma_f32 v5, -v3, v4, 1.0
	s_delay_alu instid0(VALU_DEP_1) | instskip(SKIP_1) | instid1(VALU_DEP_1)
	v_fmac_f32_e32 v4, v5, v4
	v_div_scale_f32 v5, vcc_lo, v1, v2, v1
	v_mul_f32_e32 v6, v5, v4
	s_delay_alu instid0(VALU_DEP_1) | instskip(NEXT) | instid1(VALU_DEP_1)
	v_fma_f32 v7, -v3, v6, v5
	v_fmac_f32_e32 v6, v7, v4
	s_delay_alu instid0(VALU_DEP_1) | instskip(SKIP_1) | instid1(VALU_DEP_1)
	v_fma_f32 v3, -v3, v6, v5
	s_wait_alu 0xfffd
	v_div_fmas_f32 v3, v3, v4, v6
	s_delay_alu instid0(VALU_DEP_1) | instskip(NEXT) | instid1(VALU_DEP_1)
	v_div_fixup_f32 v2, v3, v2, v1
	v_mul_f32_e32 v2, v0, v2
.LBB39_49:
	s_branch .LBB39_51
.LBB39_50:
	s_cmp_lg_u32 s5, 1
	s_mov_b32 s2, -1
	s_cselect_b32 s3, -1, 0
.LBB39_51:
	s_wait_alu 0xfffe
	s_and_not1_b32 vcc_lo, exec_lo, s3
	s_wait_alu 0xfffe
	s_cbranch_vccz .LBB39_53
; %bb.52:
	s_and_not1_b32 vcc_lo, exec_lo, s2
	s_wait_alu 0xfffe
	s_cbranch_vccz .LBB39_54
	s_branch .LBB39_59
.LBB39_53:
	v_mul_f32_e32 v2, v1, v0
	s_cbranch_execnz .LBB39_59
.LBB39_54:
	v_mul_f32_e32 v2, 0x3d372713, v1
	v_mul_f32_e32 v3, 0x3f4c422a, v1
	s_delay_alu instid0(VALU_DEP_2) | instskip(NEXT) | instid1(VALU_DEP_1)
	v_fma_f32 v2, v1, v2, 1.0
	v_mul_f32_e32 v2, v3, v2
                                        ; implicit-def: $vgpr3
	s_delay_alu instid0(VALU_DEP_1)
	v_cmp_ngt_f32_e64 s2, 0x3f200000, |v2|
	s_and_saveexec_b32 s3, s2
	s_wait_alu 0xfffe
	s_xor_b32 s2, exec_lo, s3
	s_cbranch_execz .LBB39_56
; %bb.55:
	v_add_f32_e64 v3, |v2|, |v2|
	s_delay_alu instid0(VALU_DEP_1) | instskip(SKIP_1) | instid1(VALU_DEP_2)
	v_mul_f32_e32 v4, 0x3fb8aa3b, v3
	v_cmp_ngt_f32_e32 vcc_lo, 0xc2ce8ed0, v3
	v_rndne_f32_e32 v5, v4
	v_fma_f32 v6, 0x3fb8aa3b, v3, -v4
	s_delay_alu instid0(VALU_DEP_2) | instskip(NEXT) | instid1(VALU_DEP_2)
	v_sub_f32_e32 v4, v4, v5
	v_fmamk_f32 v6, v3, 0x32a5705f, v6
	v_cvt_i32_f32_e32 v5, v5
	s_delay_alu instid0(VALU_DEP_2) | instskip(NEXT) | instid1(VALU_DEP_1)
	v_add_f32_e32 v4, v4, v6
	v_exp_f32_e32 v4, v4
	s_delay_alu instid0(TRANS32_DEP_1) | instskip(SKIP_1) | instid1(VALU_DEP_1)
	v_ldexp_f32 v4, v4, v5
	s_wait_alu 0xfffd
	v_cndmask_b32_e32 v4, 0, v4, vcc_lo
	v_cmp_nlt_f32_e32 vcc_lo, 0x42b17218, v3
	s_wait_alu 0xfffd
	s_delay_alu instid0(VALU_DEP_2) | instskip(NEXT) | instid1(VALU_DEP_1)
	v_cndmask_b32_e32 v3, 0x7f800000, v4, vcc_lo
	v_add_f32_e32 v3, 1.0, v3
	s_delay_alu instid0(VALU_DEP_1) | instskip(NEXT) | instid1(TRANS32_DEP_1)
	v_rcp_f32_e32 v3, v3
	v_fma_f32 v3, v3, -2.0, 1.0
.LBB39_56:
	s_wait_alu 0xfffe
	s_and_not1_saveexec_b32 s2, s2
	s_cbranch_execz .LBB39_58
; %bb.57:
	v_mul_f32_e32 v3, v2, v2
	s_mov_b32 s3, 0xbbbac73d
	s_wait_alu 0xfffe
	s_delay_alu instid0(VALU_DEP_1) | instskip(NEXT) | instid1(VALU_DEP_1)
	v_fmaak_f32 v4, s3, v3, 0x3ca908c9
	v_fmaak_f32 v4, v3, v4, 0xbd5c1c4e
	s_delay_alu instid0(VALU_DEP_1) | instskip(NEXT) | instid1(VALU_DEP_1)
	v_fmaak_f32 v4, v3, v4, 0x3e088382
	v_fmaak_f32 v4, v3, v4, 0xbeaaaa99
	s_delay_alu instid0(VALU_DEP_1) | instskip(NEXT) | instid1(VALU_DEP_1)
	v_mul_f32_e64 v4, |v2|, v4
	v_fma_f32 v3, v3, v4, |v2|
.LBB39_58:
	s_wait_alu 0xfffe
	s_or_b32 exec_lo, exec_lo, s2
	s_delay_alu instid0(VALU_DEP_1) | instskip(NEXT) | instid1(VALU_DEP_1)
	v_bfi_b32 v2, 0x7fffffff, v3, v2
	v_dual_mul_f32 v1, 0.5, v1 :: v_dual_add_f32 v2, 1.0, v2
	s_delay_alu instid0(VALU_DEP_1) | instskip(NEXT) | instid1(VALU_DEP_1)
	v_mul_f32_e32 v1, v1, v2
	v_mul_f32_e32 v2, v0, v1
.LBB39_59:
	s_delay_alu instid0(VALU_DEP_1)
	v_mov_b32_e32 v0, v2
.LBB39_60:
	s_load_b64 s[0:1], s[0:1], 0x38
	s_mul_i32 s2, s6, s27
	s_wait_kmcnt 0x0
	s_mul_i32 s3, s26, s21
	s_wait_alu 0xfffe
	s_add_co_i32 s2, s2, ttmp9
	s_wait_alu 0xfffe
	s_add_co_i32 s2, s2, s3
	s_mov_b32 s3, 0
	s_wait_alu 0xfffe
	s_lshl_b64 s[2:3], s[2:3], 2
	s_wait_alu 0xfffe
	s_add_nc_u64 s[0:1], s[0:1], s[2:3]
	global_store_b32 v8, v0, s[0:1]
.LBB39_61:
	s_endpgm
	.section	.rodata,"a",@progbits
	.p2align	6, 0x0
	.amdhsa_kernel _ZL13mul_mat_vec_qIL9ggml_type6ELi1ELb1ELb0EEvPKvS2_PKi31ggml_cuda_mm_fusion_args_devicePfj15HIP_vector_typeIjLj3EEjjjS8_jjjS8_jjjj
		.amdhsa_group_segment_fixed_size 1792
		.amdhsa_private_segment_fixed_size 0
		.amdhsa_kernarg_size 144
		.amdhsa_user_sgpr_count 2
		.amdhsa_user_sgpr_dispatch_ptr 0
		.amdhsa_user_sgpr_queue_ptr 0
		.amdhsa_user_sgpr_kernarg_segment_ptr 1
		.amdhsa_user_sgpr_dispatch_id 0
		.amdhsa_user_sgpr_private_segment_size 0
		.amdhsa_wavefront_size32 1
		.amdhsa_uses_dynamic_stack 0
		.amdhsa_enable_private_segment 0
		.amdhsa_system_sgpr_workgroup_id_x 1
		.amdhsa_system_sgpr_workgroup_id_y 1
		.amdhsa_system_sgpr_workgroup_id_z 1
		.amdhsa_system_sgpr_workgroup_info 0
		.amdhsa_system_vgpr_workitem_id 1
		.amdhsa_next_free_vgpr 46
		.amdhsa_next_free_sgpr 38
		.amdhsa_reserve_vcc 1
		.amdhsa_float_round_mode_32 0
		.amdhsa_float_round_mode_16_64 0
		.amdhsa_float_denorm_mode_32 3
		.amdhsa_float_denorm_mode_16_64 3
		.amdhsa_fp16_overflow 0
		.amdhsa_workgroup_processor_mode 1
		.amdhsa_memory_ordered 1
		.amdhsa_forward_progress 1
		.amdhsa_inst_pref_size 28
		.amdhsa_round_robin_scheduling 0
		.amdhsa_exception_fp_ieee_invalid_op 0
		.amdhsa_exception_fp_denorm_src 0
		.amdhsa_exception_fp_ieee_div_zero 0
		.amdhsa_exception_fp_ieee_overflow 0
		.amdhsa_exception_fp_ieee_underflow 0
		.amdhsa_exception_fp_ieee_inexact 0
		.amdhsa_exception_int_div_zero 0
	.end_amdhsa_kernel
	.section	.text._ZL13mul_mat_vec_qIL9ggml_type6ELi1ELb1ELb0EEvPKvS2_PKi31ggml_cuda_mm_fusion_args_devicePfj15HIP_vector_typeIjLj3EEjjjS8_jjjS8_jjjj,"axG",@progbits,_ZL13mul_mat_vec_qIL9ggml_type6ELi1ELb1ELb0EEvPKvS2_PKi31ggml_cuda_mm_fusion_args_devicePfj15HIP_vector_typeIjLj3EEjjjS8_jjjS8_jjjj,comdat
.Lfunc_end39:
	.size	_ZL13mul_mat_vec_qIL9ggml_type6ELi1ELb1ELb0EEvPKvS2_PKi31ggml_cuda_mm_fusion_args_devicePfj15HIP_vector_typeIjLj3EEjjjS8_jjjS8_jjjj, .Lfunc_end39-_ZL13mul_mat_vec_qIL9ggml_type6ELi1ELb1ELb0EEvPKvS2_PKi31ggml_cuda_mm_fusion_args_devicePfj15HIP_vector_typeIjLj3EEjjjS8_jjjS8_jjjj
                                        ; -- End function
	.set _ZL13mul_mat_vec_qIL9ggml_type6ELi1ELb1ELb0EEvPKvS2_PKi31ggml_cuda_mm_fusion_args_devicePfj15HIP_vector_typeIjLj3EEjjjS8_jjjS8_jjjj.num_vgpr, 46
	.set _ZL13mul_mat_vec_qIL9ggml_type6ELi1ELb1ELb0EEvPKvS2_PKi31ggml_cuda_mm_fusion_args_devicePfj15HIP_vector_typeIjLj3EEjjjS8_jjjS8_jjjj.num_agpr, 0
	.set _ZL13mul_mat_vec_qIL9ggml_type6ELi1ELb1ELb0EEvPKvS2_PKi31ggml_cuda_mm_fusion_args_devicePfj15HIP_vector_typeIjLj3EEjjjS8_jjjS8_jjjj.numbered_sgpr, 38
	.set _ZL13mul_mat_vec_qIL9ggml_type6ELi1ELb1ELb0EEvPKvS2_PKi31ggml_cuda_mm_fusion_args_devicePfj15HIP_vector_typeIjLj3EEjjjS8_jjjS8_jjjj.num_named_barrier, 0
	.set _ZL13mul_mat_vec_qIL9ggml_type6ELi1ELb1ELb0EEvPKvS2_PKi31ggml_cuda_mm_fusion_args_devicePfj15HIP_vector_typeIjLj3EEjjjS8_jjjS8_jjjj.private_seg_size, 0
	.set _ZL13mul_mat_vec_qIL9ggml_type6ELi1ELb1ELb0EEvPKvS2_PKi31ggml_cuda_mm_fusion_args_devicePfj15HIP_vector_typeIjLj3EEjjjS8_jjjS8_jjjj.uses_vcc, 1
	.set _ZL13mul_mat_vec_qIL9ggml_type6ELi1ELb1ELb0EEvPKvS2_PKi31ggml_cuda_mm_fusion_args_devicePfj15HIP_vector_typeIjLj3EEjjjS8_jjjS8_jjjj.uses_flat_scratch, 0
	.set _ZL13mul_mat_vec_qIL9ggml_type6ELi1ELb1ELb0EEvPKvS2_PKi31ggml_cuda_mm_fusion_args_devicePfj15HIP_vector_typeIjLj3EEjjjS8_jjjS8_jjjj.has_dyn_sized_stack, 0
	.set _ZL13mul_mat_vec_qIL9ggml_type6ELi1ELb1ELb0EEvPKvS2_PKi31ggml_cuda_mm_fusion_args_devicePfj15HIP_vector_typeIjLj3EEjjjS8_jjjS8_jjjj.has_recursion, 0
	.set _ZL13mul_mat_vec_qIL9ggml_type6ELi1ELb1ELb0EEvPKvS2_PKi31ggml_cuda_mm_fusion_args_devicePfj15HIP_vector_typeIjLj3EEjjjS8_jjjS8_jjjj.has_indirect_call, 0
	.section	.AMDGPU.csdata,"",@progbits
; Kernel info:
; codeLenInByte = 3528
; TotalNumSgprs: 40
; NumVgprs: 46
; ScratchSize: 0
; MemoryBound: 0
; FloatMode: 240
; IeeeMode: 1
; LDSByteSize: 1792 bytes/workgroup (compile time only)
; SGPRBlocks: 0
; VGPRBlocks: 5
; NumSGPRsForWavesPerEU: 40
; NumVGPRsForWavesPerEU: 46
; Occupancy: 16
; WaveLimiterHint : 0
; COMPUTE_PGM_RSRC2:SCRATCH_EN: 0
; COMPUTE_PGM_RSRC2:USER_SGPR: 2
; COMPUTE_PGM_RSRC2:TRAP_HANDLER: 0
; COMPUTE_PGM_RSRC2:TGID_X_EN: 1
; COMPUTE_PGM_RSRC2:TGID_Y_EN: 1
; COMPUTE_PGM_RSRC2:TGID_Z_EN: 1
; COMPUTE_PGM_RSRC2:TIDIG_COMP_CNT: 1
	.section	.text._ZL13mul_mat_vec_qIL9ggml_type6ELi1ELb0ELb0EEvPKvS2_PKi31ggml_cuda_mm_fusion_args_devicePfj15HIP_vector_typeIjLj3EEjjjS8_jjjS8_jjjj,"axG",@progbits,_ZL13mul_mat_vec_qIL9ggml_type6ELi1ELb0ELb0EEvPKvS2_PKi31ggml_cuda_mm_fusion_args_devicePfj15HIP_vector_typeIjLj3EEjjjS8_jjjS8_jjjj,comdat
	.globl	_ZL13mul_mat_vec_qIL9ggml_type6ELi1ELb0ELb0EEvPKvS2_PKi31ggml_cuda_mm_fusion_args_devicePfj15HIP_vector_typeIjLj3EEjjjS8_jjjS8_jjjj ; -- Begin function _ZL13mul_mat_vec_qIL9ggml_type6ELi1ELb0ELb0EEvPKvS2_PKi31ggml_cuda_mm_fusion_args_devicePfj15HIP_vector_typeIjLj3EEjjjS8_jjjS8_jjjj
	.p2align	8
	.type	_ZL13mul_mat_vec_qIL9ggml_type6ELi1ELb0ELb0EEvPKvS2_PKi31ggml_cuda_mm_fusion_args_devicePfj15HIP_vector_typeIjLj3EEjjjS8_jjjS8_jjjj,@function
_ZL13mul_mat_vec_qIL9ggml_type6ELi1ELb0ELb0EEvPKvS2_PKi31ggml_cuda_mm_fusion_args_devicePfj15HIP_vector_typeIjLj3EEjjjS8_jjjS8_jjjj: ; @_ZL13mul_mat_vec_qIL9ggml_type6ELi1ELb0ELb0EEvPKvS2_PKi31ggml_cuda_mm_fusion_args_devicePfj15HIP_vector_typeIjLj3EEjjjS8_jjjS8_jjjj
; %bb.0:
	s_clause 0x1
	s_load_b64 s[2:3], s[0:1], 0x10
	s_load_b128 s[8:11], s[0:1], 0x40
	s_and_b32 s15, ttmp7, 0xffff
	s_wait_kmcnt 0x0
	s_cmp_lg_u64 s[2:3], 0
	s_cselect_b32 s12, -1, 0
	s_cmp_eq_u64 s[2:3], 0
	s_cbranch_scc1 .LBB40_15
; %bb.1:
	s_lshl_b32 s4, s15, 2
	s_load_b32 s19, s[2:3], s4 offset:0x0
	s_clause 0x1
	s_load_b128 s[4:7], s[0:1], 0x68
	s_load_b32 s20, s[0:1], 0x50
	s_cbranch_execnz .LBB40_3
.LBB40_2:
	s_load_b64 s[2:3], s[0:1], 0x5c
	s_wait_kmcnt 0x0
	s_mul_hi_u32 s2, s2, s15
	s_delay_alu instid0(SALU_CYCLE_1) | instskip(NEXT) | instid1(SALU_CYCLE_1)
	s_add_co_i32 s2, s15, s2
	s_lshr_b32 s19, s2, s3
.LBB40_3:
	s_load_b32 s21, s[0:1], 0x78
	s_and_not1_b32 vcc_lo, exec_lo, s12
	s_mov_b32 s22, s15
	s_cbranch_vccnz .LBB40_5
; %bb.4:
	s_mul_hi_u32 s2, s9, s15
	s_delay_alu instid0(SALU_CYCLE_1) | instskip(NEXT) | instid1(SALU_CYCLE_1)
	s_add_co_i32 s2, s15, s2
	s_lshr_b32 s2, s2, s10
	s_delay_alu instid0(SALU_CYCLE_1) | instskip(NEXT) | instid1(SALU_CYCLE_1)
	s_mul_i32 s2, s2, s11
	s_sub_co_i32 s22, s15, s2
.LBB40_5:
	v_bfe_u32 v3, v0, 10, 10
	v_and_b32_e32 v2, 0x3ff, v0
	s_load_b96 s[12:14], s[0:1], 0x80
	s_lshr_b32 s18, s8, 5
	s_lshr_b32 s16, ttmp7, 16
	v_lshlrev_b32_e32 v0, 5, v3
	s_mov_b32 s17, exec_lo
	v_mov_b32_e32 v4, 0
	s_delay_alu instid0(VALU_DEP_2) | instskip(NEXT) | instid1(VALU_DEP_1)
	v_add_nc_u16 v1, v0, v2
	v_lshrrev_b16 v1, 1, v1
	s_delay_alu instid0(VALU_DEP_1) | instskip(NEXT) | instid1(VALU_DEP_1)
	v_and_b32_e32 v5, 0xffff, v1
	v_cmpx_gt_u32_e64 s18, v5
	s_cbranch_execz .LBB40_9
; %bb.6:
	s_load_b128 s[8:11], s[0:1], 0x0
	v_dual_mov_b32 v4, 0 :: v_dual_lshlrev_b32 v1, 1, v2
	s_wait_kmcnt 0x0
	s_mul_i32 s22, s22, s5
	s_mul_hi_u32 s5, s7, s16
	v_add_nc_u32_e32 v0, v0, v2
	s_add_co_i32 s5, s16, s5
	s_mul_i32 s2, s13, s16
	s_mov_b32 s3, 0
	s_lshr_b32 s5, s5, s21
	v_and_b32_e32 v1, 2, v1
	s_mov_b32 s23, s3
	s_mul_i32 s7, s19, s4
	s_mul_i32 s19, s5, s12
	s_mul_u64 s[4:5], s[2:3], 36
	v_lshrrev_b32_e32 v0, 1, v0
	s_mul_u64 s[12:13], s[22:23], 36
	v_lshlrev_b32_e32 v9, 1, v1
	v_lshlrev_b32_e32 v6, 2, v1
	v_and_b32_e32 v8, 1, v2
	s_add_nc_u64 s[4:5], s[10:11], s[4:5]
	s_mul_i32 s20, s20, ttmp9
	s_add_nc_u64 s[4:5], s[4:5], s[12:13]
	v_or_b32_e32 v7, 4, v6
	v_mad_co_u64_u32 v[0:1], null, v0, 36, s[4:5]
	v_lshlrev_b32_e32 v8, 3, v8
	v_lshlrev_b32_e32 v9, 1, v9
	s_wait_alu 0xfffe
	s_add_co_i32 s19, s19, s20
	s_wait_alu 0xfffe
	s_add_co_i32 s4, s7, s19
.LBB40_7:                               ; =>This Inner Loop Header: Depth=1
	s_wait_alu 0xfffe
	v_add_nc_u32_e32 v10, s4, v5
	v_add_nc_u32_e32 v5, 0x80, v5
	s_delay_alu instid0(VALU_DEP_2) | instskip(NEXT) | instid1(VALU_DEP_1)
	v_mad_co_i64_i32 v[10:11], null, v10, 22, s[8:9]
	v_add_co_u32 v12, vcc_lo, v10, v9
	s_wait_alu 0xfffd
	s_delay_alu instid0(VALU_DEP_2)
	v_add_co_ci_u32_e64 v13, null, 0, v11, vcc_lo
	v_add_co_u32 v14, vcc_lo, v0, v8
	s_clause 0x1
	global_load_b32 v18, v[10:11], off offset:2
	global_load_b64 v[12:13], v[12:13], off offset:6
	s_wait_alu 0xfffd
	v_add_co_ci_u32_e64 v15, null, 0, v1, vcc_lo
	s_clause 0x2
	global_load_b64 v[16:17], v[14:15], off offset:4
	global_load_b64 v[14:15], v[14:15], off offset:20
	global_load_b32 v19, v[0:1], off
	global_load_u16 v10, v[10:11], off
	v_cmp_le_u32_e32 vcc_lo, s18, v5
	v_add_co_u32 v0, s2, 0x1200, v0
	s_wait_alu 0xf1ff
	v_add_co_ci_u32_e64 v1, null, 0, v1, s2
	s_or_b32 s3, vcc_lo, s3
	s_wait_loadcnt 0x5
	v_ashrrev_i32_e32 v11, v6, v18
	v_ashrrev_i32_e32 v18, v7, v18
	s_wait_loadcnt 0x4
	v_and_b32_e32 v20, 0xf0f0f0f, v12
	v_lshrrev_b32_e32 v12, 4, v12
	v_and_b32_e32 v28, 0xf0f0f0f, v13
	v_lshlrev_b32_e32 v21, 4, v11
	v_lshlrev_b32_e32 v22, 11, v11
	;; [unrolled: 1-line block ×4, first 2 shown]
	v_lshrrev_b32_e32 v25, 12, v11
	v_lshrrev_b32_e32 v26, 5, v11
	v_lshlrev_b32_e32 v27, 2, v11
	v_and_b32_e32 v21, 16, v21
	v_and_b32_e32 v22, 0x1000, v22
	v_lshlrev_b32_e32 v11, 9, v11
	v_lshlrev_b32_e32 v29, 4, v18
	;; [unrolled: 1-line block ×4, first 2 shown]
	v_and_b32_e32 v23, 0x100000, v23
	v_and_b32_e32 v24, 0x10000000, v24
	;; [unrolled: 1-line block ×5, first 2 shown]
	v_or3_b32 v20, v21, v20, v22
	v_lshlrev_b32_e32 v32, 25, v18
	v_lshrrev_b32_e32 v33, 12, v18
	v_lshrrev_b32_e32 v34, 5, v18
	v_lshlrev_b32_e32 v35, 2, v18
	v_and_b32_e32 v12, 0xf0f0f0f, v12
	v_and_b32_e32 v11, 0x10000000, v11
	;; [unrolled: 1-line block ×5, first 2 shown]
	v_or3_b32 v21, v26, v25, v27
	v_or3_b32 v20, v20, v23, v24
	v_lshrrev_b32_e32 v13, 4, v13
	v_lshlrev_b32_e32 v18, 9, v18
	v_and_b32_e32 v32, 0x10000000, v32
	v_and_b32_e32 v33, 16, v33
	;; [unrolled: 1-line block ×4, first 2 shown]
	v_or3_b32 v22, v30, v29, v31
	v_or3_b32 v11, v21, v11, v12
	s_wait_loadcnt 0x3
	v_dot4_i32_iu8 v12, v20, v16, 0 neg_lo:[1,1,0]
	v_and_b32_e32 v13, 0xf0f0f0f, v13
	v_and_b32_e32 v18, 0x10000000, v18
	v_or3_b32 v16, v34, v33, v35
	v_or3_b32 v20, v22, v32, v28
	s_wait_loadcnt 0x2
	v_dot4_i32_iu8 v11, v11, v14, v12 neg_lo:[1,1,0]
	s_wait_loadcnt 0x1
	v_lshrrev_b32_e32 v12, 16, v19
	v_or3_b32 v13, v16, v18, v13
	s_delay_alu instid0(VALU_DEP_3) | instskip(NEXT) | instid1(VALU_DEP_3)
	v_dot4_i32_iu8 v11, v20, v17, v11 neg_lo:[1,1,0]
	v_cvt_f32_f16_e32 v12, v12
	s_delay_alu instid0(VALU_DEP_2) | instskip(NEXT) | instid1(VALU_DEP_2)
	v_dot4_i32_iu8 v11, v13, v15, v11 neg_lo:[1,1,0]
	v_mul_f32_e32 v12, 0xc1000000, v12
	s_delay_alu instid0(VALU_DEP_2) | instskip(NEXT) | instid1(VALU_DEP_1)
	v_cvt_f32_i32_e32 v11, v11
	v_fma_mix_f32 v11, v19, v11, v12 op_sel_hi:[1,0,0]
	s_wait_loadcnt 0x0
	s_delay_alu instid0(VALU_DEP_1)
	v_fma_mix_f32 v4, v11, v10, v4 op_sel_hi:[0,1,0]
	s_wait_alu 0xfffe
	s_and_not1_b32 exec_lo, exec_lo, s3
	s_cbranch_execnz .LBB40_7
; %bb.8:
	s_or_b32 exec_lo, exec_lo, s3
.LBB40_9:
	s_delay_alu instid0(SALU_CYCLE_1)
	s_or_b32 exec_lo, exec_lo, s17
	v_lshlrev_b32_e32 v0, 2, v2
	s_mov_b32 s3, exec_lo
	v_cmp_eq_u32_e32 vcc_lo, 0, v3
	v_cmpx_ne_u32_e32 0, v3
; %bb.10:
	v_lshlrev_b32_e32 v1, 7, v3
	s_delay_alu instid0(VALU_DEP_1)
	v_add3_u32 v1, v1, v0, 0xffffff80
	ds_store_b32 v1, v4
; %bb.11:
	s_wait_alu 0xfffe
	s_or_b32 exec_lo, exec_lo, s3
	s_wait_dscnt 0x0
	s_barrier_signal -1
	s_barrier_wait -1
	global_inv scope:SCOPE_SE
	s_and_saveexec_b32 s2, vcc_lo
	s_cbranch_execz .LBB40_14
; %bb.12:
	ds_load_2addr_b32 v[5:6], v0 offset1:32
	ds_load_2addr_b32 v[7:8], v0 offset0:64 offset1:96
	ds_load_2addr_b32 v[9:10], v0 offset0:128 offset1:160
	v_mbcnt_lo_u32_b32 v3, -1, 0
	ds_load_b32 v0, v0 offset:768
	s_mov_b32 s3, 0
	s_wait_dscnt 0x3
	v_add_f32_e32 v1, v4, v5
	v_xor_b32_e32 v4, 16, v3
	s_delay_alu instid0(VALU_DEP_1) | instskip(SKIP_1) | instid1(VALU_DEP_3)
	v_cmp_gt_i32_e32 vcc_lo, 32, v4
	s_wait_alu 0xfffd
	v_dual_cndmask_b32 v4, v3, v4 :: v_dual_add_f32 v1, v1, v6
	s_wait_dscnt 0x2
	s_delay_alu instid0(VALU_DEP_1) | instskip(NEXT) | instid1(VALU_DEP_1)
	v_add_f32_e32 v1, v1, v7
	v_add_f32_e32 v1, v1, v8
	s_wait_dscnt 0x1
	s_delay_alu instid0(VALU_DEP_1) | instskip(NEXT) | instid1(VALU_DEP_1)
	v_add_f32_e32 v1, v1, v9
	v_add_f32_e32 v1, v1, v10
	s_wait_dscnt 0x0
	s_delay_alu instid0(VALU_DEP_1)
	v_add_f32_e32 v0, v1, v0
	v_lshlrev_b32_e32 v1, 2, v4
	v_xor_b32_e32 v4, 8, v3
	ds_bpermute_b32 v1, v1, v0
	v_cmp_gt_i32_e32 vcc_lo, 32, v4
	s_wait_alu 0xfffd
	v_cndmask_b32_e32 v4, v3, v4, vcc_lo
	s_delay_alu instid0(VALU_DEP_1) | instskip(SKIP_4) | instid1(VALU_DEP_1)
	v_lshlrev_b32_e32 v4, 2, v4
	s_wait_dscnt 0x0
	v_add_f32_e32 v0, v0, v1
	ds_bpermute_b32 v1, v4, v0
	v_xor_b32_e32 v4, 4, v3
	v_cmp_gt_i32_e32 vcc_lo, 32, v4
	s_wait_alu 0xfffd
	v_cndmask_b32_e32 v4, v3, v4, vcc_lo
	s_delay_alu instid0(VALU_DEP_1) | instskip(SKIP_4) | instid1(VALU_DEP_1)
	v_lshlrev_b32_e32 v4, 2, v4
	s_wait_dscnt 0x0
	v_add_f32_e32 v0, v0, v1
	ds_bpermute_b32 v1, v4, v0
	v_xor_b32_e32 v4, 2, v3
	;; [unrolled: 9-line block ×3, first 2 shown]
	v_cmp_gt_i32_e32 vcc_lo, 32, v4
	s_wait_alu 0xfffd
	v_cndmask_b32_e32 v3, v3, v4, vcc_lo
	v_cmp_eq_u32_e32 vcc_lo, 0, v2
	s_wait_dscnt 0x0
	s_delay_alu instid0(VALU_DEP_2)
	v_dual_add_f32 v0, v0, v1 :: v_dual_lshlrev_b32 v3, 2, v3
	ds_bpermute_b32 v1, v3, v0
	s_and_b32 exec_lo, exec_lo, vcc_lo
	s_cbranch_execz .LBB40_14
; %bb.13:
	s_load_b64 s[0:1], s[0:1], 0x38
	s_wait_kmcnt 0x0
	s_mul_i32 s2, s6, s15
	s_mul_i32 s4, s14, s16
	s_wait_alu 0xfffe
	s_add_co_i32 s2, s2, ttmp9
	v_mov_b32_e32 v2, 0
	s_wait_alu 0xfffe
	s_add_co_i32 s2, s2, s4
	s_wait_dscnt 0x0
	v_add_f32_e32 v0, v0, v1
	s_wait_alu 0xfffe
	s_lshl_b64 s[2:3], s[2:3], 2
	s_wait_alu 0xfffe
	s_add_nc_u64 s[0:1], s[0:1], s[2:3]
	global_store_b32 v2, v0, s[0:1]
.LBB40_14:
	s_endpgm
.LBB40_15:
                                        ; implicit-def: $sgpr19
	s_clause 0x1
	s_load_b128 s[4:7], s[0:1], 0x68
	s_load_b32 s20, s[0:1], 0x50
	s_branch .LBB40_2
	.section	.rodata,"a",@progbits
	.p2align	6, 0x0
	.amdhsa_kernel _ZL13mul_mat_vec_qIL9ggml_type6ELi1ELb0ELb0EEvPKvS2_PKi31ggml_cuda_mm_fusion_args_devicePfj15HIP_vector_typeIjLj3EEjjjS8_jjjS8_jjjj
		.amdhsa_group_segment_fixed_size 896
		.amdhsa_private_segment_fixed_size 0
		.amdhsa_kernarg_size 144
		.amdhsa_user_sgpr_count 2
		.amdhsa_user_sgpr_dispatch_ptr 0
		.amdhsa_user_sgpr_queue_ptr 0
		.amdhsa_user_sgpr_kernarg_segment_ptr 1
		.amdhsa_user_sgpr_dispatch_id 0
		.amdhsa_user_sgpr_private_segment_size 0
		.amdhsa_wavefront_size32 1
		.amdhsa_uses_dynamic_stack 0
		.amdhsa_enable_private_segment 0
		.amdhsa_system_sgpr_workgroup_id_x 1
		.amdhsa_system_sgpr_workgroup_id_y 1
		.amdhsa_system_sgpr_workgroup_id_z 1
		.amdhsa_system_sgpr_workgroup_info 0
		.amdhsa_system_vgpr_workitem_id 1
		.amdhsa_next_free_vgpr 36
		.amdhsa_next_free_sgpr 24
		.amdhsa_reserve_vcc 1
		.amdhsa_float_round_mode_32 0
		.amdhsa_float_round_mode_16_64 0
		.amdhsa_float_denorm_mode_32 3
		.amdhsa_float_denorm_mode_16_64 3
		.amdhsa_fp16_overflow 0
		.amdhsa_workgroup_processor_mode 1
		.amdhsa_memory_ordered 1
		.amdhsa_forward_progress 1
		.amdhsa_inst_pref_size 12
		.amdhsa_round_robin_scheduling 0
		.amdhsa_exception_fp_ieee_invalid_op 0
		.amdhsa_exception_fp_denorm_src 0
		.amdhsa_exception_fp_ieee_div_zero 0
		.amdhsa_exception_fp_ieee_overflow 0
		.amdhsa_exception_fp_ieee_underflow 0
		.amdhsa_exception_fp_ieee_inexact 0
		.amdhsa_exception_int_div_zero 0
	.end_amdhsa_kernel
	.section	.text._ZL13mul_mat_vec_qIL9ggml_type6ELi1ELb0ELb0EEvPKvS2_PKi31ggml_cuda_mm_fusion_args_devicePfj15HIP_vector_typeIjLj3EEjjjS8_jjjS8_jjjj,"axG",@progbits,_ZL13mul_mat_vec_qIL9ggml_type6ELi1ELb0ELb0EEvPKvS2_PKi31ggml_cuda_mm_fusion_args_devicePfj15HIP_vector_typeIjLj3EEjjjS8_jjjS8_jjjj,comdat
.Lfunc_end40:
	.size	_ZL13mul_mat_vec_qIL9ggml_type6ELi1ELb0ELb0EEvPKvS2_PKi31ggml_cuda_mm_fusion_args_devicePfj15HIP_vector_typeIjLj3EEjjjS8_jjjS8_jjjj, .Lfunc_end40-_ZL13mul_mat_vec_qIL9ggml_type6ELi1ELb0ELb0EEvPKvS2_PKi31ggml_cuda_mm_fusion_args_devicePfj15HIP_vector_typeIjLj3EEjjjS8_jjjS8_jjjj
                                        ; -- End function
	.set _ZL13mul_mat_vec_qIL9ggml_type6ELi1ELb0ELb0EEvPKvS2_PKi31ggml_cuda_mm_fusion_args_devicePfj15HIP_vector_typeIjLj3EEjjjS8_jjjS8_jjjj.num_vgpr, 36
	.set _ZL13mul_mat_vec_qIL9ggml_type6ELi1ELb0ELb0EEvPKvS2_PKi31ggml_cuda_mm_fusion_args_devicePfj15HIP_vector_typeIjLj3EEjjjS8_jjjS8_jjjj.num_agpr, 0
	.set _ZL13mul_mat_vec_qIL9ggml_type6ELi1ELb0ELb0EEvPKvS2_PKi31ggml_cuda_mm_fusion_args_devicePfj15HIP_vector_typeIjLj3EEjjjS8_jjjS8_jjjj.numbered_sgpr, 24
	.set _ZL13mul_mat_vec_qIL9ggml_type6ELi1ELb0ELb0EEvPKvS2_PKi31ggml_cuda_mm_fusion_args_devicePfj15HIP_vector_typeIjLj3EEjjjS8_jjjS8_jjjj.num_named_barrier, 0
	.set _ZL13mul_mat_vec_qIL9ggml_type6ELi1ELb0ELb0EEvPKvS2_PKi31ggml_cuda_mm_fusion_args_devicePfj15HIP_vector_typeIjLj3EEjjjS8_jjjS8_jjjj.private_seg_size, 0
	.set _ZL13mul_mat_vec_qIL9ggml_type6ELi1ELb0ELb0EEvPKvS2_PKi31ggml_cuda_mm_fusion_args_devicePfj15HIP_vector_typeIjLj3EEjjjS8_jjjS8_jjjj.uses_vcc, 1
	.set _ZL13mul_mat_vec_qIL9ggml_type6ELi1ELb0ELb0EEvPKvS2_PKi31ggml_cuda_mm_fusion_args_devicePfj15HIP_vector_typeIjLj3EEjjjS8_jjjS8_jjjj.uses_flat_scratch, 0
	.set _ZL13mul_mat_vec_qIL9ggml_type6ELi1ELb0ELb0EEvPKvS2_PKi31ggml_cuda_mm_fusion_args_devicePfj15HIP_vector_typeIjLj3EEjjjS8_jjjS8_jjjj.has_dyn_sized_stack, 0
	.set _ZL13mul_mat_vec_qIL9ggml_type6ELi1ELb0ELb0EEvPKvS2_PKi31ggml_cuda_mm_fusion_args_devicePfj15HIP_vector_typeIjLj3EEjjjS8_jjjS8_jjjj.has_recursion, 0
	.set _ZL13mul_mat_vec_qIL9ggml_type6ELi1ELb0ELb0EEvPKvS2_PKi31ggml_cuda_mm_fusion_args_devicePfj15HIP_vector_typeIjLj3EEjjjS8_jjjS8_jjjj.has_indirect_call, 0
	.section	.AMDGPU.csdata,"",@progbits
; Kernel info:
; codeLenInByte = 1480
; TotalNumSgprs: 26
; NumVgprs: 36
; ScratchSize: 0
; MemoryBound: 0
; FloatMode: 240
; IeeeMode: 1
; LDSByteSize: 896 bytes/workgroup (compile time only)
; SGPRBlocks: 0
; VGPRBlocks: 4
; NumSGPRsForWavesPerEU: 26
; NumVGPRsForWavesPerEU: 36
; Occupancy: 16
; WaveLimiterHint : 0
; COMPUTE_PGM_RSRC2:SCRATCH_EN: 0
; COMPUTE_PGM_RSRC2:USER_SGPR: 2
; COMPUTE_PGM_RSRC2:TRAP_HANDLER: 0
; COMPUTE_PGM_RSRC2:TGID_X_EN: 1
; COMPUTE_PGM_RSRC2:TGID_Y_EN: 1
; COMPUTE_PGM_RSRC2:TGID_Z_EN: 1
; COMPUTE_PGM_RSRC2:TIDIG_COMP_CNT: 1
	.section	.text._ZL13mul_mat_vec_qIL9ggml_type6ELi2ELb0ELb0EEvPKvS2_PKi31ggml_cuda_mm_fusion_args_devicePfj15HIP_vector_typeIjLj3EEjjjS8_jjjS8_jjjj,"axG",@progbits,_ZL13mul_mat_vec_qIL9ggml_type6ELi2ELb0ELb0EEvPKvS2_PKi31ggml_cuda_mm_fusion_args_devicePfj15HIP_vector_typeIjLj3EEjjjS8_jjjS8_jjjj,comdat
	.globl	_ZL13mul_mat_vec_qIL9ggml_type6ELi2ELb0ELb0EEvPKvS2_PKi31ggml_cuda_mm_fusion_args_devicePfj15HIP_vector_typeIjLj3EEjjjS8_jjjS8_jjjj ; -- Begin function _ZL13mul_mat_vec_qIL9ggml_type6ELi2ELb0ELb0EEvPKvS2_PKi31ggml_cuda_mm_fusion_args_devicePfj15HIP_vector_typeIjLj3EEjjjS8_jjjS8_jjjj
	.p2align	8
	.type	_ZL13mul_mat_vec_qIL9ggml_type6ELi2ELb0ELb0EEvPKvS2_PKi31ggml_cuda_mm_fusion_args_devicePfj15HIP_vector_typeIjLj3EEjjjS8_jjjS8_jjjj,@function
_ZL13mul_mat_vec_qIL9ggml_type6ELi2ELb0ELb0EEvPKvS2_PKi31ggml_cuda_mm_fusion_args_devicePfj15HIP_vector_typeIjLj3EEjjjS8_jjjS8_jjjj: ; @_ZL13mul_mat_vec_qIL9ggml_type6ELi2ELb0ELb0EEvPKvS2_PKi31ggml_cuda_mm_fusion_args_devicePfj15HIP_vector_typeIjLj3EEjjjS8_jjjS8_jjjj
; %bb.0:
	v_bfe_u32 v4, v0, 10, 10
	s_clause 0x5
	s_load_b32 s2, s[0:1], 0x40
	s_load_b96 s[16:18], s[0:1], 0x80
	s_load_b128 s[4:7], s[0:1], 0x50
	s_load_b32 s23, s[0:1], 0x60
	s_load_b128 s[8:11], s[0:1], 0x68
	s_load_b32 s24, s[0:1], 0x78
	v_dual_mov_b32 v3, 0 :: v_dual_and_b32 v2, 0x3ff, v0
	v_lshlrev_b32_e32 v0, 5, v4
	s_and_b32 s19, ttmp7, 0xffff
	s_lshr_b32 s20, ttmp7, 16
	s_mov_b32 s22, exec_lo
	v_mov_b32_e32 v6, 0
	v_add_nc_u16 v0, v0, v2
	s_delay_alu instid0(VALU_DEP_1) | instskip(NEXT) | instid1(VALU_DEP_1)
	v_lshrrev_b16 v0, 1, v0
	v_and_b32_e32 v5, 0xffff, v0
	s_wait_kmcnt 0x0
	s_lshr_b32 s21, s2, 5
	s_delay_alu instid0(VALU_DEP_1) | instid1(SALU_CYCLE_1)
	v_cmpx_gt_u32_e64 s21, v5
	s_cbranch_execz .LBB41_4
; %bb.1:
	s_load_b128 s[12:15], s[0:1], 0x0
	v_lshlrev_b32_e32 v1, 1, v2
	v_dual_mov_b32 v3, 0 :: v_dual_and_b32 v6, 1, v2
	s_mul_i32 s2, s17, s20
	s_mov_b32 s3, 0
	s_mul_hi_u32 s7, s7, s19
	s_mul_hi_u32 s11, s11, s20
	s_mul_u64 s[26:27], s[2:3], 36
	s_mul_i32 s2, s9, s19
	s_add_co_i32 s7, s19, s7
	v_dual_mov_b32 v6, 0 :: v_dual_lshlrev_b32 v9, 3, v6
	v_and_b32_e32 v11, 2, v1
	s_add_co_i32 s9, s20, s11
	s_mul_u64 s[28:29], s[2:3], 36
	s_lshr_b32 s2, s7, s23
	v_and_b32_e32 v0, 0xffff, v0
	s_lshr_b32 s7, s9, s24
	s_mul_i32 s2, s2, s8
	s_wait_kmcnt 0x0
	s_add_nc_u64 s[8:9], s[14:15], s[26:27]
	v_lshlrev_b32_e32 v7, 2, v11
	v_lshlrev_b32_e32 v10, 1, v11
	s_add_nc_u64 s[8:9], s[8:9], s[28:29]
	s_mul_i32 s4, s4, ttmp9
	v_mad_co_u64_u32 v[0:1], null, v0, 36, s[8:9]
	v_or_b32_e32 v8, 4, v7
	v_lshlrev_b32_e32 v10, 1, v10
	v_lshlrev_b32_e32 v11, 2, v11
	s_mul_i32 s7, s7, s16
	s_add_co_i32 s2, s2, s4
	s_delay_alu instid0(SALU_CYCLE_1)
	s_add_co_i32 s4, s7, s2
.LBB41_2:                               ; =>This Inner Loop Header: Depth=1
	s_delay_alu instid0(SALU_CYCLE_1) | instskip(SKIP_2) | instid1(VALU_DEP_3)
	v_add_nc_u32_e32 v12, s4, v5
	v_add_nc_u32_e32 v16, s5, v5
	;; [unrolled: 1-line block ×3, first 2 shown]
	v_mad_co_i64_i32 v[12:13], null, v12, 22, s[12:13]
	s_delay_alu instid0(VALU_DEP_3) | instskip(NEXT) | instid1(VALU_DEP_3)
	v_mad_co_u64_u32 v[16:17], null, v16, 36, s[8:9]
	v_cmp_le_u32_e64 s2, s21, v5
	s_delay_alu instid0(VALU_DEP_3) | instskip(SKIP_1) | instid1(VALU_DEP_4)
	v_add_co_u32 v14, vcc_lo, v12, v10
	s_wait_alu 0xfffd
	v_add_co_ci_u32_e64 v15, null, 0, v13, vcc_lo
	v_add_co_u32 v18, vcc_lo, v0, v9
	s_clause 0x1
	global_load_b32 v26, v[12:13], off offset:2
	global_load_b64 v[14:15], v[14:15], off offset:6
	s_wait_alu 0xfffd
	v_add_co_ci_u32_e64 v19, null, 0, v1, vcc_lo
	v_add_co_u32 v20, vcc_lo, v16, v11
	s_wait_alu 0xfffd
	v_add_co_ci_u32_e64 v21, null, 0, v17, vcc_lo
	global_load_b64 v[22:23], v[18:19], off offset:4
	global_load_b64 v[24:25], v[20:21], off offset:4
	;; [unrolled: 1-line block ×4, first 2 shown]
	global_load_b32 v27, v[0:1], off
	global_load_b32 v16, v[16:17], off
	global_load_u16 v12, v[12:13], off
	v_add_co_u32 v0, vcc_lo, 0x240, v0
	s_wait_alu 0xfffd
	v_add_co_ci_u32_e64 v1, null, 0, v1, vcc_lo
	s_or_b32 s3, s2, s3
	s_wait_loadcnt 0x8
	v_ashrrev_i32_e32 v13, v7, v26
	v_ashrrev_i32_e32 v17, v8, v26
	s_wait_loadcnt 0x7
	v_and_b32_e32 v26, 0xf0f0f0f, v14
	v_lshrrev_b32_e32 v14, 4, v14
	v_and_b32_e32 v35, 0xf0f0f0f, v15
	v_lshlrev_b32_e32 v28, 4, v13
	v_lshlrev_b32_e32 v29, 11, v13
	;; [unrolled: 1-line block ×4, first 2 shown]
	v_lshrrev_b32_e32 v32, 12, v13
	v_lshrrev_b32_e32 v33, 5, v13
	v_lshlrev_b32_e32 v34, 2, v13
	v_and_b32_e32 v28, 16, v28
	v_and_b32_e32 v29, 0x1000, v29
	v_lshlrev_b32_e32 v13, 9, v13
	v_lshlrev_b32_e32 v36, 4, v17
	v_lshlrev_b32_e32 v37, 11, v17
	v_lshlrev_b32_e32 v38, 18, v17
	v_and_b32_e32 v30, 0x100000, v30
	v_and_b32_e32 v31, 0x10000000, v31
	;; [unrolled: 1-line block ×5, first 2 shown]
	v_or3_b32 v26, v28, v26, v29
	v_lshlrev_b32_e32 v39, 25, v17
	v_lshrrev_b32_e32 v40, 12, v17
	v_lshrrev_b32_e32 v41, 5, v17
	v_lshlrev_b32_e32 v42, 2, v17
	v_and_b32_e32 v14, 0xf0f0f0f, v14
	v_and_b32_e32 v13, 0x10000000, v13
	v_and_b32_e32 v36, 16, v36
	v_and_b32_e32 v37, 0x1000, v37
	v_and_b32_e32 v38, 0x100000, v38
	v_or3_b32 v32, v33, v32, v34
	v_or3_b32 v26, v26, v30, v31
	v_lshrrev_b32_e32 v15, 4, v15
	v_lshlrev_b32_e32 v17, 9, v17
	v_and_b32_e32 v39, 0x10000000, v39
	v_and_b32_e32 v28, 16, v40
	;; [unrolled: 1-line block ×4, first 2 shown]
	v_or3_b32 v31, v37, v36, v38
	v_or3_b32 v13, v32, v13, v14
	s_wait_loadcnt 0x6
	v_dot4_i32_iu8 v14, v26, v22, 0 neg_lo:[1,1,0]
	s_wait_loadcnt 0x5
	v_dot4_i32_iu8 v22, v26, v24, 0 neg_lo:[1,1,0]
	v_and_b32_e32 v15, 0xf0f0f0f, v15
	v_and_b32_e32 v17, 0x10000000, v17
	v_or3_b32 v24, v29, v28, v30
	v_or3_b32 v26, v31, v39, v35
	s_wait_loadcnt 0x4
	v_dot4_i32_iu8 v14, v13, v18, v14 neg_lo:[1,1,0]
	s_wait_loadcnt 0x3
	v_dot4_i32_iu8 v13, v13, v20, v22 neg_lo:[1,1,0]
	s_wait_loadcnt 0x2
	v_lshrrev_b32_e32 v18, 16, v27
	s_wait_loadcnt 0x1
	v_lshrrev_b32_e32 v20, 16, v16
	v_or3_b32 v15, v24, v17, v15
	v_dot4_i32_iu8 v14, v26, v23, v14 neg_lo:[1,1,0]
	v_dot4_i32_iu8 v13, v26, v25, v13 neg_lo:[1,1,0]
	v_cvt_f32_f16_e32 v17, v18
	v_cvt_f32_f16_e32 v18, v20
	s_delay_alu instid0(VALU_DEP_4) | instskip(NEXT) | instid1(VALU_DEP_4)
	v_dot4_i32_iu8 v14, v15, v19, v14 neg_lo:[1,1,0]
	v_dot4_i32_iu8 v13, v15, v21, v13 neg_lo:[1,1,0]
	s_delay_alu instid0(VALU_DEP_4) | instskip(NEXT) | instid1(VALU_DEP_4)
	v_mul_f32_e32 v15, 0x41000000, v17
	v_mul_f32_e32 v17, 0x41000000, v18
	s_delay_alu instid0(VALU_DEP_4) | instskip(NEXT) | instid1(VALU_DEP_4)
	v_cvt_f32_i32_e32 v14, v14
	v_cvt_f32_i32_e32 v13, v13
	s_delay_alu instid0(VALU_DEP_2) | instskip(NEXT) | instid1(VALU_DEP_2)
	v_fma_mix_f32 v14, v27, v14, -v15 op_sel_hi:[1,0,0]
	v_fma_mix_f32 v13, v16, v13, -v17 op_sel_hi:[1,0,0]
	s_wait_loadcnt 0x0
	s_delay_alu instid0(VALU_DEP_2) | instskip(NEXT) | instid1(VALU_DEP_2)
	v_fma_mix_f32 v6, v14, v12, v6 op_sel_hi:[0,1,0]
	v_fma_mix_f32 v3, v13, v12, v3 op_sel_hi:[0,1,0]
	s_and_not1_b32 exec_lo, exec_lo, s3
	s_cbranch_execnz .LBB41_2
; %bb.3:
	s_or_b32 exec_lo, exec_lo, s3
.LBB41_4:
	s_delay_alu instid0(SALU_CYCLE_1)
	s_or_b32 exec_lo, exec_lo, s22
	s_mov_b32 s3, 0
	; wave barrier
	global_inv scope:SCOPE_SE
	s_mov_b32 s2, exec_lo
	v_cmpx_eq_u32_e32 0, v4
	s_cbranch_execz .LBB41_9
; %bb.5:
	v_mbcnt_lo_u32_b32 v7, -1, 0
	s_load_b64 s[0:1], s[0:1], 0x38
	s_mul_i32 s2, s10, s19
	s_mul_i32 s4, s18, s20
	s_add_co_i32 s2, s2, ttmp9
	v_xor_b32_e32 v0, 16, v7
	v_xor_b32_e32 v1, 8, v7
	s_wait_alu 0xfffe
	s_add_co_i32 s2, s2, s4
	s_delay_alu instid0(SALU_CYCLE_1)
	s_lshl_b64 s[2:3], s[2:3], 2
	v_cmp_gt_i32_e32 vcc_lo, 32, v0
	s_wait_alu 0xfffd
	v_cndmask_b32_e32 v0, v7, v0, vcc_lo
	v_cmp_gt_i32_e32 vcc_lo, 32, v1
	s_wait_alu 0xfffd
	v_cndmask_b32_e32 v1, v7, v1, vcc_lo
	s_wait_kmcnt 0x0
	s_add_nc_u64 s[0:1], s[0:1], s[2:3]
	s_delay_alu instid0(VALU_DEP_1)
	v_lshlrev_b32_e32 v1, 2, v1
	v_lshlrev_b32_e32 v0, 2, v0
	ds_bpermute_b32 v4, v0, v6
	s_wait_dscnt 0x0
	v_add_f32_e32 v5, v6, v4
	v_xor_b32_e32 v4, 4, v7
	ds_bpermute_b32 v6, v1, v5
	v_cmp_gt_i32_e32 vcc_lo, 32, v4
	s_wait_alu 0xfffd
	v_cndmask_b32_e32 v4, v7, v4, vcc_lo
	s_wait_dscnt 0x0
	v_add_f32_e32 v6, v5, v6
	v_xor_b32_e32 v5, 2, v7
	s_delay_alu instid0(VALU_DEP_1) | instskip(SKIP_2) | instid1(VALU_DEP_1)
	v_cmp_gt_i32_e32 vcc_lo, 32, v5
	s_wait_alu 0xfffd
	v_cndmask_b32_e32 v5, v7, v5, vcc_lo
	v_lshlrev_b32_e32 v5, 2, v5
	v_lshlrev_b32_e32 v4, 2, v4
	ds_bpermute_b32 v8, v4, v6
	s_wait_dscnt 0x0
	v_add_f32_e32 v8, v6, v8
	v_xor_b32_e32 v6, 1, v7
	ds_bpermute_b32 v9, v5, v8
	v_cmp_gt_i32_e32 vcc_lo, 32, v6
	s_wait_alu 0xfffd
	v_cndmask_b32_e32 v6, v7, v6, vcc_lo
	v_cmp_eq_u32_e32 vcc_lo, 0, v2
	s_wait_dscnt 0x0
	s_delay_alu instid0(VALU_DEP_2)
	v_dual_add_f32 v7, v8, v9 :: v_dual_lshlrev_b32 v6, 2, v6
	ds_bpermute_b32 v8, v6, v7
	s_and_saveexec_b32 s2, vcc_lo
	s_cbranch_execz .LBB41_7
; %bb.6:
	s_wait_dscnt 0x0
	v_dual_add_f32 v2, v7, v8 :: v_dual_mov_b32 v7, 0
	global_store_b32 v7, v2, s[0:1]
.LBB41_7:
	s_or_b32 exec_lo, exec_lo, s2
	ds_bpermute_b32 v0, v0, v3
	s_wait_dscnt 0x0
	v_add_f32_e32 v0, v3, v0
	ds_bpermute_b32 v1, v1, v0
	s_wait_dscnt 0x0
	v_add_f32_e32 v0, v0, v1
	;; [unrolled: 3-line block ×4, first 2 shown]
	ds_bpermute_b32 v1, v6, v0
	s_and_b32 exec_lo, exec_lo, vcc_lo
	s_cbranch_execz .LBB41_9
; %bb.8:
	s_mov_b32 s7, 0
	s_wait_dscnt 0x0
	v_dual_add_f32 v0, v0, v1 :: v_dual_mov_b32 v1, 0
	s_lshl_b64 s[2:3], s[6:7], 2
	s_delay_alu instid0(SALU_CYCLE_1)
	s_add_nc_u64 s[0:1], s[0:1], s[2:3]
	global_store_b32 v1, v0, s[0:1]
.LBB41_9:
	s_endpgm
	.section	.rodata,"a",@progbits
	.p2align	6, 0x0
	.amdhsa_kernel _ZL13mul_mat_vec_qIL9ggml_type6ELi2ELb0ELb0EEvPKvS2_PKi31ggml_cuda_mm_fusion_args_devicePfj15HIP_vector_typeIjLj3EEjjjS8_jjjS8_jjjj
		.amdhsa_group_segment_fixed_size 0
		.amdhsa_private_segment_fixed_size 0
		.amdhsa_kernarg_size 144
		.amdhsa_user_sgpr_count 2
		.amdhsa_user_sgpr_dispatch_ptr 0
		.amdhsa_user_sgpr_queue_ptr 0
		.amdhsa_user_sgpr_kernarg_segment_ptr 1
		.amdhsa_user_sgpr_dispatch_id 0
		.amdhsa_user_sgpr_private_segment_size 0
		.amdhsa_wavefront_size32 1
		.amdhsa_uses_dynamic_stack 0
		.amdhsa_enable_private_segment 0
		.amdhsa_system_sgpr_workgroup_id_x 1
		.amdhsa_system_sgpr_workgroup_id_y 1
		.amdhsa_system_sgpr_workgroup_id_z 1
		.amdhsa_system_sgpr_workgroup_info 0
		.amdhsa_system_vgpr_workitem_id 1
		.amdhsa_next_free_vgpr 43
		.amdhsa_next_free_sgpr 30
		.amdhsa_reserve_vcc 1
		.amdhsa_float_round_mode_32 0
		.amdhsa_float_round_mode_16_64 0
		.amdhsa_float_denorm_mode_32 3
		.amdhsa_float_denorm_mode_16_64 3
		.amdhsa_fp16_overflow 0
		.amdhsa_workgroup_processor_mode 1
		.amdhsa_memory_ordered 1
		.amdhsa_forward_progress 1
		.amdhsa_inst_pref_size 12
		.amdhsa_round_robin_scheduling 0
		.amdhsa_exception_fp_ieee_invalid_op 0
		.amdhsa_exception_fp_denorm_src 0
		.amdhsa_exception_fp_ieee_div_zero 0
		.amdhsa_exception_fp_ieee_overflow 0
		.amdhsa_exception_fp_ieee_underflow 0
		.amdhsa_exception_fp_ieee_inexact 0
		.amdhsa_exception_int_div_zero 0
	.end_amdhsa_kernel
	.section	.text._ZL13mul_mat_vec_qIL9ggml_type6ELi2ELb0ELb0EEvPKvS2_PKi31ggml_cuda_mm_fusion_args_devicePfj15HIP_vector_typeIjLj3EEjjjS8_jjjS8_jjjj,"axG",@progbits,_ZL13mul_mat_vec_qIL9ggml_type6ELi2ELb0ELb0EEvPKvS2_PKi31ggml_cuda_mm_fusion_args_devicePfj15HIP_vector_typeIjLj3EEjjjS8_jjjS8_jjjj,comdat
.Lfunc_end41:
	.size	_ZL13mul_mat_vec_qIL9ggml_type6ELi2ELb0ELb0EEvPKvS2_PKi31ggml_cuda_mm_fusion_args_devicePfj15HIP_vector_typeIjLj3EEjjjS8_jjjS8_jjjj, .Lfunc_end41-_ZL13mul_mat_vec_qIL9ggml_type6ELi2ELb0ELb0EEvPKvS2_PKi31ggml_cuda_mm_fusion_args_devicePfj15HIP_vector_typeIjLj3EEjjjS8_jjjS8_jjjj
                                        ; -- End function
	.set _ZL13mul_mat_vec_qIL9ggml_type6ELi2ELb0ELb0EEvPKvS2_PKi31ggml_cuda_mm_fusion_args_devicePfj15HIP_vector_typeIjLj3EEjjjS8_jjjS8_jjjj.num_vgpr, 43
	.set _ZL13mul_mat_vec_qIL9ggml_type6ELi2ELb0ELb0EEvPKvS2_PKi31ggml_cuda_mm_fusion_args_devicePfj15HIP_vector_typeIjLj3EEjjjS8_jjjS8_jjjj.num_agpr, 0
	.set _ZL13mul_mat_vec_qIL9ggml_type6ELi2ELb0ELb0EEvPKvS2_PKi31ggml_cuda_mm_fusion_args_devicePfj15HIP_vector_typeIjLj3EEjjjS8_jjjS8_jjjj.numbered_sgpr, 30
	.set _ZL13mul_mat_vec_qIL9ggml_type6ELi2ELb0ELb0EEvPKvS2_PKi31ggml_cuda_mm_fusion_args_devicePfj15HIP_vector_typeIjLj3EEjjjS8_jjjS8_jjjj.num_named_barrier, 0
	.set _ZL13mul_mat_vec_qIL9ggml_type6ELi2ELb0ELb0EEvPKvS2_PKi31ggml_cuda_mm_fusion_args_devicePfj15HIP_vector_typeIjLj3EEjjjS8_jjjS8_jjjj.private_seg_size, 0
	.set _ZL13mul_mat_vec_qIL9ggml_type6ELi2ELb0ELb0EEvPKvS2_PKi31ggml_cuda_mm_fusion_args_devicePfj15HIP_vector_typeIjLj3EEjjjS8_jjjS8_jjjj.uses_vcc, 1
	.set _ZL13mul_mat_vec_qIL9ggml_type6ELi2ELb0ELb0EEvPKvS2_PKi31ggml_cuda_mm_fusion_args_devicePfj15HIP_vector_typeIjLj3EEjjjS8_jjjS8_jjjj.uses_flat_scratch, 0
	.set _ZL13mul_mat_vec_qIL9ggml_type6ELi2ELb0ELb0EEvPKvS2_PKi31ggml_cuda_mm_fusion_args_devicePfj15HIP_vector_typeIjLj3EEjjjS8_jjjS8_jjjj.has_dyn_sized_stack, 0
	.set _ZL13mul_mat_vec_qIL9ggml_type6ELi2ELb0ELb0EEvPKvS2_PKi31ggml_cuda_mm_fusion_args_devicePfj15HIP_vector_typeIjLj3EEjjjS8_jjjS8_jjjj.has_recursion, 0
	.set _ZL13mul_mat_vec_qIL9ggml_type6ELi2ELb0ELb0EEvPKvS2_PKi31ggml_cuda_mm_fusion_args_devicePfj15HIP_vector_typeIjLj3EEjjjS8_jjjS8_jjjj.has_indirect_call, 0
	.section	.AMDGPU.csdata,"",@progbits
; Kernel info:
; codeLenInByte = 1472
; TotalNumSgprs: 32
; NumVgprs: 43
; ScratchSize: 0
; MemoryBound: 0
; FloatMode: 240
; IeeeMode: 1
; LDSByteSize: 0 bytes/workgroup (compile time only)
; SGPRBlocks: 0
; VGPRBlocks: 5
; NumSGPRsForWavesPerEU: 32
; NumVGPRsForWavesPerEU: 43
; Occupancy: 16
; WaveLimiterHint : 0
; COMPUTE_PGM_RSRC2:SCRATCH_EN: 0
; COMPUTE_PGM_RSRC2:USER_SGPR: 2
; COMPUTE_PGM_RSRC2:TRAP_HANDLER: 0
; COMPUTE_PGM_RSRC2:TGID_X_EN: 1
; COMPUTE_PGM_RSRC2:TGID_Y_EN: 1
; COMPUTE_PGM_RSRC2:TGID_Z_EN: 1
; COMPUTE_PGM_RSRC2:TIDIG_COMP_CNT: 1
	.section	.text._ZL13mul_mat_vec_qIL9ggml_type6ELi3ELb0ELb0EEvPKvS2_PKi31ggml_cuda_mm_fusion_args_devicePfj15HIP_vector_typeIjLj3EEjjjS8_jjjS8_jjjj,"axG",@progbits,_ZL13mul_mat_vec_qIL9ggml_type6ELi3ELb0ELb0EEvPKvS2_PKi31ggml_cuda_mm_fusion_args_devicePfj15HIP_vector_typeIjLj3EEjjjS8_jjjS8_jjjj,comdat
	.globl	_ZL13mul_mat_vec_qIL9ggml_type6ELi3ELb0ELb0EEvPKvS2_PKi31ggml_cuda_mm_fusion_args_devicePfj15HIP_vector_typeIjLj3EEjjjS8_jjjS8_jjjj ; -- Begin function _ZL13mul_mat_vec_qIL9ggml_type6ELi3ELb0ELb0EEvPKvS2_PKi31ggml_cuda_mm_fusion_args_devicePfj15HIP_vector_typeIjLj3EEjjjS8_jjjS8_jjjj
	.p2align	8
	.type	_ZL13mul_mat_vec_qIL9ggml_type6ELi3ELb0ELb0EEvPKvS2_PKi31ggml_cuda_mm_fusion_args_devicePfj15HIP_vector_typeIjLj3EEjjjS8_jjjS8_jjjj,@function
_ZL13mul_mat_vec_qIL9ggml_type6ELi3ELb0ELb0EEvPKvS2_PKi31ggml_cuda_mm_fusion_args_devicePfj15HIP_vector_typeIjLj3EEjjjS8_jjjS8_jjjj: ; @_ZL13mul_mat_vec_qIL9ggml_type6ELi3ELb0ELb0EEvPKvS2_PKi31ggml_cuda_mm_fusion_args_devicePfj15HIP_vector_typeIjLj3EEjjjS8_jjjS8_jjjj
; %bb.0:
	v_bfe_u32 v5, v0, 10, 10
	s_clause 0x5
	s_load_b32 s2, s[0:1], 0x40
	s_load_b96 s[16:18], s[0:1], 0x80
	s_load_b128 s[4:7], s[0:1], 0x50
	s_load_b32 s23, s[0:1], 0x60
	s_load_b128 s[8:11], s[0:1], 0x68
	s_load_b32 s24, s[0:1], 0x78
	v_dual_mov_b32 v3, 0 :: v_dual_and_b32 v2, 0x3ff, v0
	v_dual_mov_b32 v7, 0 :: v_dual_lshlrev_b32 v0, 5, v5
	v_mov_b32_e32 v4, 0
	s_and_b32 s19, ttmp7, 0xffff
	s_lshr_b32 s20, ttmp7, 16
	s_delay_alu instid0(VALU_DEP_2) | instskip(SKIP_1) | instid1(VALU_DEP_1)
	v_add_nc_u16 v0, v0, v2
	s_mov_b32 s21, exec_lo
	v_lshrrev_b16 v0, 1, v0
	s_delay_alu instid0(VALU_DEP_1)
	v_and_b32_e32 v6, 0xffff, v0
	s_wait_kmcnt 0x0
	s_lshr_b32 s22, s2, 5
	s_delay_alu instid0(VALU_DEP_1) | instid1(SALU_CYCLE_1)
	v_cmpx_gt_u32_e64 s22, v6
	s_cbranch_execz .LBB42_4
; %bb.1:
	s_load_b128 s[12:15], s[0:1], 0x0
	v_lshlrev_b32_e32 v1, 1, v2
	v_dual_mov_b32 v3, 0 :: v_dual_and_b32 v4, 1, v2
	s_mul_i32 s2, s17, s20
	s_mov_b32 s3, 0
	s_mul_hi_u32 s7, s7, s19
	s_mul_hi_u32 s11, s11, s20
	s_mul_u64 s[26:27], s[2:3], 36
	s_mul_i32 s2, s9, s19
	s_add_co_i32 s7, s19, s7
	v_lshlrev_b32_e32 v10, 3, v4
	v_dual_mov_b32 v4, 0 :: v_dual_and_b32 v7, 2, v1
	s_add_co_i32 s9, s20, s11
	s_mul_u64 s[28:29], s[2:3], 36
	s_lshr_b32 s2, s7, s23
	v_and_b32_e32 v0, 0xffff, v0
	s_lshr_b32 s7, s9, s24
	s_mul_i32 s2, s2, s8
	s_wait_kmcnt 0x0
	s_add_nc_u64 s[8:9], s[14:15], s[26:27]
	v_lshlrev_b32_e32 v8, 2, v7
	v_lshlrev_b32_e32 v11, 1, v7
	s_add_nc_u64 s[8:9], s[8:9], s[28:29]
	s_mul_i32 s4, s4, ttmp9
	v_mad_co_u64_u32 v[0:1], null, v0, 36, s[8:9]
	s_delay_alu instid0(VALU_DEP_2)
	v_lshlrev_b32_e32 v11, 1, v11
	v_dual_mov_b32 v7, 0 :: v_dual_lshlrev_b32 v12, 2, v7
	v_or_b32_e32 v9, 4, v8
	s_mul_i32 s7, s7, s16
	s_add_co_i32 s2, s2, s4
	s_lshl_b32 s4, s5, 1
	s_add_co_i32 s2, s7, s2
.LBB42_2:                               ; =>This Inner Loop Header: Depth=1
	s_delay_alu instid0(SALU_CYCLE_1) | instskip(SKIP_3) | instid1(VALU_DEP_4)
	v_add_nc_u32_e32 v15, s2, v6
	v_add_nc_u32_e32 v19, s5, v6
	;; [unrolled: 1-line block ×3, first 2 shown]
	v_add_co_u32 v13, vcc_lo, v0, v10
	v_mad_co_i64_i32 v[15:16], null, v15, 22, s[12:13]
	s_delay_alu instid0(VALU_DEP_4) | instskip(NEXT) | instid1(VALU_DEP_4)
	v_mad_co_u64_u32 v[19:20], null, v19, 36, s[8:9]
	v_mad_co_u64_u32 v[21:22], null, v21, 36, s[8:9]
	s_wait_alu 0xfffd
	v_add_co_ci_u32_e64 v14, null, 0, v1, vcc_lo
	s_delay_alu instid0(VALU_DEP_4)
	v_add_co_u32 v23, vcc_lo, v15, v11
	s_wait_alu 0xfffd
	v_add_co_ci_u32_e64 v24, null, 0, v16, vcc_lo
	v_add_co_u32 v25, vcc_lo, v19, v12
	s_wait_alu 0xfffd
	v_add_co_ci_u32_e64 v26, null, 0, v20, vcc_lo
	;; [unrolled: 3-line block ×3, first 2 shown]
	s_clause 0x2
	global_load_b32 v33, v[0:1], off
	global_load_b64 v[17:18], v[13:14], off offset:4
	global_load_b64 v[13:14], v[13:14], off offset:20
	s_clause 0x1
	global_load_b32 v34, v[15:16], off offset:2
	global_load_b64 v[23:24], v[23:24], off offset:6
	s_clause 0x5
	global_load_b64 v[29:30], v[27:28], off offset:4
	global_load_b64 v[27:28], v[27:28], off offset:20
	;; [unrolled: 1-line block ×4, first 2 shown]
	global_load_b32 v21, v[21:22], off
	global_load_b32 v19, v[19:20], off
	global_load_u16 v15, v[15:16], off
	v_add_nc_u32_e32 v6, 16, v6
	v_add_co_u32 v0, vcc_lo, 0x240, v0
	s_wait_alu 0xfffd
	v_add_co_ci_u32_e64 v1, null, 0, v1, vcc_lo
	s_delay_alu instid0(VALU_DEP_3)
	v_cmp_le_u32_e32 vcc_lo, s22, v6
	s_or_b32 s3, vcc_lo, s3
	s_wait_loadcnt 0x7
	v_and_b32_e32 v42, 0xf0f0f0f, v24
	v_lshrrev_b32_e32 v24, 4, v24
	v_lshrrev_b32_e32 v16, 16, v33
	s_wait_loadcnt 0x2
	v_lshrrev_b32_e32 v51, 16, v21
	v_ashrrev_i32_e32 v20, v8, v34
	s_wait_loadcnt 0x1
	v_lshrrev_b32_e32 v50, 16, v19
	v_ashrrev_i32_e32 v22, v9, v34
	v_and_b32_e32 v34, 0xf0f0f0f, v23
	v_lshrrev_b32_e32 v23, 4, v23
	v_lshlrev_b32_e32 v36, 11, v20
	v_cvt_f32_f16_e32 v50, v50
	v_lshlrev_b32_e32 v35, 4, v20
	v_lshlrev_b32_e32 v37, 18, v20
	v_lshlrev_b32_e32 v38, 25, v20
	v_lshrrev_b32_e32 v39, 12, v20
	v_lshrrev_b32_e32 v40, 5, v20
	v_lshlrev_b32_e32 v41, 2, v20
	v_and_b32_e32 v35, 16, v35
	v_and_b32_e32 v36, 0x1000, v36
	v_lshlrev_b32_e32 v20, 9, v20
	v_lshlrev_b32_e32 v43, 4, v22
	;; [unrolled: 1-line block ×4, first 2 shown]
	v_and_b32_e32 v37, 0x100000, v37
	v_and_b32_e32 v38, 0x10000000, v38
	;; [unrolled: 1-line block ×5, first 2 shown]
	v_or3_b32 v34, v35, v34, v36
	v_lshlrev_b32_e32 v46, 25, v22
	v_lshrrev_b32_e32 v47, 12, v22
	v_lshrrev_b32_e32 v48, 5, v22
	v_lshlrev_b32_e32 v49, 2, v22
	v_and_b32_e32 v23, 0xf0f0f0f, v23
	v_and_b32_e32 v20, 0x10000000, v20
	;; [unrolled: 1-line block ×5, first 2 shown]
	v_or3_b32 v35, v40, v39, v41
	v_or3_b32 v34, v34, v37, v38
	v_lshlrev_b32_e32 v22, 9, v22
	v_and_b32_e32 v46, 0x10000000, v46
	v_and_b32_e32 v47, 16, v47
	;; [unrolled: 1-line block ×4, first 2 shown]
	v_or3_b32 v36, v44, v43, v45
	v_or3_b32 v20, v35, v20, v23
	v_dot4_i32_iu8 v17, v34, v17, 0 neg_lo:[1,1,0]
	v_dot4_i32_iu8 v23, v34, v31, 0 neg_lo:[1,1,0]
	;; [unrolled: 1-line block ×3, first 2 shown]
	v_and_b32_e32 v24, 0xf0f0f0f, v24
	v_and_b32_e32 v22, 0x10000000, v22
	v_or3_b32 v39, v48, v47, v49
	v_or3_b32 v31, v36, v46, v42
	v_dot4_i32_iu8 v13, v20, v13, v17 neg_lo:[1,1,0]
	v_dot4_i32_iu8 v17, v20, v25, v23 neg_lo:[1,1,0]
	v_dot4_i32_iu8 v20, v20, v27, v29 neg_lo:[1,1,0]
	v_or3_b32 v22, v39, v22, v24
	v_cvt_f32_f16_e32 v16, v16
	v_dot4_i32_iu8 v13, v31, v18, v13 neg_lo:[1,1,0]
	v_dot4_i32_iu8 v17, v31, v32, v17 neg_lo:[1,1,0]
	;; [unrolled: 1-line block ×3, first 2 shown]
	v_cvt_f32_f16_e32 v51, v51
	v_mul_f32_e32 v16, 0x41000000, v16
	v_dot4_i32_iu8 v13, v22, v14, v13 neg_lo:[1,1,0]
	v_dot4_i32_iu8 v14, v22, v26, v17 neg_lo:[1,1,0]
	;; [unrolled: 1-line block ×3, first 2 shown]
	v_mul_f32_e32 v20, 0x41000000, v50
	v_mul_f32_e32 v18, 0x41000000, v51
	v_cvt_f32_i32_e32 v13, v13
	v_cvt_f32_i32_e32 v14, v14
	;; [unrolled: 1-line block ×3, first 2 shown]
	s_delay_alu instid0(VALU_DEP_3) | instskip(NEXT) | instid1(VALU_DEP_3)
	v_fma_mix_f32 v13, v33, v13, -v16 op_sel_hi:[1,0,0]
	v_fma_mix_f32 v14, v19, v14, -v20 op_sel_hi:[1,0,0]
	s_delay_alu instid0(VALU_DEP_3) | instskip(SKIP_1) | instid1(VALU_DEP_3)
	v_fma_mix_f32 v16, v21, v17, -v18 op_sel_hi:[1,0,0]
	s_wait_loadcnt 0x0
	v_fma_mix_f32 v7, v13, v15, v7 op_sel_hi:[0,1,0]
	s_delay_alu instid0(VALU_DEP_3) | instskip(NEXT) | instid1(VALU_DEP_3)
	v_fma_mix_f32 v4, v14, v15, v4 op_sel_hi:[0,1,0]
	v_fma_mix_f32 v3, v16, v15, v3 op_sel_hi:[0,1,0]
	s_wait_alu 0xfffe
	s_and_not1_b32 exec_lo, exec_lo, s3
	s_cbranch_execnz .LBB42_2
; %bb.3:
	s_or_b32 exec_lo, exec_lo, s3
.LBB42_4:
	s_delay_alu instid0(SALU_CYCLE_1)
	s_or_b32 exec_lo, exec_lo, s21
	s_mov_b32 s3, 0
	; wave barrier
	global_inv scope:SCOPE_SE
	s_mov_b32 s2, exec_lo
	v_cmpx_eq_u32_e32 0, v5
	s_cbranch_execz .LBB42_11
; %bb.5:
	v_mbcnt_lo_u32_b32 v8, -1, 0
	s_load_b64 s[0:1], s[0:1], 0x38
	s_mul_i32 s2, s10, s19
	s_mul_i32 s4, s18, s20
	s_wait_alu 0xfffe
	s_add_co_i32 s2, s2, ttmp9
	v_xor_b32_e32 v0, 16, v8
	v_xor_b32_e32 v1, 8, v8
	s_wait_alu 0xfffe
	s_add_co_i32 s2, s2, s4
	s_wait_alu 0xfffe
	s_lshl_b64 s[2:3], s[2:3], 2
	v_cmp_gt_i32_e32 vcc_lo, 32, v0
	s_wait_alu 0xfffd
	v_cndmask_b32_e32 v0, v8, v0, vcc_lo
	v_cmp_gt_i32_e32 vcc_lo, 32, v1
	s_wait_alu 0xfffd
	v_cndmask_b32_e32 v1, v8, v1, vcc_lo
	s_wait_kmcnt 0x0
	s_wait_alu 0xfffe
	s_add_nc_u64 s[0:1], s[0:1], s[2:3]
	s_delay_alu instid0(VALU_DEP_1)
	v_lshlrev_b32_e32 v1, 2, v1
	v_lshlrev_b32_e32 v0, 2, v0
	ds_bpermute_b32 v5, v0, v7
	s_wait_dscnt 0x0
	v_add_f32_e32 v6, v7, v5
	v_xor_b32_e32 v5, 4, v8
	ds_bpermute_b32 v7, v1, v6
	v_cmp_gt_i32_e32 vcc_lo, 32, v5
	s_wait_alu 0xfffd
	v_cndmask_b32_e32 v5, v8, v5, vcc_lo
	s_wait_dscnt 0x0
	v_add_f32_e32 v7, v6, v7
	v_xor_b32_e32 v6, 2, v8
	s_delay_alu instid0(VALU_DEP_1)
	v_cmp_gt_i32_e32 vcc_lo, 32, v6
	s_wait_alu 0xfffd
	v_dual_cndmask_b32 v6, v8, v6 :: v_dual_lshlrev_b32 v5, 2, v5
	ds_bpermute_b32 v9, v5, v7
	s_wait_dscnt 0x0
	v_dual_add_f32 v9, v7, v9 :: v_dual_lshlrev_b32 v6, 2, v6
	v_xor_b32_e32 v7, 1, v8
	ds_bpermute_b32 v10, v6, v9
	v_cmp_gt_i32_e32 vcc_lo, 32, v7
	s_wait_alu 0xfffd
	v_cndmask_b32_e32 v7, v8, v7, vcc_lo
	v_cmp_eq_u32_e32 vcc_lo, 0, v2
	s_wait_dscnt 0x0
	s_delay_alu instid0(VALU_DEP_2)
	v_dual_add_f32 v8, v9, v10 :: v_dual_lshlrev_b32 v7, 2, v7
	ds_bpermute_b32 v9, v7, v8
	s_and_saveexec_b32 s2, vcc_lo
	s_cbranch_execz .LBB42_7
; %bb.6:
	s_wait_dscnt 0x0
	v_add_f32_e32 v2, v8, v9
	v_mov_b32_e32 v8, 0
	global_store_b32 v8, v2, s[0:1]
.LBB42_7:
	s_wait_alu 0xfffe
	s_or_b32 exec_lo, exec_lo, s2
	ds_bpermute_b32 v2, v0, v4
	s_wait_dscnt 0x0
	v_add_f32_e32 v2, v4, v2
	ds_bpermute_b32 v4, v1, v2
	s_wait_dscnt 0x0
	v_add_f32_e32 v2, v2, v4
	;; [unrolled: 3-line block ×4, first 2 shown]
	ds_bpermute_b32 v4, v7, v2
	s_and_saveexec_b32 s2, vcc_lo
	s_cbranch_execz .LBB42_9
; %bb.8:
	s_mov_b32 s7, 0
	s_wait_dscnt 0x0
	v_add_f32_e32 v2, v2, v4
	v_mov_b32_e32 v4, 0
	s_lshl_b64 s[4:5], s[6:7], 2
	s_wait_alu 0xfffe
	s_add_nc_u64 s[4:5], s[0:1], s[4:5]
	global_store_b32 v4, v2, s[4:5]
.LBB42_9:
	s_wait_alu 0xfffe
	s_or_b32 exec_lo, exec_lo, s2
	ds_bpermute_b32 v0, v0, v3
	s_wait_dscnt 0x0
	v_add_f32_e32 v0, v3, v0
	ds_bpermute_b32 v1, v1, v0
	s_wait_dscnt 0x0
	v_add_f32_e32 v0, v0, v1
	;; [unrolled: 3-line block ×4, first 2 shown]
	ds_bpermute_b32 v1, v7, v0
	s_and_b32 exec_lo, exec_lo, vcc_lo
	s_cbranch_execz .LBB42_11
; %bb.10:
	s_lshl_b32 s2, s6, 1
	s_mov_b32 s3, 0
	s_wait_dscnt 0x0
	v_dual_add_f32 v0, v0, v1 :: v_dual_mov_b32 v1, 0
	s_wait_alu 0xfffe
	s_lshl_b64 s[2:3], s[2:3], 2
	s_wait_alu 0xfffe
	s_add_nc_u64 s[0:1], s[0:1], s[2:3]
	global_store_b32 v1, v0, s[0:1]
.LBB42_11:
	s_endpgm
	.section	.rodata,"a",@progbits
	.p2align	6, 0x0
	.amdhsa_kernel _ZL13mul_mat_vec_qIL9ggml_type6ELi3ELb0ELb0EEvPKvS2_PKi31ggml_cuda_mm_fusion_args_devicePfj15HIP_vector_typeIjLj3EEjjjS8_jjjS8_jjjj
		.amdhsa_group_segment_fixed_size 0
		.amdhsa_private_segment_fixed_size 0
		.amdhsa_kernarg_size 144
		.amdhsa_user_sgpr_count 2
		.amdhsa_user_sgpr_dispatch_ptr 0
		.amdhsa_user_sgpr_queue_ptr 0
		.amdhsa_user_sgpr_kernarg_segment_ptr 1
		.amdhsa_user_sgpr_dispatch_id 0
		.amdhsa_user_sgpr_private_segment_size 0
		.amdhsa_wavefront_size32 1
		.amdhsa_uses_dynamic_stack 0
		.amdhsa_enable_private_segment 0
		.amdhsa_system_sgpr_workgroup_id_x 1
		.amdhsa_system_sgpr_workgroup_id_y 1
		.amdhsa_system_sgpr_workgroup_id_z 1
		.amdhsa_system_sgpr_workgroup_info 0
		.amdhsa_system_vgpr_workitem_id 1
		.amdhsa_next_free_vgpr 52
		.amdhsa_next_free_sgpr 30
		.amdhsa_reserve_vcc 1
		.amdhsa_float_round_mode_32 0
		.amdhsa_float_round_mode_16_64 0
		.amdhsa_float_denorm_mode_32 3
		.amdhsa_float_denorm_mode_16_64 3
		.amdhsa_fp16_overflow 0
		.amdhsa_workgroup_processor_mode 1
		.amdhsa_memory_ordered 1
		.amdhsa_forward_progress 1
		.amdhsa_inst_pref_size 14
		.amdhsa_round_robin_scheduling 0
		.amdhsa_exception_fp_ieee_invalid_op 0
		.amdhsa_exception_fp_denorm_src 0
		.amdhsa_exception_fp_ieee_div_zero 0
		.amdhsa_exception_fp_ieee_overflow 0
		.amdhsa_exception_fp_ieee_underflow 0
		.amdhsa_exception_fp_ieee_inexact 0
		.amdhsa_exception_int_div_zero 0
	.end_amdhsa_kernel
	.section	.text._ZL13mul_mat_vec_qIL9ggml_type6ELi3ELb0ELb0EEvPKvS2_PKi31ggml_cuda_mm_fusion_args_devicePfj15HIP_vector_typeIjLj3EEjjjS8_jjjS8_jjjj,"axG",@progbits,_ZL13mul_mat_vec_qIL9ggml_type6ELi3ELb0ELb0EEvPKvS2_PKi31ggml_cuda_mm_fusion_args_devicePfj15HIP_vector_typeIjLj3EEjjjS8_jjjS8_jjjj,comdat
.Lfunc_end42:
	.size	_ZL13mul_mat_vec_qIL9ggml_type6ELi3ELb0ELb0EEvPKvS2_PKi31ggml_cuda_mm_fusion_args_devicePfj15HIP_vector_typeIjLj3EEjjjS8_jjjS8_jjjj, .Lfunc_end42-_ZL13mul_mat_vec_qIL9ggml_type6ELi3ELb0ELb0EEvPKvS2_PKi31ggml_cuda_mm_fusion_args_devicePfj15HIP_vector_typeIjLj3EEjjjS8_jjjS8_jjjj
                                        ; -- End function
	.set _ZL13mul_mat_vec_qIL9ggml_type6ELi3ELb0ELb0EEvPKvS2_PKi31ggml_cuda_mm_fusion_args_devicePfj15HIP_vector_typeIjLj3EEjjjS8_jjjS8_jjjj.num_vgpr, 52
	.set _ZL13mul_mat_vec_qIL9ggml_type6ELi3ELb0ELb0EEvPKvS2_PKi31ggml_cuda_mm_fusion_args_devicePfj15HIP_vector_typeIjLj3EEjjjS8_jjjS8_jjjj.num_agpr, 0
	.set _ZL13mul_mat_vec_qIL9ggml_type6ELi3ELb0ELb0EEvPKvS2_PKi31ggml_cuda_mm_fusion_args_devicePfj15HIP_vector_typeIjLj3EEjjjS8_jjjS8_jjjj.numbered_sgpr, 30
	.set _ZL13mul_mat_vec_qIL9ggml_type6ELi3ELb0ELb0EEvPKvS2_PKi31ggml_cuda_mm_fusion_args_devicePfj15HIP_vector_typeIjLj3EEjjjS8_jjjS8_jjjj.num_named_barrier, 0
	.set _ZL13mul_mat_vec_qIL9ggml_type6ELi3ELb0ELb0EEvPKvS2_PKi31ggml_cuda_mm_fusion_args_devicePfj15HIP_vector_typeIjLj3EEjjjS8_jjjS8_jjjj.private_seg_size, 0
	.set _ZL13mul_mat_vec_qIL9ggml_type6ELi3ELb0ELb0EEvPKvS2_PKi31ggml_cuda_mm_fusion_args_devicePfj15HIP_vector_typeIjLj3EEjjjS8_jjjS8_jjjj.uses_vcc, 1
	.set _ZL13mul_mat_vec_qIL9ggml_type6ELi3ELb0ELb0EEvPKvS2_PKi31ggml_cuda_mm_fusion_args_devicePfj15HIP_vector_typeIjLj3EEjjjS8_jjjS8_jjjj.uses_flat_scratch, 0
	.set _ZL13mul_mat_vec_qIL9ggml_type6ELi3ELb0ELb0EEvPKvS2_PKi31ggml_cuda_mm_fusion_args_devicePfj15HIP_vector_typeIjLj3EEjjjS8_jjjS8_jjjj.has_dyn_sized_stack, 0
	.set _ZL13mul_mat_vec_qIL9ggml_type6ELi3ELb0ELb0EEvPKvS2_PKi31ggml_cuda_mm_fusion_args_devicePfj15HIP_vector_typeIjLj3EEjjjS8_jjjS8_jjjj.has_recursion, 0
	.set _ZL13mul_mat_vec_qIL9ggml_type6ELi3ELb0ELb0EEvPKvS2_PKi31ggml_cuda_mm_fusion_args_devicePfj15HIP_vector_typeIjLj3EEjjjS8_jjjS8_jjjj.has_indirect_call, 0
	.section	.AMDGPU.csdata,"",@progbits
; Kernel info:
; codeLenInByte = 1756
; TotalNumSgprs: 32
; NumVgprs: 52
; ScratchSize: 0
; MemoryBound: 0
; FloatMode: 240
; IeeeMode: 1
; LDSByteSize: 0 bytes/workgroup (compile time only)
; SGPRBlocks: 0
; VGPRBlocks: 6
; NumSGPRsForWavesPerEU: 32
; NumVGPRsForWavesPerEU: 52
; Occupancy: 16
; WaveLimiterHint : 0
; COMPUTE_PGM_RSRC2:SCRATCH_EN: 0
; COMPUTE_PGM_RSRC2:USER_SGPR: 2
; COMPUTE_PGM_RSRC2:TRAP_HANDLER: 0
; COMPUTE_PGM_RSRC2:TGID_X_EN: 1
; COMPUTE_PGM_RSRC2:TGID_Y_EN: 1
; COMPUTE_PGM_RSRC2:TGID_Z_EN: 1
; COMPUTE_PGM_RSRC2:TIDIG_COMP_CNT: 1
	.section	.text._ZL13mul_mat_vec_qIL9ggml_type6ELi4ELb0ELb0EEvPKvS2_PKi31ggml_cuda_mm_fusion_args_devicePfj15HIP_vector_typeIjLj3EEjjjS8_jjjS8_jjjj,"axG",@progbits,_ZL13mul_mat_vec_qIL9ggml_type6ELi4ELb0ELb0EEvPKvS2_PKi31ggml_cuda_mm_fusion_args_devicePfj15HIP_vector_typeIjLj3EEjjjS8_jjjS8_jjjj,comdat
	.globl	_ZL13mul_mat_vec_qIL9ggml_type6ELi4ELb0ELb0EEvPKvS2_PKi31ggml_cuda_mm_fusion_args_devicePfj15HIP_vector_typeIjLj3EEjjjS8_jjjS8_jjjj ; -- Begin function _ZL13mul_mat_vec_qIL9ggml_type6ELi4ELb0ELb0EEvPKvS2_PKi31ggml_cuda_mm_fusion_args_devicePfj15HIP_vector_typeIjLj3EEjjjS8_jjjS8_jjjj
	.p2align	8
	.type	_ZL13mul_mat_vec_qIL9ggml_type6ELi4ELb0ELb0EEvPKvS2_PKi31ggml_cuda_mm_fusion_args_devicePfj15HIP_vector_typeIjLj3EEjjjS8_jjjS8_jjjj,@function
_ZL13mul_mat_vec_qIL9ggml_type6ELi4ELb0ELb0EEvPKvS2_PKi31ggml_cuda_mm_fusion_args_devicePfj15HIP_vector_typeIjLj3EEjjjS8_jjjS8_jjjj: ; @_ZL13mul_mat_vec_qIL9ggml_type6ELi4ELb0ELb0EEvPKvS2_PKi31ggml_cuda_mm_fusion_args_devicePfj15HIP_vector_typeIjLj3EEjjjS8_jjjS8_jjjj
; %bb.0:
	v_bfe_u32 v5, v0, 10, 10
	s_clause 0x5
	s_load_b32 s2, s[0:1], 0x40
	s_load_b96 s[16:18], s[0:1], 0x80
	s_load_b128 s[4:7], s[0:1], 0x50
	s_load_b32 s23, s[0:1], 0x60
	s_load_b128 s[8:11], s[0:1], 0x68
	s_load_b32 s24, s[0:1], 0x78
	v_dual_mov_b32 v2, 0 :: v_dual_and_b32 v3, 0x3ff, v0
	v_lshlrev_b32_e32 v0, 5, v5
	v_mov_b32_e32 v6, 0
	v_mov_b32_e32 v8, 0
	s_and_b32 s19, ttmp7, 0xffff
	s_lshr_b32 s20, ttmp7, 16
	v_add_nc_u16 v0, v0, v3
	s_mov_b32 s21, exec_lo
	v_mov_b32_e32 v4, 0
	s_delay_alu instid0(VALU_DEP_2) | instskip(NEXT) | instid1(VALU_DEP_1)
	v_lshrrev_b16 v0, 1, v0
	v_and_b32_e32 v7, 0xffff, v0
	s_wait_kmcnt 0x0
	s_lshr_b32 s22, s2, 5
	s_delay_alu instid0(VALU_DEP_1) | instid1(SALU_CYCLE_1)
	v_cmpx_gt_u32_e64 s22, v7
	s_cbranch_execz .LBB43_4
; %bb.1:
	s_load_b128 s[12:15], s[0:1], 0x0
	v_dual_mov_b32 v2, 0 :: v_dual_lshlrev_b32 v1, 1, v3
	s_mul_i32 s2, s17, s20
	s_mov_b32 s3, 0
	s_mul_hi_u32 s7, s7, s19
	s_mul_hi_u32 s11, s11, s20
	s_mul_u64 s[26:27], s[2:3], 36
	s_mul_i32 s2, s9, s19
	s_add_co_i32 s7, s19, s7
	v_and_b32_e32 v6, 2, v1
	s_add_co_i32 s9, s20, s11
	s_mul_u64 s[28:29], s[2:3], 36
	s_lshr_b32 s2, s7, s23
	v_and_b32_e32 v0, 0xffff, v0
	s_lshr_b32 s7, s9, s24
	s_mul_i32 s2, s2, s8
	v_and_b32_e32 v4, 1, v3
	v_lshlrev_b32_e32 v9, 2, v6
	v_lshlrev_b32_e32 v8, 1, v6
	s_wait_kmcnt 0x0
	s_add_nc_u64 s[8:9], s[14:15], s[26:27]
	s_mul_i32 s4, s4, ttmp9
	s_add_nc_u64 s[8:9], s[8:9], s[28:29]
	v_lshlrev_b32_e32 v11, 3, v4
	v_mad_co_u64_u32 v[0:1], null, v0, 36, s[8:9]
	v_lshlrev_b32_e32 v12, 1, v8
	v_dual_mov_b32 v8, 0 :: v_dual_lshlrev_b32 v13, 2, v6
	v_mov_b32_e32 v4, 0
	v_or_b32_e32 v10, 4, v9
	v_mov_b32_e32 v6, 0
	s_mul_i32 s7, s7, s16
	s_add_co_i32 s2, s2, s4
	s_lshl_b32 s4, s5, 1
	s_add_co_i32 s2, s7, s2
	s_mul_i32 s7, s5, 3
.LBB43_2:                               ; =>This Inner Loop Header: Depth=1
	v_add_nc_u32_e32 v16, s2, v7
	v_add_co_u32 v14, vcc_lo, v0, v11
	s_wait_alu 0xfffd
	v_add_co_ci_u32_e64 v15, null, 0, v1, vcc_lo
	s_delay_alu instid0(VALU_DEP_3)
	v_mad_co_i64_i32 v[16:17], null, v16, 22, s[12:13]
	global_load_b32 v36, v[0:1], off
	v_add_nc_u32_e32 v20, s5, v7
	s_clause 0x1
	global_load_b64 v[18:19], v[14:15], off offset:4
	global_load_b64 v[14:15], v[14:15], off offset:20
	v_add_nc_u32_e32 v22, s4, v7
	v_add_nc_u32_e32 v24, s7, v7
	v_mad_co_u64_u32 v[20:21], null, v20, 36, s[8:9]
	global_load_b32 v37, v[16:17], off offset:2
	v_mad_co_u64_u32 v[22:23], null, v22, 36, s[8:9]
	v_mad_co_u64_u32 v[24:25], null, v24, 36, s[8:9]
	v_add_co_u32 v26, vcc_lo, v16, v12
	s_wait_alu 0xfffd
	v_add_co_ci_u32_e64 v27, null, 0, v17, vcc_lo
	v_add_co_u32 v28, vcc_lo, v20, v13
	s_wait_alu 0xfffd
	v_add_co_ci_u32_e64 v29, null, 0, v21, vcc_lo
	;; [unrolled: 3-line block ×4, first 2 shown]
	global_load_b64 v[26:27], v[26:27], off offset:6
	s_clause 0x8
	global_load_b64 v[34:35], v[28:29], off offset:4
	global_load_b64 v[28:29], v[28:29], off offset:20
	global_load_b32 v38, v[22:23], off
	global_load_b32 v39, v[20:21], off
	global_load_b64 v[20:21], v[32:33], off offset:20
	global_load_b64 v[22:23], v[30:31], off offset:4
	;; [unrolled: 1-line block ×4, first 2 shown]
	global_load_b32 v24, v[24:25], off
	global_load_u16 v16, v[16:17], off
	v_add_co_u32 v0, vcc_lo, 0x240, v0
	s_wait_alu 0xfffd
	v_add_co_ci_u32_e64 v1, null, 0, v1, vcc_lo
	s_wait_loadcnt 0xe
	v_lshrrev_b32_e32 v17, 16, v36
	s_delay_alu instid0(VALU_DEP_1) | instskip(SKIP_3) | instid1(VALU_DEP_3)
	v_cvt_f32_f16_e32 v17, v17
	s_wait_loadcnt 0xb
	v_ashrrev_i32_e32 v25, v9, v37
	v_ashrrev_i32_e32 v37, v10, v37
	v_mul_f32_e32 v17, 0x41000000, v17
	s_delay_alu instid0(VALU_DEP_3)
	v_lshlrev_b32_e32 v41, 4, v25
	v_lshlrev_b32_e32 v42, 11, v25
	;; [unrolled: 1-line block ×4, first 2 shown]
	v_lshrrev_b32_e32 v45, 12, v25
	v_lshrrev_b32_e32 v46, 5, v25
	s_wait_loadcnt 0xa
	v_and_b32_e32 v40, 0xf0f0f0f, v26
	v_lshlrev_b32_e32 v47, 2, v25
	v_and_b32_e32 v41, 16, v41
	v_and_b32_e32 v42, 0x1000, v42
	v_lshrrev_b32_e32 v26, 4, v26
	v_lshlrev_b32_e32 v25, 9, v25
	v_lshlrev_b32_e32 v49, 4, v37
	;; [unrolled: 1-line block ×4, first 2 shown]
	v_and_b32_e32 v43, 0x100000, v43
	v_and_b32_e32 v44, 0x10000000, v44
	;; [unrolled: 1-line block ×5, first 2 shown]
	v_or3_b32 v40, v41, v40, v42
	v_lshlrev_b32_e32 v52, 25, v37
	v_lshrrev_b32_e32 v53, 12, v37
	v_lshrrev_b32_e32 v54, 5, v37
	v_lshlrev_b32_e32 v55, 2, v37
	v_and_b32_e32 v26, 0xf0f0f0f, v26
	v_and_b32_e32 v25, 0x10000000, v25
	;; [unrolled: 1-line block ×5, first 2 shown]
	v_or3_b32 v41, v46, v45, v47
	v_or3_b32 v40, v40, v43, v44
	v_and_b32_e32 v48, 0xf0f0f0f, v27
	v_lshrrev_b32_e32 v27, 4, v27
	v_lshlrev_b32_e32 v37, 9, v37
	v_and_b32_e32 v52, 0x10000000, v52
	v_and_b32_e32 v53, 16, v53
	;; [unrolled: 1-line block ×4, first 2 shown]
	v_or3_b32 v42, v50, v49, v51
	v_or3_b32 v25, v41, v25, v26
	v_dot4_i32_iu8 v18, v40, v18, 0 neg_lo:[1,1,0]
	s_wait_loadcnt 0x9
	v_dot4_i32_iu8 v34, v40, v34, 0 neg_lo:[1,1,0]
	s_wait_loadcnt 0x4
	;; [unrolled: 2-line block ×3, first 2 shown]
	v_dot4_i32_iu8 v32, v40, v32, 0 neg_lo:[1,1,0]
	v_and_b32_e32 v27, 0xf0f0f0f, v27
	v_and_b32_e32 v37, 0x10000000, v37
	v_or3_b32 v45, v54, v53, v55
	v_or3_b32 v26, v42, v52, v48
	v_dot4_i32_iu8 v14, v25, v14, v18 neg_lo:[1,1,0]
	v_dot4_i32_iu8 v18, v25, v28, v34 neg_lo:[1,1,0]
	;; [unrolled: 1-line block ×4, first 2 shown]
	v_lshrrev_b32_e32 v56, 16, v39
	v_lshrrev_b32_e32 v57, 16, v38
	s_wait_loadcnt 0x1
	v_lshrrev_b32_e32 v58, 16, v24
	v_or3_b32 v27, v45, v37, v27
	v_dot4_i32_iu8 v14, v26, v19, v14 neg_lo:[1,1,0]
	v_dot4_i32_iu8 v18, v26, v35, v18 neg_lo:[1,1,0]
	;; [unrolled: 1-line block ×4, first 2 shown]
	v_cvt_f32_f16_e32 v56, v56
	v_cvt_f32_f16_e32 v57, v57
	;; [unrolled: 1-line block ×3, first 2 shown]
	v_dot4_i32_iu8 v14, v27, v15, v14 neg_lo:[1,1,0]
	v_dot4_i32_iu8 v15, v27, v29, v18 neg_lo:[1,1,0]
	;; [unrolled: 1-line block ×4, first 2 shown]
	v_dual_mul_f32 v46, 0x41000000, v56 :: v_dual_add_nc_u32 v7, 16, v7
	v_mul_f32_e32 v47, 0x41000000, v57
	v_mul_f32_e32 v49, 0x41000000, v58
	v_cvt_f32_i32_e32 v14, v14
	v_cvt_f32_i32_e32 v15, v15
	;; [unrolled: 1-line block ×4, first 2 shown]
	v_cmp_le_u32_e32 vcc_lo, s22, v7
	v_fma_mix_f32 v14, v36, v14, -v17 op_sel_hi:[1,0,0]
	v_fma_mix_f32 v15, v39, v15, -v46 op_sel_hi:[1,0,0]
	;; [unrolled: 1-line block ×4, first 2 shown]
	s_or_b32 s3, vcc_lo, s3
	s_wait_loadcnt 0x0
	v_fma_mix_f32 v8, v14, v16, v8 op_sel_hi:[0,1,0]
	v_fma_mix_f32 v6, v15, v16, v6 op_sel_hi:[0,1,0]
	;; [unrolled: 1-line block ×4, first 2 shown]
	s_wait_alu 0xfffe
	s_and_not1_b32 exec_lo, exec_lo, s3
	s_cbranch_execnz .LBB43_2
; %bb.3:
	s_or_b32 exec_lo, exec_lo, s3
.LBB43_4:
	s_delay_alu instid0(SALU_CYCLE_1)
	s_or_b32 exec_lo, exec_lo, s21
	s_mov_b32 s3, 0
	; wave barrier
	global_inv scope:SCOPE_SE
	s_mov_b32 s2, exec_lo
	v_cmpx_eq_u32_e32 0, v5
	s_cbranch_execz .LBB43_13
; %bb.5:
	v_mbcnt_lo_u32_b32 v9, -1, 0
	s_load_b64 s[0:1], s[0:1], 0x38
	s_mul_i32 s2, s10, s19
	s_mul_i32 s4, s18, s20
	s_wait_alu 0xfffe
	s_add_co_i32 s2, s2, ttmp9
	v_xor_b32_e32 v0, 16, v9
	v_xor_b32_e32 v1, 8, v9
	s_wait_alu 0xfffe
	s_add_co_i32 s2, s2, s4
	s_wait_alu 0xfffe
	s_lshl_b64 s[2:3], s[2:3], 2
	v_cmp_gt_i32_e32 vcc_lo, 32, v0
	s_wait_alu 0xfffd
	v_cndmask_b32_e32 v0, v9, v0, vcc_lo
	v_cmp_gt_i32_e32 vcc_lo, 32, v1
	s_wait_alu 0xfffd
	v_cndmask_b32_e32 v1, v9, v1, vcc_lo
	s_wait_kmcnt 0x0
	s_wait_alu 0xfffe
	s_add_nc_u64 s[0:1], s[0:1], s[2:3]
	s_delay_alu instid0(VALU_DEP_1)
	v_lshlrev_b32_e32 v1, 2, v1
	v_lshlrev_b32_e32 v0, 2, v0
	ds_bpermute_b32 v5, v0, v8
	s_wait_dscnt 0x0
	v_add_f32_e32 v7, v8, v5
	v_xor_b32_e32 v5, 4, v9
	ds_bpermute_b32 v8, v1, v7
	v_cmp_gt_i32_e32 vcc_lo, 32, v5
	s_wait_dscnt 0x0
	s_wait_alu 0xfffd
	v_dual_add_f32 v8, v7, v8 :: v_dual_cndmask_b32 v5, v9, v5
	v_xor_b32_e32 v7, 2, v9
	s_delay_alu instid0(VALU_DEP_2) | instskip(NEXT) | instid1(VALU_DEP_2)
	v_lshlrev_b32_e32 v5, 2, v5
	v_cmp_gt_i32_e32 vcc_lo, 32, v7
	ds_bpermute_b32 v10, v5, v8
	s_wait_dscnt 0x0
	s_wait_alu 0xfffd
	v_dual_cndmask_b32 v7, v9, v7 :: v_dual_add_f32 v10, v8, v10
	v_xor_b32_e32 v8, 1, v9
	s_delay_alu instid0(VALU_DEP_1) | instskip(SKIP_3) | instid1(VALU_DEP_2)
	v_cmp_gt_i32_e32 vcc_lo, 32, v8
	s_wait_alu 0xfffd
	v_cndmask_b32_e32 v8, v9, v8, vcc_lo
	v_cmp_eq_u32_e32 vcc_lo, 0, v3
	v_lshlrev_b32_e32 v8, 2, v8
	v_lshlrev_b32_e32 v7, 2, v7
	ds_bpermute_b32 v11, v7, v10
	s_wait_dscnt 0x0
	v_add_f32_e32 v9, v10, v11
	ds_bpermute_b32 v10, v8, v9
	s_and_saveexec_b32 s2, vcc_lo
	s_cbranch_execz .LBB43_7
; %bb.6:
	s_wait_dscnt 0x0
	v_add_f32_e32 v3, v9, v10
	v_mov_b32_e32 v9, 0
	global_store_b32 v9, v3, s[0:1]
.LBB43_7:
	s_wait_alu 0xfffe
	s_or_b32 exec_lo, exec_lo, s2
	ds_bpermute_b32 v3, v0, v6
	s_wait_dscnt 0x0
	v_add_f32_e32 v3, v6, v3
	ds_bpermute_b32 v6, v1, v3
	s_wait_dscnt 0x0
	v_add_f32_e32 v3, v3, v6
	;; [unrolled: 3-line block ×4, first 2 shown]
	ds_bpermute_b32 v6, v8, v3
	s_and_saveexec_b32 s2, vcc_lo
	s_cbranch_execz .LBB43_9
; %bb.8:
	s_mov_b32 s7, 0
	s_wait_dscnt 0x0
	v_dual_add_f32 v3, v3, v6 :: v_dual_mov_b32 v6, 0
	s_wait_alu 0xfffe
	s_lshl_b64 s[4:5], s[6:7], 2
	s_wait_alu 0xfffe
	s_add_nc_u64 s[4:5], s[0:1], s[4:5]
	global_store_b32 v6, v3, s[4:5]
.LBB43_9:
	s_wait_alu 0xfffe
	s_or_b32 exec_lo, exec_lo, s2
	ds_bpermute_b32 v3, v0, v4
	s_wait_dscnt 0x0
	v_add_f32_e32 v3, v4, v3
	ds_bpermute_b32 v4, v1, v3
	s_wait_dscnt 0x0
	v_add_f32_e32 v3, v3, v4
	ds_bpermute_b32 v4, v5, v3
	s_wait_dscnt 0x0
	v_add_f32_e32 v3, v3, v4
	ds_bpermute_b32 v4, v7, v3
	s_wait_dscnt 0x0
	v_add_f32_e32 v3, v3, v4
	ds_bpermute_b32 v4, v8, v3
	s_and_saveexec_b32 s2, vcc_lo
	s_cbranch_execz .LBB43_11
; %bb.10:
	s_lshl_b32 s4, s6, 1
	s_mov_b32 s5, 0
	s_wait_dscnt 0x0
	v_dual_add_f32 v3, v3, v4 :: v_dual_mov_b32 v4, 0
	s_wait_alu 0xfffe
	s_lshl_b64 s[4:5], s[4:5], 2
	s_wait_alu 0xfffe
	s_add_nc_u64 s[4:5], s[0:1], s[4:5]
	global_store_b32 v4, v3, s[4:5]
.LBB43_11:
	s_wait_alu 0xfffe
	s_or_b32 exec_lo, exec_lo, s2
	ds_bpermute_b32 v0, v0, v2
	s_wait_dscnt 0x0
	v_add_f32_e32 v0, v2, v0
	ds_bpermute_b32 v1, v1, v0
	s_wait_dscnt 0x0
	v_add_f32_e32 v0, v0, v1
	;; [unrolled: 3-line block ×4, first 2 shown]
	ds_bpermute_b32 v1, v8, v0
	s_and_b32 exec_lo, exec_lo, vcc_lo
	s_cbranch_execz .LBB43_13
; %bb.12:
	s_mul_i32 s2, s6, 3
	s_mov_b32 s3, 0
	s_wait_dscnt 0x0
	v_dual_add_f32 v0, v0, v1 :: v_dual_mov_b32 v1, 0
	s_wait_alu 0xfffe
	s_lshl_b64 s[2:3], s[2:3], 2
	s_wait_alu 0xfffe
	s_add_nc_u64 s[0:1], s[0:1], s[2:3]
	global_store_b32 v1, v0, s[0:1]
.LBB43_13:
	s_endpgm
	.section	.rodata,"a",@progbits
	.p2align	6, 0x0
	.amdhsa_kernel _ZL13mul_mat_vec_qIL9ggml_type6ELi4ELb0ELb0EEvPKvS2_PKi31ggml_cuda_mm_fusion_args_devicePfj15HIP_vector_typeIjLj3EEjjjS8_jjjS8_jjjj
		.amdhsa_group_segment_fixed_size 0
		.amdhsa_private_segment_fixed_size 0
		.amdhsa_kernarg_size 144
		.amdhsa_user_sgpr_count 2
		.amdhsa_user_sgpr_dispatch_ptr 0
		.amdhsa_user_sgpr_queue_ptr 0
		.amdhsa_user_sgpr_kernarg_segment_ptr 1
		.amdhsa_user_sgpr_dispatch_id 0
		.amdhsa_user_sgpr_private_segment_size 0
		.amdhsa_wavefront_size32 1
		.amdhsa_uses_dynamic_stack 0
		.amdhsa_enable_private_segment 0
		.amdhsa_system_sgpr_workgroup_id_x 1
		.amdhsa_system_sgpr_workgroup_id_y 1
		.amdhsa_system_sgpr_workgroup_id_z 1
		.amdhsa_system_sgpr_workgroup_info 0
		.amdhsa_system_vgpr_workitem_id 1
		.amdhsa_next_free_vgpr 59
		.amdhsa_next_free_sgpr 30
		.amdhsa_reserve_vcc 1
		.amdhsa_float_round_mode_32 0
		.amdhsa_float_round_mode_16_64 0
		.amdhsa_float_denorm_mode_32 3
		.amdhsa_float_denorm_mode_16_64 3
		.amdhsa_fp16_overflow 0
		.amdhsa_workgroup_processor_mode 1
		.amdhsa_memory_ordered 1
		.amdhsa_forward_progress 1
		.amdhsa_inst_pref_size 16
		.amdhsa_round_robin_scheduling 0
		.amdhsa_exception_fp_ieee_invalid_op 0
		.amdhsa_exception_fp_denorm_src 0
		.amdhsa_exception_fp_ieee_div_zero 0
		.amdhsa_exception_fp_ieee_overflow 0
		.amdhsa_exception_fp_ieee_underflow 0
		.amdhsa_exception_fp_ieee_inexact 0
		.amdhsa_exception_int_div_zero 0
	.end_amdhsa_kernel
	.section	.text._ZL13mul_mat_vec_qIL9ggml_type6ELi4ELb0ELb0EEvPKvS2_PKi31ggml_cuda_mm_fusion_args_devicePfj15HIP_vector_typeIjLj3EEjjjS8_jjjS8_jjjj,"axG",@progbits,_ZL13mul_mat_vec_qIL9ggml_type6ELi4ELb0ELb0EEvPKvS2_PKi31ggml_cuda_mm_fusion_args_devicePfj15HIP_vector_typeIjLj3EEjjjS8_jjjS8_jjjj,comdat
.Lfunc_end43:
	.size	_ZL13mul_mat_vec_qIL9ggml_type6ELi4ELb0ELb0EEvPKvS2_PKi31ggml_cuda_mm_fusion_args_devicePfj15HIP_vector_typeIjLj3EEjjjS8_jjjS8_jjjj, .Lfunc_end43-_ZL13mul_mat_vec_qIL9ggml_type6ELi4ELb0ELb0EEvPKvS2_PKi31ggml_cuda_mm_fusion_args_devicePfj15HIP_vector_typeIjLj3EEjjjS8_jjjS8_jjjj
                                        ; -- End function
	.set _ZL13mul_mat_vec_qIL9ggml_type6ELi4ELb0ELb0EEvPKvS2_PKi31ggml_cuda_mm_fusion_args_devicePfj15HIP_vector_typeIjLj3EEjjjS8_jjjS8_jjjj.num_vgpr, 59
	.set _ZL13mul_mat_vec_qIL9ggml_type6ELi4ELb0ELb0EEvPKvS2_PKi31ggml_cuda_mm_fusion_args_devicePfj15HIP_vector_typeIjLj3EEjjjS8_jjjS8_jjjj.num_agpr, 0
	.set _ZL13mul_mat_vec_qIL9ggml_type6ELi4ELb0ELb0EEvPKvS2_PKi31ggml_cuda_mm_fusion_args_devicePfj15HIP_vector_typeIjLj3EEjjjS8_jjjS8_jjjj.numbered_sgpr, 30
	.set _ZL13mul_mat_vec_qIL9ggml_type6ELi4ELb0ELb0EEvPKvS2_PKi31ggml_cuda_mm_fusion_args_devicePfj15HIP_vector_typeIjLj3EEjjjS8_jjjS8_jjjj.num_named_barrier, 0
	.set _ZL13mul_mat_vec_qIL9ggml_type6ELi4ELb0ELb0EEvPKvS2_PKi31ggml_cuda_mm_fusion_args_devicePfj15HIP_vector_typeIjLj3EEjjjS8_jjjS8_jjjj.private_seg_size, 0
	.set _ZL13mul_mat_vec_qIL9ggml_type6ELi4ELb0ELb0EEvPKvS2_PKi31ggml_cuda_mm_fusion_args_devicePfj15HIP_vector_typeIjLj3EEjjjS8_jjjS8_jjjj.uses_vcc, 1
	.set _ZL13mul_mat_vec_qIL9ggml_type6ELi4ELb0ELb0EEvPKvS2_PKi31ggml_cuda_mm_fusion_args_devicePfj15HIP_vector_typeIjLj3EEjjjS8_jjjS8_jjjj.uses_flat_scratch, 0
	.set _ZL13mul_mat_vec_qIL9ggml_type6ELi4ELb0ELb0EEvPKvS2_PKi31ggml_cuda_mm_fusion_args_devicePfj15HIP_vector_typeIjLj3EEjjjS8_jjjS8_jjjj.has_dyn_sized_stack, 0
	.set _ZL13mul_mat_vec_qIL9ggml_type6ELi4ELb0ELb0EEvPKvS2_PKi31ggml_cuda_mm_fusion_args_devicePfj15HIP_vector_typeIjLj3EEjjjS8_jjjS8_jjjj.has_recursion, 0
	.set _ZL13mul_mat_vec_qIL9ggml_type6ELi4ELb0ELb0EEvPKvS2_PKi31ggml_cuda_mm_fusion_args_devicePfj15HIP_vector_typeIjLj3EEjjjS8_jjjS8_jjjj.has_indirect_call, 0
	.section	.AMDGPU.csdata,"",@progbits
; Kernel info:
; codeLenInByte = 2032
; TotalNumSgprs: 32
; NumVgprs: 59
; ScratchSize: 0
; MemoryBound: 0
; FloatMode: 240
; IeeeMode: 1
; LDSByteSize: 0 bytes/workgroup (compile time only)
; SGPRBlocks: 0
; VGPRBlocks: 7
; NumSGPRsForWavesPerEU: 32
; NumVGPRsForWavesPerEU: 59
; Occupancy: 16
; WaveLimiterHint : 0
; COMPUTE_PGM_RSRC2:SCRATCH_EN: 0
; COMPUTE_PGM_RSRC2:USER_SGPR: 2
; COMPUTE_PGM_RSRC2:TRAP_HANDLER: 0
; COMPUTE_PGM_RSRC2:TGID_X_EN: 1
; COMPUTE_PGM_RSRC2:TGID_Y_EN: 1
; COMPUTE_PGM_RSRC2:TGID_Z_EN: 1
; COMPUTE_PGM_RSRC2:TIDIG_COMP_CNT: 1
	.section	.text._ZL13mul_mat_vec_qIL9ggml_type6ELi5ELb0ELb0EEvPKvS2_PKi31ggml_cuda_mm_fusion_args_devicePfj15HIP_vector_typeIjLj3EEjjjS8_jjjS8_jjjj,"axG",@progbits,_ZL13mul_mat_vec_qIL9ggml_type6ELi5ELb0ELb0EEvPKvS2_PKi31ggml_cuda_mm_fusion_args_devicePfj15HIP_vector_typeIjLj3EEjjjS8_jjjS8_jjjj,comdat
	.globl	_ZL13mul_mat_vec_qIL9ggml_type6ELi5ELb0ELb0EEvPKvS2_PKi31ggml_cuda_mm_fusion_args_devicePfj15HIP_vector_typeIjLj3EEjjjS8_jjjS8_jjjj ; -- Begin function _ZL13mul_mat_vec_qIL9ggml_type6ELi5ELb0ELb0EEvPKvS2_PKi31ggml_cuda_mm_fusion_args_devicePfj15HIP_vector_typeIjLj3EEjjjS8_jjjS8_jjjj
	.p2align	8
	.type	_ZL13mul_mat_vec_qIL9ggml_type6ELi5ELb0ELb0EEvPKvS2_PKi31ggml_cuda_mm_fusion_args_devicePfj15HIP_vector_typeIjLj3EEjjjS8_jjjS8_jjjj,@function
_ZL13mul_mat_vec_qIL9ggml_type6ELi5ELb0ELb0EEvPKvS2_PKi31ggml_cuda_mm_fusion_args_devicePfj15HIP_vector_typeIjLj3EEjjjS8_jjjS8_jjjj: ; @_ZL13mul_mat_vec_qIL9ggml_type6ELi5ELb0ELb0EEvPKvS2_PKi31ggml_cuda_mm_fusion_args_devicePfj15HIP_vector_typeIjLj3EEjjjS8_jjjS8_jjjj
; %bb.0:
	v_bfe_u32 v6, v0, 10, 10
	s_clause 0x5
	s_load_b32 s2, s[0:1], 0x40
	s_load_b96 s[16:18], s[0:1], 0x80
	s_load_b128 s[4:7], s[0:1], 0x50
	s_load_b32 s23, s[0:1], 0x60
	s_load_b128 s[8:11], s[0:1], 0x68
	s_load_b32 s24, s[0:1], 0x78
	v_dual_mov_b32 v2, 0 :: v_dual_and_b32 v3, 0x3ff, v0
	v_dual_mov_b32 v5, 0 :: v_dual_lshlrev_b32 v0, 5, v6
	v_dual_mov_b32 v4, 0 :: v_dual_mov_b32 v9, 0
	s_and_b32 s19, ttmp7, 0xffff
	s_delay_alu instid0(VALU_DEP_2) | instskip(SKIP_3) | instid1(VALU_DEP_2)
	v_add_nc_u16 v0, v0, v3
	s_lshr_b32 s20, ttmp7, 16
	s_mov_b32 s21, exec_lo
	v_mov_b32_e32 v7, 0
	v_lshrrev_b16 v0, 1, v0
	s_delay_alu instid0(VALU_DEP_1)
	v_and_b32_e32 v8, 0xffff, v0
	s_wait_kmcnt 0x0
	s_lshr_b32 s22, s2, 5
	s_delay_alu instid0(VALU_DEP_1) | instid1(SALU_CYCLE_1)
	v_cmpx_gt_u32_e64 s22, v8
	s_cbranch_execz .LBB44_4
; %bb.1:
	s_load_b128 s[12:15], s[0:1], 0x0
	v_dual_mov_b32 v2, 0 :: v_dual_lshlrev_b32 v1, 1, v3
	s_mul_i32 s2, s17, s20
	s_mov_b32 s3, 0
	s_mul_hi_u32 s7, s7, s19
	s_delay_alu instid0(VALU_DEP_1)
	v_and_b32_e32 v4, 2, v1
	s_mul_hi_u32 s11, s11, s20
	s_mul_u64 s[26:27], s[2:3], 36
	s_mul_i32 s2, s9, s19
	s_add_co_i32 s7, s19, s7
	v_lshlrev_b32_e32 v5, 1, v4
	s_add_co_i32 s9, s20, s11
	s_mul_u64 s[28:29], s[2:3], 36
	s_lshr_b32 s2, s7, s23
	v_and_b32_e32 v1, 1, v3
	v_dual_mov_b32 v9, 0 :: v_dual_and_b32 v0, 0xffff, v0
	s_lshr_b32 s7, s9, s24
	s_mul_i32 s2, s2, s8
	s_wait_kmcnt 0x0
	s_add_nc_u64 s[8:9], s[14:15], s[26:27]
	v_lshlrev_b32_e32 v13, 1, v5
	s_add_nc_u64 s[8:9], s[8:9], s[28:29]
	v_dual_mov_b32 v5, 0 :: v_dual_lshlrev_b32 v10, 2, v4
	v_dual_mov_b32 v7, 0 :: v_dual_lshlrev_b32 v14, 2, v4
	v_mov_b32_e32 v4, 0
	v_lshlrev_b32_e32 v12, 3, v1
	v_mad_co_u64_u32 v[0:1], null, v0, 36, s[8:9]
	s_mul_i32 s4, s4, ttmp9
	v_or_b32_e32 v11, 4, v10
	s_mul_i32 s7, s7, s16
	s_add_co_i32 s2, s2, s4
	s_lshl_b32 s4, s5, 1
	s_add_co_i32 s2, s7, s2
	s_mul_i32 s7, s5, 3
	s_lshl_b32 s11, s5, 2
.LBB44_2:                               ; =>This Inner Loop Header: Depth=1
	v_add_nc_u32_e32 v17, s2, v8
	v_add_co_u32 v15, vcc_lo, v0, v12
	v_add_nc_u32_e32 v21, s5, v8
	s_wait_alu 0xfffd
	v_add_co_ci_u32_e64 v16, null, 0, v1, vcc_lo
	v_mad_co_i64_i32 v[17:18], null, v17, 22, s[12:13]
	v_add_nc_u32_e32 v23, s4, v8
	v_add_nc_u32_e32 v25, s7, v8
	v_mad_co_u64_u32 v[21:22], null, v21, 36, s[8:9]
	v_add_nc_u32_e32 v27, s11, v8
	s_clause 0x2
	global_load_b32 v41, v[0:1], off
	global_load_b64 v[19:20], v[15:16], off offset:4
	global_load_b64 v[15:16], v[15:16], off offset:20
	v_mad_co_u64_u32 v[23:24], null, v23, 36, s[8:9]
	global_load_b32 v42, v[17:18], off offset:2
	v_mad_co_u64_u32 v[25:26], null, v25, 36, s[8:9]
	v_mad_co_u64_u32 v[27:28], null, v27, 36, s[8:9]
	v_add_co_u32 v29, vcc_lo, v17, v13
	s_wait_alu 0xfffd
	v_add_co_ci_u32_e64 v30, null, 0, v18, vcc_lo
	v_add_co_u32 v31, vcc_lo, v21, v14
	s_wait_alu 0xfffd
	v_add_co_ci_u32_e64 v32, null, 0, v22, vcc_lo
	;; [unrolled: 3-line block ×5, first 2 shown]
	global_load_b64 v[29:30], v[29:30], off offset:6
	s_clause 0xb
	global_load_b64 v[39:40], v[31:32], off offset:4
	global_load_b64 v[31:32], v[31:32], off offset:20
	global_load_b32 v43, v[23:24], off
	global_load_b32 v44, v[21:22], off
	global_load_b64 v[21:22], v[33:34], off offset:4
	global_load_b64 v[23:24], v[33:34], off offset:20
	;; [unrolled: 1-line block ×3, first 2 shown]
	global_load_b32 v45, v[25:26], off
	global_load_b64 v[25:26], v[35:36], off offset:20
	global_load_b64 v[35:36], v[37:38], off offset:4
	;; [unrolled: 1-line block ×3, first 2 shown]
	global_load_b32 v27, v[27:28], off
	global_load_u16 v17, v[17:18], off
	v_add_co_u32 v0, vcc_lo, 0x240, v0
	s_wait_alu 0xfffd
	v_add_co_ci_u32_e64 v1, null, 0, v1, vcc_lo
	s_wait_loadcnt 0x11
	v_lshrrev_b32_e32 v18, 16, v41
	s_wait_loadcnt 0xe
	v_ashrrev_i32_e32 v28, v10, v42
	v_ashrrev_i32_e32 v42, v11, v42
	s_delay_alu instid0(VALU_DEP_3) | instskip(NEXT) | instid1(VALU_DEP_3)
	v_cvt_f32_f16_e32 v18, v18
	v_lshlrev_b32_e32 v47, 4, v28
	v_lshlrev_b32_e32 v48, 11, v28
	;; [unrolled: 1-line block ×4, first 2 shown]
	v_lshrrev_b32_e32 v51, 12, v28
	v_lshrrev_b32_e32 v52, 5, v28
	v_lshlrev_b32_e32 v53, 2, v28
	s_wait_loadcnt 0xd
	v_and_b32_e32 v46, 0xf0f0f0f, v29
	v_and_b32_e32 v47, 16, v47
	;; [unrolled: 1-line block ×3, first 2 shown]
	v_lshrrev_b32_e32 v29, 4, v29
	v_lshlrev_b32_e32 v28, 9, v28
	v_lshlrev_b32_e32 v55, 4, v42
	;; [unrolled: 1-line block ×3, first 2 shown]
	v_and_b32_e32 v49, 0x100000, v49
	s_wait_loadcnt 0x5
	v_lshrrev_b32_e32 v64, 16, v45
	v_and_b32_e32 v50, 0x10000000, v50
	v_and_b32_e32 v51, 16, v51
	;; [unrolled: 1-line block ×4, first 2 shown]
	v_cvt_f32_f16_e32 v64, v64
	v_lshlrev_b32_e32 v56, 11, v42
	v_or3_b32 v46, v47, v46, v48
	v_lshlrev_b32_e32 v58, 25, v42
	v_lshrrev_b32_e32 v59, 12, v42
	v_lshrrev_b32_e32 v60, 5, v42
	v_lshlrev_b32_e32 v61, 2, v42
	v_and_b32_e32 v29, 0xf0f0f0f, v29
	v_and_b32_e32 v28, 0x10000000, v28
	v_and_b32_e32 v55, 16, v55
	v_and_b32_e32 v56, 0x1000, v56
	v_and_b32_e32 v57, 0x100000, v57
	v_or3_b32 v47, v52, v51, v53
	v_or3_b32 v46, v46, v49, v50
	v_and_b32_e32 v54, 0xf0f0f0f, v30
	v_lshrrev_b32_e32 v30, 4, v30
	v_lshlrev_b32_e32 v42, 9, v42
	v_and_b32_e32 v58, 0x10000000, v58
	v_and_b32_e32 v59, 16, v59
	;; [unrolled: 1-line block ×4, first 2 shown]
	v_or3_b32 v48, v56, v55, v57
	v_or3_b32 v28, v47, v28, v29
	v_dot4_i32_iu8 v19, v46, v19, 0 neg_lo:[1,1,0]
	v_dot4_i32_iu8 v39, v46, v39, 0 neg_lo:[1,1,0]
	;; [unrolled: 1-line block ×4, first 2 shown]
	s_wait_loadcnt 0x3
	v_dot4_i32_iu8 v35, v46, v35, 0 neg_lo:[1,1,0]
	v_and_b32_e32 v30, 0xf0f0f0f, v30
	v_and_b32_e32 v42, 0x10000000, v42
	v_or3_b32 v51, v60, v59, v61
	v_or3_b32 v29, v48, v58, v54
	v_dot4_i32_iu8 v15, v28, v15, v19 neg_lo:[1,1,0]
	v_dot4_i32_iu8 v19, v28, v31, v39 neg_lo:[1,1,0]
	;; [unrolled: 1-line block ×4, first 2 shown]
	s_wait_loadcnt 0x2
	v_dot4_i32_iu8 v25, v28, v37, v35 neg_lo:[1,1,0]
	v_lshrrev_b32_e32 v62, 16, v44
	v_lshrrev_b32_e32 v63, 16, v43
	s_wait_loadcnt 0x1
	v_lshrrev_b32_e32 v65, 16, v27
	v_or3_b32 v30, v51, v42, v30
	v_dot4_i32_iu8 v15, v29, v20, v15 neg_lo:[1,1,0]
	v_dot4_i32_iu8 v19, v29, v40, v19 neg_lo:[1,1,0]
	;; [unrolled: 1-line block ×5, first 2 shown]
	v_cvt_f32_f16_e32 v62, v62
	v_cvt_f32_f16_e32 v63, v63
	;; [unrolled: 1-line block ×3, first 2 shown]
	v_dot4_i32_iu8 v15, v30, v16, v15 neg_lo:[1,1,0]
	v_dot4_i32_iu8 v16, v30, v32, v19 neg_lo:[1,1,0]
	;; [unrolled: 1-line block ×5, first 2 shown]
	v_dual_mul_f32 v53, 0x41000000, v63 :: v_dual_add_nc_u32 v8, 16, v8
	v_mul_f32_e32 v18, 0x41000000, v18
	v_dual_mul_f32 v52, 0x41000000, v62 :: v_dual_mul_f32 v55, 0x41000000, v64
	v_mul_f32_e32 v56, 0x41000000, v65
	v_cvt_f32_i32_e32 v15, v15
	v_cvt_f32_i32_e32 v16, v16
	;; [unrolled: 1-line block ×5, first 2 shown]
	v_fma_mix_f32 v15, v41, v15, -v18 op_sel_hi:[1,0,0]
	v_fma_mix_f32 v16, v44, v16, -v52 op_sel_hi:[1,0,0]
	;; [unrolled: 1-line block ×5, first 2 shown]
	v_cmp_le_u32_e32 vcc_lo, s22, v8
	s_wait_loadcnt 0x0
	v_fma_mix_f32 v9, v15, v17, v9 op_sel_hi:[0,1,0]
	v_fma_mix_f32 v7, v16, v17, v7 op_sel_hi:[0,1,0]
	;; [unrolled: 1-line block ×5, first 2 shown]
	s_or_b32 s3, vcc_lo, s3
	s_wait_alu 0xfffe
	s_and_not1_b32 exec_lo, exec_lo, s3
	s_cbranch_execnz .LBB44_2
; %bb.3:
	s_or_b32 exec_lo, exec_lo, s3
.LBB44_4:
	s_delay_alu instid0(SALU_CYCLE_1)
	s_or_b32 exec_lo, exec_lo, s21
	s_mov_b32 s3, 0
	; wave barrier
	global_inv scope:SCOPE_SE
	s_mov_b32 s2, exec_lo
	v_cmpx_eq_u32_e32 0, v6
	s_cbranch_execz .LBB44_15
; %bb.5:
	v_mbcnt_lo_u32_b32 v10, -1, 0
	s_load_b64 s[0:1], s[0:1], 0x38
	s_mul_i32 s2, s10, s19
	s_mul_i32 s4, s18, s20
	s_wait_alu 0xfffe
	s_add_co_i32 s2, s2, ttmp9
	v_xor_b32_e32 v0, 16, v10
	v_xor_b32_e32 v1, 8, v10
	s_wait_alu 0xfffe
	s_add_co_i32 s2, s2, s4
	s_wait_alu 0xfffe
	s_lshl_b64 s[2:3], s[2:3], 2
	v_cmp_gt_i32_e32 vcc_lo, 32, v0
	s_wait_alu 0xfffd
	v_cndmask_b32_e32 v0, v10, v0, vcc_lo
	v_cmp_gt_i32_e32 vcc_lo, 32, v1
	s_wait_alu 0xfffd
	v_cndmask_b32_e32 v1, v10, v1, vcc_lo
	s_wait_kmcnt 0x0
	s_wait_alu 0xfffe
	s_add_nc_u64 s[0:1], s[0:1], s[2:3]
	s_delay_alu instid0(VALU_DEP_1)
	v_lshlrev_b32_e32 v1, 2, v1
	v_lshlrev_b32_e32 v0, 2, v0
	ds_bpermute_b32 v6, v0, v9
	s_wait_dscnt 0x0
	v_add_f32_e32 v8, v9, v6
	v_xor_b32_e32 v6, 4, v10
	ds_bpermute_b32 v9, v1, v8
	v_cmp_gt_i32_e32 vcc_lo, 32, v6
	s_wait_dscnt 0x0
	s_wait_alu 0xfffd
	v_dual_add_f32 v9, v8, v9 :: v_dual_cndmask_b32 v6, v10, v6
	v_xor_b32_e32 v8, 2, v10
	s_delay_alu instid0(VALU_DEP_2) | instskip(NEXT) | instid1(VALU_DEP_2)
	v_lshlrev_b32_e32 v6, 2, v6
	v_cmp_gt_i32_e32 vcc_lo, 32, v8
	ds_bpermute_b32 v11, v6, v9
	s_wait_dscnt 0x0
	s_wait_alu 0xfffd
	v_dual_cndmask_b32 v8, v10, v8 :: v_dual_add_f32 v11, v9, v11
	v_xor_b32_e32 v9, 1, v10
	s_delay_alu instid0(VALU_DEP_1) | instskip(SKIP_3) | instid1(VALU_DEP_2)
	v_cmp_gt_i32_e32 vcc_lo, 32, v9
	s_wait_alu 0xfffd
	v_cndmask_b32_e32 v9, v10, v9, vcc_lo
	v_cmp_eq_u32_e32 vcc_lo, 0, v3
	v_lshlrev_b32_e32 v9, 2, v9
	v_lshlrev_b32_e32 v8, 2, v8
	ds_bpermute_b32 v12, v8, v11
	s_wait_dscnt 0x0
	v_add_f32_e32 v10, v11, v12
	ds_bpermute_b32 v11, v9, v10
	s_and_saveexec_b32 s2, vcc_lo
	s_cbranch_execz .LBB44_7
; %bb.6:
	s_wait_dscnt 0x0
	v_dual_add_f32 v3, v10, v11 :: v_dual_mov_b32 v10, 0
	global_store_b32 v10, v3, s[0:1]
.LBB44_7:
	s_wait_alu 0xfffe
	s_or_b32 exec_lo, exec_lo, s2
	ds_bpermute_b32 v3, v0, v7
	s_wait_dscnt 0x0
	v_add_f32_e32 v3, v7, v3
	ds_bpermute_b32 v7, v1, v3
	s_wait_dscnt 0x0
	v_add_f32_e32 v3, v3, v7
	;; [unrolled: 3-line block ×4, first 2 shown]
	ds_bpermute_b32 v7, v9, v3
	s_and_saveexec_b32 s2, vcc_lo
	s_cbranch_execz .LBB44_9
; %bb.8:
	s_mov_b32 s7, 0
	s_wait_dscnt 0x0
	v_add_f32_e32 v3, v3, v7
	v_mov_b32_e32 v7, 0
	s_wait_alu 0xfffe
	s_lshl_b64 s[4:5], s[6:7], 2
	s_wait_alu 0xfffe
	s_add_nc_u64 s[4:5], s[0:1], s[4:5]
	global_store_b32 v7, v3, s[4:5]
.LBB44_9:
	s_wait_alu 0xfffe
	s_or_b32 exec_lo, exec_lo, s2
	ds_bpermute_b32 v3, v0, v5
	s_wait_dscnt 0x0
	v_add_f32_e32 v3, v5, v3
	ds_bpermute_b32 v5, v1, v3
	s_wait_dscnt 0x0
	v_add_f32_e32 v3, v3, v5
	;; [unrolled: 3-line block ×4, first 2 shown]
	ds_bpermute_b32 v5, v9, v3
	s_and_saveexec_b32 s2, vcc_lo
	s_cbranch_execz .LBB44_11
; %bb.10:
	s_lshl_b32 s4, s6, 1
	s_mov_b32 s5, 0
	s_wait_dscnt 0x0
	v_add_f32_e32 v3, v3, v5
	v_mov_b32_e32 v5, 0
	s_wait_alu 0xfffe
	s_lshl_b64 s[4:5], s[4:5], 2
	s_wait_alu 0xfffe
	s_add_nc_u64 s[4:5], s[0:1], s[4:5]
	global_store_b32 v5, v3, s[4:5]
.LBB44_11:
	s_wait_alu 0xfffe
	s_or_b32 exec_lo, exec_lo, s2
	ds_bpermute_b32 v3, v0, v4
	s_wait_dscnt 0x0
	v_add_f32_e32 v3, v4, v3
	ds_bpermute_b32 v4, v1, v3
	s_wait_dscnt 0x0
	v_add_f32_e32 v3, v3, v4
	ds_bpermute_b32 v4, v6, v3
	s_wait_dscnt 0x0
	v_add_f32_e32 v3, v3, v4
	ds_bpermute_b32 v4, v8, v3
	s_wait_dscnt 0x0
	v_add_f32_e32 v3, v3, v4
	ds_bpermute_b32 v4, v9, v3
	s_and_saveexec_b32 s2, vcc_lo
	s_cbranch_execz .LBB44_13
; %bb.12:
	s_mul_i32 s4, s6, 3
	s_mov_b32 s5, 0
	s_wait_dscnt 0x0
	v_dual_add_f32 v3, v3, v4 :: v_dual_mov_b32 v4, 0
	s_wait_alu 0xfffe
	s_lshl_b64 s[4:5], s[4:5], 2
	s_wait_alu 0xfffe
	s_add_nc_u64 s[4:5], s[0:1], s[4:5]
	global_store_b32 v4, v3, s[4:5]
.LBB44_13:
	s_wait_alu 0xfffe
	s_or_b32 exec_lo, exec_lo, s2
	ds_bpermute_b32 v0, v0, v2
	s_wait_dscnt 0x0
	v_add_f32_e32 v0, v2, v0
	ds_bpermute_b32 v1, v1, v0
	s_wait_dscnt 0x0
	v_add_f32_e32 v0, v0, v1
	;; [unrolled: 3-line block ×4, first 2 shown]
	ds_bpermute_b32 v1, v9, v0
	s_and_b32 exec_lo, exec_lo, vcc_lo
	s_cbranch_execz .LBB44_15
; %bb.14:
	s_lshl_b32 s2, s6, 2
	s_mov_b32 s3, 0
	s_wait_dscnt 0x0
	v_dual_add_f32 v0, v0, v1 :: v_dual_mov_b32 v1, 0
	s_wait_alu 0xfffe
	s_lshl_b64 s[2:3], s[2:3], 2
	s_wait_alu 0xfffe
	s_add_nc_u64 s[0:1], s[0:1], s[2:3]
	global_store_b32 v1, v0, s[0:1]
.LBB44_15:
	s_endpgm
	.section	.rodata,"a",@progbits
	.p2align	6, 0x0
	.amdhsa_kernel _ZL13mul_mat_vec_qIL9ggml_type6ELi5ELb0ELb0EEvPKvS2_PKi31ggml_cuda_mm_fusion_args_devicePfj15HIP_vector_typeIjLj3EEjjjS8_jjjS8_jjjj
		.amdhsa_group_segment_fixed_size 0
		.amdhsa_private_segment_fixed_size 0
		.amdhsa_kernarg_size 144
		.amdhsa_user_sgpr_count 2
		.amdhsa_user_sgpr_dispatch_ptr 0
		.amdhsa_user_sgpr_queue_ptr 0
		.amdhsa_user_sgpr_kernarg_segment_ptr 1
		.amdhsa_user_sgpr_dispatch_id 0
		.amdhsa_user_sgpr_private_segment_size 0
		.amdhsa_wavefront_size32 1
		.amdhsa_uses_dynamic_stack 0
		.amdhsa_enable_private_segment 0
		.amdhsa_system_sgpr_workgroup_id_x 1
		.amdhsa_system_sgpr_workgroup_id_y 1
		.amdhsa_system_sgpr_workgroup_id_z 1
		.amdhsa_system_sgpr_workgroup_info 0
		.amdhsa_system_vgpr_workitem_id 1
		.amdhsa_next_free_vgpr 66
		.amdhsa_next_free_sgpr 30
		.amdhsa_reserve_vcc 1
		.amdhsa_float_round_mode_32 0
		.amdhsa_float_round_mode_16_64 0
		.amdhsa_float_denorm_mode_32 3
		.amdhsa_float_denorm_mode_16_64 3
		.amdhsa_fp16_overflow 0
		.amdhsa_workgroup_processor_mode 1
		.amdhsa_memory_ordered 1
		.amdhsa_forward_progress 1
		.amdhsa_inst_pref_size 19
		.amdhsa_round_robin_scheduling 0
		.amdhsa_exception_fp_ieee_invalid_op 0
		.amdhsa_exception_fp_denorm_src 0
		.amdhsa_exception_fp_ieee_div_zero 0
		.amdhsa_exception_fp_ieee_overflow 0
		.amdhsa_exception_fp_ieee_underflow 0
		.amdhsa_exception_fp_ieee_inexact 0
		.amdhsa_exception_int_div_zero 0
	.end_amdhsa_kernel
	.section	.text._ZL13mul_mat_vec_qIL9ggml_type6ELi5ELb0ELb0EEvPKvS2_PKi31ggml_cuda_mm_fusion_args_devicePfj15HIP_vector_typeIjLj3EEjjjS8_jjjS8_jjjj,"axG",@progbits,_ZL13mul_mat_vec_qIL9ggml_type6ELi5ELb0ELb0EEvPKvS2_PKi31ggml_cuda_mm_fusion_args_devicePfj15HIP_vector_typeIjLj3EEjjjS8_jjjS8_jjjj,comdat
.Lfunc_end44:
	.size	_ZL13mul_mat_vec_qIL9ggml_type6ELi5ELb0ELb0EEvPKvS2_PKi31ggml_cuda_mm_fusion_args_devicePfj15HIP_vector_typeIjLj3EEjjjS8_jjjS8_jjjj, .Lfunc_end44-_ZL13mul_mat_vec_qIL9ggml_type6ELi5ELb0ELb0EEvPKvS2_PKi31ggml_cuda_mm_fusion_args_devicePfj15HIP_vector_typeIjLj3EEjjjS8_jjjS8_jjjj
                                        ; -- End function
	.set _ZL13mul_mat_vec_qIL9ggml_type6ELi5ELb0ELb0EEvPKvS2_PKi31ggml_cuda_mm_fusion_args_devicePfj15HIP_vector_typeIjLj3EEjjjS8_jjjS8_jjjj.num_vgpr, 66
	.set _ZL13mul_mat_vec_qIL9ggml_type6ELi5ELb0ELb0EEvPKvS2_PKi31ggml_cuda_mm_fusion_args_devicePfj15HIP_vector_typeIjLj3EEjjjS8_jjjS8_jjjj.num_agpr, 0
	.set _ZL13mul_mat_vec_qIL9ggml_type6ELi5ELb0ELb0EEvPKvS2_PKi31ggml_cuda_mm_fusion_args_devicePfj15HIP_vector_typeIjLj3EEjjjS8_jjjS8_jjjj.numbered_sgpr, 30
	.set _ZL13mul_mat_vec_qIL9ggml_type6ELi5ELb0ELb0EEvPKvS2_PKi31ggml_cuda_mm_fusion_args_devicePfj15HIP_vector_typeIjLj3EEjjjS8_jjjS8_jjjj.num_named_barrier, 0
	.set _ZL13mul_mat_vec_qIL9ggml_type6ELi5ELb0ELb0EEvPKvS2_PKi31ggml_cuda_mm_fusion_args_devicePfj15HIP_vector_typeIjLj3EEjjjS8_jjjS8_jjjj.private_seg_size, 0
	.set _ZL13mul_mat_vec_qIL9ggml_type6ELi5ELb0ELb0EEvPKvS2_PKi31ggml_cuda_mm_fusion_args_devicePfj15HIP_vector_typeIjLj3EEjjjS8_jjjS8_jjjj.uses_vcc, 1
	.set _ZL13mul_mat_vec_qIL9ggml_type6ELi5ELb0ELb0EEvPKvS2_PKi31ggml_cuda_mm_fusion_args_devicePfj15HIP_vector_typeIjLj3EEjjjS8_jjjS8_jjjj.uses_flat_scratch, 0
	.set _ZL13mul_mat_vec_qIL9ggml_type6ELi5ELb0ELb0EEvPKvS2_PKi31ggml_cuda_mm_fusion_args_devicePfj15HIP_vector_typeIjLj3EEjjjS8_jjjS8_jjjj.has_dyn_sized_stack, 0
	.set _ZL13mul_mat_vec_qIL9ggml_type6ELi5ELb0ELb0EEvPKvS2_PKi31ggml_cuda_mm_fusion_args_devicePfj15HIP_vector_typeIjLj3EEjjjS8_jjjS8_jjjj.has_recursion, 0
	.set _ZL13mul_mat_vec_qIL9ggml_type6ELi5ELb0ELb0EEvPKvS2_PKi31ggml_cuda_mm_fusion_args_devicePfj15HIP_vector_typeIjLj3EEjjjS8_jjjS8_jjjj.has_indirect_call, 0
	.section	.AMDGPU.csdata,"",@progbits
; Kernel info:
; codeLenInByte = 2312
; TotalNumSgprs: 32
; NumVgprs: 66
; ScratchSize: 0
; MemoryBound: 0
; FloatMode: 240
; IeeeMode: 1
; LDSByteSize: 0 bytes/workgroup (compile time only)
; SGPRBlocks: 0
; VGPRBlocks: 8
; NumSGPRsForWavesPerEU: 32
; NumVGPRsForWavesPerEU: 66
; Occupancy: 16
; WaveLimiterHint : 0
; COMPUTE_PGM_RSRC2:SCRATCH_EN: 0
; COMPUTE_PGM_RSRC2:USER_SGPR: 2
; COMPUTE_PGM_RSRC2:TRAP_HANDLER: 0
; COMPUTE_PGM_RSRC2:TGID_X_EN: 1
; COMPUTE_PGM_RSRC2:TGID_Y_EN: 1
; COMPUTE_PGM_RSRC2:TGID_Z_EN: 1
; COMPUTE_PGM_RSRC2:TIDIG_COMP_CNT: 1
	.section	.text._ZL13mul_mat_vec_qIL9ggml_type6ELi6ELb0ELb0EEvPKvS2_PKi31ggml_cuda_mm_fusion_args_devicePfj15HIP_vector_typeIjLj3EEjjjS8_jjjS8_jjjj,"axG",@progbits,_ZL13mul_mat_vec_qIL9ggml_type6ELi6ELb0ELb0EEvPKvS2_PKi31ggml_cuda_mm_fusion_args_devicePfj15HIP_vector_typeIjLj3EEjjjS8_jjjS8_jjjj,comdat
	.globl	_ZL13mul_mat_vec_qIL9ggml_type6ELi6ELb0ELb0EEvPKvS2_PKi31ggml_cuda_mm_fusion_args_devicePfj15HIP_vector_typeIjLj3EEjjjS8_jjjS8_jjjj ; -- Begin function _ZL13mul_mat_vec_qIL9ggml_type6ELi6ELb0ELb0EEvPKvS2_PKi31ggml_cuda_mm_fusion_args_devicePfj15HIP_vector_typeIjLj3EEjjjS8_jjjS8_jjjj
	.p2align	8
	.type	_ZL13mul_mat_vec_qIL9ggml_type6ELi6ELb0ELb0EEvPKvS2_PKi31ggml_cuda_mm_fusion_args_devicePfj15HIP_vector_typeIjLj3EEjjjS8_jjjS8_jjjj,@function
_ZL13mul_mat_vec_qIL9ggml_type6ELi6ELb0ELb0EEvPKvS2_PKi31ggml_cuda_mm_fusion_args_devicePfj15HIP_vector_typeIjLj3EEjjjS8_jjjS8_jjjj: ; @_ZL13mul_mat_vec_qIL9ggml_type6ELi6ELb0ELb0EEvPKvS2_PKi31ggml_cuda_mm_fusion_args_devicePfj15HIP_vector_typeIjLj3EEjjjS8_jjjS8_jjjj
; %bb.0:
	v_bfe_u32 v7, v0, 10, 10
	s_clause 0x5
	s_load_b32 s2, s[0:1], 0x40
	s_load_b96 s[16:18], s[0:1], 0x80
	s_load_b128 s[4:7], s[0:1], 0x50
	s_load_b32 s23, s[0:1], 0x60
	s_load_b128 s[8:11], s[0:1], 0x68
	s_load_b32 s24, s[0:1], 0x78
	v_dual_mov_b32 v3, 0 :: v_dual_and_b32 v4, 0x3ff, v0
	v_dual_mov_b32 v5, 0 :: v_dual_lshlrev_b32 v0, 5, v7
	v_mov_b32_e32 v6, 0
	v_mov_b32_e32 v8, 0
	;; [unrolled: 1-line block ×3, first 2 shown]
	s_delay_alu instid0(VALU_DEP_4) | instskip(SKIP_3) | instid1(VALU_DEP_1)
	v_add_nc_u16 v0, v0, v4
	s_and_b32 s19, ttmp7, 0xffff
	s_lshr_b32 s20, ttmp7, 16
	s_mov_b32 s21, exec_lo
	v_lshrrev_b16 v0, 1, v0
	s_delay_alu instid0(VALU_DEP_1)
	v_dual_mov_b32 v2, 0 :: v_dual_and_b32 v9, 0xffff, v0
	s_wait_kmcnt 0x0
	s_lshr_b32 s22, s2, 5
	s_delay_alu instid0(VALU_DEP_1) | instid1(SALU_CYCLE_1)
	v_cmpx_gt_u32_e64 s22, v9
	s_cbranch_execz .LBB45_4
; %bb.1:
	s_load_b128 s[12:15], s[0:1], 0x0
	v_dual_mov_b32 v2, 0 :: v_dual_lshlrev_b32 v1, 1, v4
	s_mul_i32 s2, s17, s20
	s_mov_b32 s3, 0
	s_mul_hi_u32 s7, s7, s19
	s_mul_hi_u32 s11, s11, s20
	s_mul_u64 s[26:27], s[2:3], 36
	s_mul_i32 s2, s9, s19
	s_add_co_i32 s7, s19, s7
	v_dual_mov_b32 v6, 0 :: v_dual_and_b32 v3, 2, v1
	s_add_co_i32 s9, s20, s11
	s_mul_u64 s[28:29], s[2:3], 36
	s_lshr_b32 s2, s7, s23
	v_dual_mov_b32 v8, 0 :: v_dual_and_b32 v1, 1, v4
	v_and_b32_e32 v0, 0xffff, v0
	s_lshr_b32 s7, s9, s24
	s_mul_i32 s2, s2, s8
	s_wait_kmcnt 0x0
	s_add_nc_u64 s[8:9], s[14:15], s[26:27]
	v_dual_mov_b32 v10, 0 :: v_dual_lshlrev_b32 v11, 2, v3
	s_add_nc_u64 s[8:9], s[8:9], s[28:29]
	v_lshlrev_b32_e32 v5, 1, v3
	v_lshlrev_b32_e32 v13, 3, v1
	;; [unrolled: 1-line block ×3, first 2 shown]
	v_mov_b32_e32 v3, 0
	v_mad_co_u64_u32 v[0:1], null, v0, 36, s[8:9]
	s_mul_i32 s4, s4, ttmp9
	v_or_b32_e32 v12, 4, v11
	v_dual_mov_b32 v5, 0 :: v_dual_lshlrev_b32 v14, 1, v5
	s_mul_i32 s7, s7, s16
	s_add_co_i32 s2, s2, s4
	s_lshl_b32 s4, s5, 1
	s_add_co_i32 s2, s7, s2
	s_mul_i32 s7, s5, 3
	s_lshl_b32 s11, s5, 2
	s_mul_i32 s14, s5, 5
.LBB45_2:                               ; =>This Inner Loop Header: Depth=1
	v_add_nc_u32_e32 v18, s2, v9
	v_add_nc_u32_e32 v22, s5, v9
	;; [unrolled: 1-line block ×5, first 2 shown]
	v_mad_co_i64_i32 v[18:19], null, v18, 22, s[12:13]
	v_mad_co_u64_u32 v[22:23], null, v22, 36, s[8:9]
	v_mad_co_u64_u32 v[24:25], null, v24, 36, s[8:9]
	v_add_co_u32 v16, vcc_lo, v0, v13
	v_add_nc_u32_e32 v30, s14, v9
	v_mad_co_u64_u32 v[26:27], null, v26, 36, s[8:9]
	s_wait_alu 0xfffd
	v_add_co_ci_u32_e64 v17, null, 0, v1, vcc_lo
	v_mad_co_u64_u32 v[28:29], null, v28, 36, s[8:9]
	v_add_co_u32 v32, vcc_lo, v18, v14
	v_mad_co_u64_u32 v[30:31], null, v30, 36, s[8:9]
	s_wait_alu 0xfffd
	v_add_co_ci_u32_e64 v33, null, 0, v19, vcc_lo
	v_add_co_u32 v34, vcc_lo, v22, v15
	s_clause 0x2
	global_load_b32 v46, v[0:1], off
	global_load_b64 v[20:21], v[16:17], off offset:4
	global_load_b64 v[16:17], v[16:17], off offset:20
	global_load_b32 v47, v[18:19], off offset:2
	s_wait_alu 0xfffd
	v_add_co_ci_u32_e64 v35, null, 0, v23, vcc_lo
	v_add_co_u32 v36, vcc_lo, v24, v15
	s_wait_alu 0xfffd
	v_add_co_ci_u32_e64 v37, null, 0, v25, vcc_lo
	v_add_co_u32 v38, vcc_lo, v26, v15
	;; [unrolled: 3-line block ×4, first 2 shown]
	s_wait_alu 0xfffd
	v_add_co_ci_u32_e64 v43, null, 0, v31, vcc_lo
	global_load_b64 v[32:33], v[32:33], off offset:6
	s_clause 0xe
	global_load_b64 v[44:45], v[34:35], off offset:4
	global_load_b64 v[34:35], v[34:35], off offset:20
	global_load_b32 v48, v[24:25], off
	global_load_b32 v49, v[22:23], off
	global_load_b64 v[22:23], v[36:37], off offset:4
	global_load_b64 v[24:25], v[36:37], off offset:20
	;; [unrolled: 1-line block ×3, first 2 shown]
	global_load_b32 v50, v[26:27], off
	global_load_b64 v[26:27], v[38:39], off offset:20
	global_load_b64 v[38:39], v[40:41], off offset:4
	;; [unrolled: 1-line block ×3, first 2 shown]
	global_load_b32 v51, v[28:29], off
	global_load_b64 v[28:29], v[42:43], off offset:4
	global_load_b64 v[42:43], v[42:43], off offset:20
	global_load_b32 v30, v[30:31], off
	global_load_u16 v18, v[18:19], off
	v_add_co_u32 v0, vcc_lo, 0x240, v0
	s_wait_alu 0xfffd
	v_add_co_ci_u32_e64 v1, null, 0, v1, vcc_lo
	s_wait_loadcnt 0x14
	v_lshrrev_b32_e32 v19, 16, v46
	s_wait_loadcnt 0x11
	v_ashrrev_i32_e32 v31, v11, v47
	v_ashrrev_i32_e32 v47, v12, v47
	s_wait_loadcnt 0x10
	v_and_b32_e32 v52, 0xf0f0f0f, v32
	v_lshrrev_b32_e32 v32, 4, v32
	v_lshlrev_b32_e32 v53, 4, v31
	s_wait_loadcnt 0xd
	v_lshrrev_b32_e32 v69, 16, v48
	v_lshlrev_b32_e32 v55, 18, v31
	v_lshlrev_b32_e32 v56, 25, v31
	v_lshrrev_b32_e32 v57, 12, v31
	v_lshrrev_b32_e32 v58, 5, v31
	v_cvt_f32_f16_e32 v69, v69
	v_lshlrev_b32_e32 v54, 11, v31
	v_lshlrev_b32_e32 v59, 2, v31
	;; [unrolled: 1-line block ×3, first 2 shown]
	s_wait_loadcnt 0x4
	v_lshrrev_b32_e32 v71, 16, v51
	v_lshlrev_b32_e32 v61, 4, v47
	v_and_b32_e32 v54, 0x1000, v54
	v_lshlrev_b32_e32 v62, 11, v47
	v_lshlrev_b32_e32 v63, 18, v47
	v_cvt_f32_f16_e32 v71, v71
	v_and_b32_e32 v53, 16, v53
	v_and_b32_e32 v55, 0x100000, v55
	;; [unrolled: 1-line block ×6, first 2 shown]
	v_or3_b32 v52, v53, v52, v54
	v_lshlrev_b32_e32 v64, 25, v47
	v_lshrrev_b32_e32 v65, 12, v47
	v_lshrrev_b32_e32 v66, 5, v47
	v_lshlrev_b32_e32 v67, 2, v47
	v_and_b32_e32 v32, 0xf0f0f0f, v32
	v_and_b32_e32 v31, 0x10000000, v31
	;; [unrolled: 1-line block ×5, first 2 shown]
	v_or3_b32 v53, v58, v57, v59
	v_or3_b32 v52, v52, v55, v56
	v_and_b32_e32 v60, 0xf0f0f0f, v33
	v_lshrrev_b32_e32 v33, 4, v33
	v_lshlrev_b32_e32 v47, 9, v47
	v_and_b32_e32 v64, 0x10000000, v64
	v_and_b32_e32 v65, 16, v65
	;; [unrolled: 1-line block ×4, first 2 shown]
	v_or3_b32 v54, v62, v61, v63
	v_or3_b32 v31, v53, v31, v32
	v_dot4_i32_iu8 v20, v52, v20, 0 neg_lo:[1,1,0]
	v_dot4_i32_iu8 v44, v52, v44, 0 neg_lo:[1,1,0]
	;; [unrolled: 1-line block ×5, first 2 shown]
	s_wait_loadcnt 0x3
	v_dot4_i32_iu8 v28, v52, v28, 0 neg_lo:[1,1,0]
	v_and_b32_e32 v33, 0xf0f0f0f, v33
	v_and_b32_e32 v47, 0x10000000, v47
	v_or3_b32 v57, v66, v65, v67
	v_or3_b32 v32, v54, v64, v60
	v_dot4_i32_iu8 v16, v31, v16, v20 neg_lo:[1,1,0]
	v_dot4_i32_iu8 v20, v31, v34, v44 neg_lo:[1,1,0]
	;; [unrolled: 1-line block ×5, first 2 shown]
	s_wait_loadcnt 0x2
	v_dot4_i32_iu8 v28, v31, v42, v28 neg_lo:[1,1,0]
	v_lshrrev_b32_e32 v68, 16, v49
	v_lshrrev_b32_e32 v70, 16, v50
	s_wait_loadcnt 0x1
	v_lshrrev_b32_e32 v72, 16, v30
	v_or3_b32 v33, v57, v47, v33
	v_dot4_i32_iu8 v16, v32, v21, v16 neg_lo:[1,1,0]
	v_dot4_i32_iu8 v20, v32, v45, v20 neg_lo:[1,1,0]
	;; [unrolled: 1-line block ×6, first 2 shown]
	v_cvt_f32_f16_e32 v19, v19
	v_cvt_f32_f16_e32 v68, v68
	;; [unrolled: 1-line block ×4, first 2 shown]
	v_dot4_i32_iu8 v16, v33, v17, v16 neg_lo:[1,1,0]
	v_dot4_i32_iu8 v17, v33, v35, v20 neg_lo:[1,1,0]
	;; [unrolled: 1-line block ×6, first 2 shown]
	v_dual_mul_f32 v58, 0x41000000, v68 :: v_dual_add_nc_u32 v9, 16, v9
	v_mul_f32_e32 v19, 0x41000000, v19
	v_mul_f32_e32 v59, 0x41000000, v69
	v_dual_mul_f32 v61, 0x41000000, v70 :: v_dual_mul_f32 v62, 0x41000000, v71
	v_mul_f32_e32 v63, 0x41000000, v72
	v_cvt_f32_i32_e32 v16, v16
	v_cvt_f32_i32_e32 v17, v17
	;; [unrolled: 1-line block ×6, first 2 shown]
	v_fma_mix_f32 v16, v46, v16, -v19 op_sel_hi:[1,0,0]
	v_fma_mix_f32 v17, v49, v17, -v58 op_sel_hi:[1,0,0]
	;; [unrolled: 1-line block ×6, first 2 shown]
	v_cmp_le_u32_e32 vcc_lo, s22, v9
	s_wait_loadcnt 0x0
	v_fma_mix_f32 v10, v16, v18, v10 op_sel_hi:[0,1,0]
	v_fma_mix_f32 v8, v17, v18, v8 op_sel_hi:[0,1,0]
	;; [unrolled: 1-line block ×6, first 2 shown]
	s_or_b32 s3, vcc_lo, s3
	s_wait_alu 0xfffe
	s_and_not1_b32 exec_lo, exec_lo, s3
	s_cbranch_execnz .LBB45_2
; %bb.3:
	s_or_b32 exec_lo, exec_lo, s3
.LBB45_4:
	s_delay_alu instid0(SALU_CYCLE_1)
	s_or_b32 exec_lo, exec_lo, s21
	s_mov_b32 s3, 0
	; wave barrier
	global_inv scope:SCOPE_SE
	s_mov_b32 s2, exec_lo
	v_cmpx_eq_u32_e32 0, v7
	s_cbranch_execz .LBB45_17
; %bb.5:
	v_mbcnt_lo_u32_b32 v11, -1, 0
	s_load_b64 s[0:1], s[0:1], 0x38
	s_mul_i32 s2, s10, s19
	s_mul_i32 s4, s18, s20
	s_wait_alu 0xfffe
	s_add_co_i32 s2, s2, ttmp9
	v_xor_b32_e32 v0, 16, v11
	v_xor_b32_e32 v1, 8, v11
	s_wait_alu 0xfffe
	s_add_co_i32 s2, s2, s4
	s_wait_alu 0xfffe
	s_lshl_b64 s[2:3], s[2:3], 2
	v_cmp_gt_i32_e32 vcc_lo, 32, v0
	s_wait_alu 0xfffd
	v_cndmask_b32_e32 v0, v11, v0, vcc_lo
	v_cmp_gt_i32_e32 vcc_lo, 32, v1
	s_wait_alu 0xfffd
	v_cndmask_b32_e32 v1, v11, v1, vcc_lo
	s_wait_kmcnt 0x0
	s_wait_alu 0xfffe
	s_add_nc_u64 s[0:1], s[0:1], s[2:3]
	s_delay_alu instid0(VALU_DEP_1)
	v_lshlrev_b32_e32 v1, 2, v1
	v_lshlrev_b32_e32 v0, 2, v0
	ds_bpermute_b32 v7, v0, v10
	s_wait_dscnt 0x0
	v_add_f32_e32 v9, v10, v7
	v_xor_b32_e32 v7, 4, v11
	ds_bpermute_b32 v10, v1, v9
	v_cmp_gt_i32_e32 vcc_lo, 32, v7
	s_wait_dscnt 0x0
	s_wait_alu 0xfffd
	v_dual_add_f32 v10, v9, v10 :: v_dual_cndmask_b32 v7, v11, v7
	v_xor_b32_e32 v9, 2, v11
	s_delay_alu instid0(VALU_DEP_2) | instskip(NEXT) | instid1(VALU_DEP_2)
	v_lshlrev_b32_e32 v7, 2, v7
	v_cmp_gt_i32_e32 vcc_lo, 32, v9
	ds_bpermute_b32 v12, v7, v10
	s_wait_dscnt 0x0
	s_wait_alu 0xfffd
	v_dual_cndmask_b32 v9, v11, v9 :: v_dual_add_f32 v12, v10, v12
	v_xor_b32_e32 v10, 1, v11
	s_delay_alu instid0(VALU_DEP_1) | instskip(SKIP_3) | instid1(VALU_DEP_2)
	v_cmp_gt_i32_e32 vcc_lo, 32, v10
	s_wait_alu 0xfffd
	v_cndmask_b32_e32 v10, v11, v10, vcc_lo
	v_cmp_eq_u32_e32 vcc_lo, 0, v4
	v_lshlrev_b32_e32 v10, 2, v10
	v_lshlrev_b32_e32 v9, 2, v9
	ds_bpermute_b32 v13, v9, v12
	s_wait_dscnt 0x0
	v_add_f32_e32 v11, v12, v13
	ds_bpermute_b32 v12, v10, v11
	s_and_saveexec_b32 s2, vcc_lo
	s_cbranch_execz .LBB45_7
; %bb.6:
	s_wait_dscnt 0x0
	v_dual_add_f32 v4, v11, v12 :: v_dual_mov_b32 v11, 0
	global_store_b32 v11, v4, s[0:1]
.LBB45_7:
	s_wait_alu 0xfffe
	s_or_b32 exec_lo, exec_lo, s2
	ds_bpermute_b32 v4, v0, v8
	s_wait_dscnt 0x0
	v_add_f32_e32 v4, v8, v4
	ds_bpermute_b32 v8, v1, v4
	s_wait_dscnt 0x0
	v_add_f32_e32 v4, v4, v8
	;; [unrolled: 3-line block ×4, first 2 shown]
	ds_bpermute_b32 v8, v10, v4
	s_and_saveexec_b32 s2, vcc_lo
	s_cbranch_execz .LBB45_9
; %bb.8:
	s_mov_b32 s7, 0
	s_wait_dscnt 0x0
	v_add_f32_e32 v4, v4, v8
	v_mov_b32_e32 v8, 0
	s_wait_alu 0xfffe
	s_lshl_b64 s[4:5], s[6:7], 2
	s_wait_alu 0xfffe
	s_add_nc_u64 s[4:5], s[0:1], s[4:5]
	global_store_b32 v8, v4, s[4:5]
.LBB45_9:
	s_wait_alu 0xfffe
	s_or_b32 exec_lo, exec_lo, s2
	ds_bpermute_b32 v4, v0, v6
	s_wait_dscnt 0x0
	v_add_f32_e32 v4, v6, v4
	ds_bpermute_b32 v6, v1, v4
	s_wait_dscnt 0x0
	v_add_f32_e32 v4, v4, v6
	;; [unrolled: 3-line block ×4, first 2 shown]
	ds_bpermute_b32 v6, v10, v4
	s_and_saveexec_b32 s2, vcc_lo
	s_cbranch_execz .LBB45_11
; %bb.10:
	s_lshl_b32 s4, s6, 1
	s_mov_b32 s5, 0
	s_wait_dscnt 0x0
	v_add_f32_e32 v4, v4, v6
	v_mov_b32_e32 v6, 0
	s_wait_alu 0xfffe
	s_lshl_b64 s[4:5], s[4:5], 2
	s_wait_alu 0xfffe
	s_add_nc_u64 s[4:5], s[0:1], s[4:5]
	global_store_b32 v6, v4, s[4:5]
.LBB45_11:
	s_wait_alu 0xfffe
	s_or_b32 exec_lo, exec_lo, s2
	ds_bpermute_b32 v4, v0, v5
	s_wait_dscnt 0x0
	v_add_f32_e32 v4, v5, v4
	ds_bpermute_b32 v5, v1, v4
	s_wait_dscnt 0x0
	v_add_f32_e32 v4, v4, v5
	;; [unrolled: 3-line block ×4, first 2 shown]
	ds_bpermute_b32 v5, v10, v4
	s_and_saveexec_b32 s2, vcc_lo
	s_cbranch_execz .LBB45_13
; %bb.12:
	s_mul_i32 s4, s6, 3
	s_mov_b32 s5, 0
	s_wait_dscnt 0x0
	v_dual_add_f32 v4, v4, v5 :: v_dual_mov_b32 v5, 0
	s_wait_alu 0xfffe
	s_lshl_b64 s[4:5], s[4:5], 2
	s_wait_alu 0xfffe
	s_add_nc_u64 s[4:5], s[0:1], s[4:5]
	global_store_b32 v5, v4, s[4:5]
.LBB45_13:
	s_wait_alu 0xfffe
	s_or_b32 exec_lo, exec_lo, s2
	ds_bpermute_b32 v4, v0, v3
	s_wait_dscnt 0x0
	v_add_f32_e32 v3, v3, v4
	ds_bpermute_b32 v4, v1, v3
	s_wait_dscnt 0x0
	v_add_f32_e32 v3, v3, v4
	;; [unrolled: 3-line block ×4, first 2 shown]
	ds_bpermute_b32 v4, v10, v3
	s_and_saveexec_b32 s2, vcc_lo
	s_cbranch_execz .LBB45_15
; %bb.14:
	s_lshl_b32 s4, s6, 2
	s_mov_b32 s5, 0
	s_wait_dscnt 0x0
	v_dual_add_f32 v3, v3, v4 :: v_dual_mov_b32 v4, 0
	s_wait_alu 0xfffe
	s_lshl_b64 s[4:5], s[4:5], 2
	s_wait_alu 0xfffe
	s_add_nc_u64 s[4:5], s[0:1], s[4:5]
	global_store_b32 v4, v3, s[4:5]
.LBB45_15:
	s_wait_alu 0xfffe
	s_or_b32 exec_lo, exec_lo, s2
	ds_bpermute_b32 v0, v0, v2
	s_wait_dscnt 0x0
	v_add_f32_e32 v0, v2, v0
	ds_bpermute_b32 v1, v1, v0
	s_wait_dscnt 0x0
	v_add_f32_e32 v0, v0, v1
	;; [unrolled: 3-line block ×4, first 2 shown]
	ds_bpermute_b32 v1, v10, v0
	s_and_b32 exec_lo, exec_lo, vcc_lo
	s_cbranch_execz .LBB45_17
; %bb.16:
	s_mul_i32 s2, s6, 5
	s_mov_b32 s3, 0
	s_wait_dscnt 0x0
	v_dual_add_f32 v0, v0, v1 :: v_dual_mov_b32 v1, 0
	s_wait_alu 0xfffe
	s_lshl_b64 s[2:3], s[2:3], 2
	s_wait_alu 0xfffe
	s_add_nc_u64 s[0:1], s[0:1], s[2:3]
	global_store_b32 v1, v0, s[0:1]
.LBB45_17:
	s_endpgm
	.section	.rodata,"a",@progbits
	.p2align	6, 0x0
	.amdhsa_kernel _ZL13mul_mat_vec_qIL9ggml_type6ELi6ELb0ELb0EEvPKvS2_PKi31ggml_cuda_mm_fusion_args_devicePfj15HIP_vector_typeIjLj3EEjjjS8_jjjS8_jjjj
		.amdhsa_group_segment_fixed_size 0
		.amdhsa_private_segment_fixed_size 0
		.amdhsa_kernarg_size 144
		.amdhsa_user_sgpr_count 2
		.amdhsa_user_sgpr_dispatch_ptr 0
		.amdhsa_user_sgpr_queue_ptr 0
		.amdhsa_user_sgpr_kernarg_segment_ptr 1
		.amdhsa_user_sgpr_dispatch_id 0
		.amdhsa_user_sgpr_private_segment_size 0
		.amdhsa_wavefront_size32 1
		.amdhsa_uses_dynamic_stack 0
		.amdhsa_enable_private_segment 0
		.amdhsa_system_sgpr_workgroup_id_x 1
		.amdhsa_system_sgpr_workgroup_id_y 1
		.amdhsa_system_sgpr_workgroup_id_z 1
		.amdhsa_system_sgpr_workgroup_info 0
		.amdhsa_system_vgpr_workitem_id 1
		.amdhsa_next_free_vgpr 73
		.amdhsa_next_free_sgpr 30
		.amdhsa_reserve_vcc 1
		.amdhsa_float_round_mode_32 0
		.amdhsa_float_round_mode_16_64 0
		.amdhsa_float_denorm_mode_32 3
		.amdhsa_float_denorm_mode_16_64 3
		.amdhsa_fp16_overflow 0
		.amdhsa_workgroup_processor_mode 1
		.amdhsa_memory_ordered 1
		.amdhsa_forward_progress 1
		.amdhsa_inst_pref_size 21
		.amdhsa_round_robin_scheduling 0
		.amdhsa_exception_fp_ieee_invalid_op 0
		.amdhsa_exception_fp_denorm_src 0
		.amdhsa_exception_fp_ieee_div_zero 0
		.amdhsa_exception_fp_ieee_overflow 0
		.amdhsa_exception_fp_ieee_underflow 0
		.amdhsa_exception_fp_ieee_inexact 0
		.amdhsa_exception_int_div_zero 0
	.end_amdhsa_kernel
	.section	.text._ZL13mul_mat_vec_qIL9ggml_type6ELi6ELb0ELb0EEvPKvS2_PKi31ggml_cuda_mm_fusion_args_devicePfj15HIP_vector_typeIjLj3EEjjjS8_jjjS8_jjjj,"axG",@progbits,_ZL13mul_mat_vec_qIL9ggml_type6ELi6ELb0ELb0EEvPKvS2_PKi31ggml_cuda_mm_fusion_args_devicePfj15HIP_vector_typeIjLj3EEjjjS8_jjjS8_jjjj,comdat
.Lfunc_end45:
	.size	_ZL13mul_mat_vec_qIL9ggml_type6ELi6ELb0ELb0EEvPKvS2_PKi31ggml_cuda_mm_fusion_args_devicePfj15HIP_vector_typeIjLj3EEjjjS8_jjjS8_jjjj, .Lfunc_end45-_ZL13mul_mat_vec_qIL9ggml_type6ELi6ELb0ELb0EEvPKvS2_PKi31ggml_cuda_mm_fusion_args_devicePfj15HIP_vector_typeIjLj3EEjjjS8_jjjS8_jjjj
                                        ; -- End function
	.set _ZL13mul_mat_vec_qIL9ggml_type6ELi6ELb0ELb0EEvPKvS2_PKi31ggml_cuda_mm_fusion_args_devicePfj15HIP_vector_typeIjLj3EEjjjS8_jjjS8_jjjj.num_vgpr, 73
	.set _ZL13mul_mat_vec_qIL9ggml_type6ELi6ELb0ELb0EEvPKvS2_PKi31ggml_cuda_mm_fusion_args_devicePfj15HIP_vector_typeIjLj3EEjjjS8_jjjS8_jjjj.num_agpr, 0
	.set _ZL13mul_mat_vec_qIL9ggml_type6ELi6ELb0ELb0EEvPKvS2_PKi31ggml_cuda_mm_fusion_args_devicePfj15HIP_vector_typeIjLj3EEjjjS8_jjjS8_jjjj.numbered_sgpr, 30
	.set _ZL13mul_mat_vec_qIL9ggml_type6ELi6ELb0ELb0EEvPKvS2_PKi31ggml_cuda_mm_fusion_args_devicePfj15HIP_vector_typeIjLj3EEjjjS8_jjjS8_jjjj.num_named_barrier, 0
	.set _ZL13mul_mat_vec_qIL9ggml_type6ELi6ELb0ELb0EEvPKvS2_PKi31ggml_cuda_mm_fusion_args_devicePfj15HIP_vector_typeIjLj3EEjjjS8_jjjS8_jjjj.private_seg_size, 0
	.set _ZL13mul_mat_vec_qIL9ggml_type6ELi6ELb0ELb0EEvPKvS2_PKi31ggml_cuda_mm_fusion_args_devicePfj15HIP_vector_typeIjLj3EEjjjS8_jjjS8_jjjj.uses_vcc, 1
	.set _ZL13mul_mat_vec_qIL9ggml_type6ELi6ELb0ELb0EEvPKvS2_PKi31ggml_cuda_mm_fusion_args_devicePfj15HIP_vector_typeIjLj3EEjjjS8_jjjS8_jjjj.uses_flat_scratch, 0
	.set _ZL13mul_mat_vec_qIL9ggml_type6ELi6ELb0ELb0EEvPKvS2_PKi31ggml_cuda_mm_fusion_args_devicePfj15HIP_vector_typeIjLj3EEjjjS8_jjjS8_jjjj.has_dyn_sized_stack, 0
	.set _ZL13mul_mat_vec_qIL9ggml_type6ELi6ELb0ELb0EEvPKvS2_PKi31ggml_cuda_mm_fusion_args_devicePfj15HIP_vector_typeIjLj3EEjjjS8_jjjS8_jjjj.has_recursion, 0
	.set _ZL13mul_mat_vec_qIL9ggml_type6ELi6ELb0ELb0EEvPKvS2_PKi31ggml_cuda_mm_fusion_args_devicePfj15HIP_vector_typeIjLj3EEjjjS8_jjjS8_jjjj.has_indirect_call, 0
	.section	.AMDGPU.csdata,"",@progbits
; Kernel info:
; codeLenInByte = 2592
; TotalNumSgprs: 32
; NumVgprs: 73
; ScratchSize: 0
; MemoryBound: 0
; FloatMode: 240
; IeeeMode: 1
; LDSByteSize: 0 bytes/workgroup (compile time only)
; SGPRBlocks: 0
; VGPRBlocks: 9
; NumSGPRsForWavesPerEU: 32
; NumVGPRsForWavesPerEU: 73
; Occupancy: 16
; WaveLimiterHint : 0
; COMPUTE_PGM_RSRC2:SCRATCH_EN: 0
; COMPUTE_PGM_RSRC2:USER_SGPR: 2
; COMPUTE_PGM_RSRC2:TRAP_HANDLER: 0
; COMPUTE_PGM_RSRC2:TGID_X_EN: 1
; COMPUTE_PGM_RSRC2:TGID_Y_EN: 1
; COMPUTE_PGM_RSRC2:TGID_Z_EN: 1
; COMPUTE_PGM_RSRC2:TIDIG_COMP_CNT: 1
	.section	.text._ZL13mul_mat_vec_qIL9ggml_type6ELi7ELb0ELb0EEvPKvS2_PKi31ggml_cuda_mm_fusion_args_devicePfj15HIP_vector_typeIjLj3EEjjjS8_jjjS8_jjjj,"axG",@progbits,_ZL13mul_mat_vec_qIL9ggml_type6ELi7ELb0ELb0EEvPKvS2_PKi31ggml_cuda_mm_fusion_args_devicePfj15HIP_vector_typeIjLj3EEjjjS8_jjjS8_jjjj,comdat
	.globl	_ZL13mul_mat_vec_qIL9ggml_type6ELi7ELb0ELb0EEvPKvS2_PKi31ggml_cuda_mm_fusion_args_devicePfj15HIP_vector_typeIjLj3EEjjjS8_jjjS8_jjjj ; -- Begin function _ZL13mul_mat_vec_qIL9ggml_type6ELi7ELb0ELb0EEvPKvS2_PKi31ggml_cuda_mm_fusion_args_devicePfj15HIP_vector_typeIjLj3EEjjjS8_jjjS8_jjjj
	.p2align	8
	.type	_ZL13mul_mat_vec_qIL9ggml_type6ELi7ELb0ELb0EEvPKvS2_PKi31ggml_cuda_mm_fusion_args_devicePfj15HIP_vector_typeIjLj3EEjjjS8_jjjS8_jjjj,@function
_ZL13mul_mat_vec_qIL9ggml_type6ELi7ELb0ELb0EEvPKvS2_PKi31ggml_cuda_mm_fusion_args_devicePfj15HIP_vector_typeIjLj3EEjjjS8_jjjS8_jjjj: ; @_ZL13mul_mat_vec_qIL9ggml_type6ELi7ELb0ELb0EEvPKvS2_PKi31ggml_cuda_mm_fusion_args_devicePfj15HIP_vector_typeIjLj3EEjjjS8_jjjS8_jjjj
; %bb.0:
	v_bfe_u32 v8, v0, 10, 10
	s_clause 0x5
	s_load_b32 s2, s[0:1], 0x40
	s_load_b96 s[16:18], s[0:1], 0x80
	s_load_b128 s[4:7], s[0:1], 0x50
	s_load_b32 s23, s[0:1], 0x60
	s_load_b128 s[8:11], s[0:1], 0x68
	s_load_b32 s24, s[0:1], 0x78
	v_dual_mov_b32 v2, 0 :: v_dual_and_b32 v5, 0x3ff, v0
	v_dual_mov_b32 v3, 0 :: v_dual_lshlrev_b32 v0, 5, v8
	v_dual_mov_b32 v4, 0 :: v_dual_mov_b32 v7, 0
	v_dual_mov_b32 v6, 0 :: v_dual_mov_b32 v11, 0
	s_delay_alu instid0(VALU_DEP_3)
	v_add_nc_u16 v0, v0, v5
	s_and_b32 s19, ttmp7, 0xffff
	s_lshr_b32 s20, ttmp7, 16
	s_mov_b32 s21, exec_lo
	v_mov_b32_e32 v9, 0
	v_lshrrev_b16 v0, 1, v0
	s_wait_kmcnt 0x0
	s_lshr_b32 s22, s2, 5
	s_delay_alu instid0(VALU_DEP_1) | instskip(NEXT) | instid1(VALU_DEP_1)
	v_and_b32_e32 v10, 0xffff, v0
	v_cmpx_gt_u32_e64 s22, v10
	s_cbranch_execz .LBB46_4
; %bb.1:
	s_load_b128 s[12:15], s[0:1], 0x0
	v_dual_mov_b32 v2, 0 :: v_dual_lshlrev_b32 v1, 1, v5
	s_mul_i32 s2, s17, s20
	s_mov_b32 s3, 0
	s_mul_hi_u32 s7, s7, s19
	s_delay_alu instid0(VALU_DEP_1)
	v_and_b32_e32 v3, 2, v1
	s_mul_hi_u32 s11, s11, s20
	s_mul_u64 s[26:27], s[2:3], 36
	s_mul_i32 s2, s9, s19
	s_add_co_i32 s7, s19, s7
	v_dual_mov_b32 v7, 0 :: v_dual_lshlrev_b32 v4, 1, v3
	s_add_co_i32 s9, s20, s11
	s_mul_u64 s[28:29], s[2:3], 36
	s_lshr_b32 s2, s7, s23
	v_dual_mov_b32 v6, 0 :: v_dual_and_b32 v1, 1, v5
	v_dual_mov_b32 v9, 0 :: v_dual_and_b32 v0, 0xffff, v0
	s_lshr_b32 s7, s9, s24
	s_mul_i32 s2, s2, s8
	s_wait_kmcnt 0x0
	s_add_nc_u64 s[8:9], s[14:15], s[26:27]
	v_lshlrev_b32_e32 v15, 1, v4
	s_add_nc_u64 s[8:9], s[8:9], s[28:29]
	v_mov_b32_e32 v4, 0
	v_lshlrev_b32_e32 v12, 2, v3
	v_dual_mov_b32 v11, 0 :: v_dual_lshlrev_b32 v14, 3, v1
	v_mad_co_u64_u32 v[0:1], null, v0, 36, s[8:9]
	s_mul_i32 s4, s4, ttmp9
	v_dual_mov_b32 v3, 0 :: v_dual_lshlrev_b32 v16, 2, v3
	v_or_b32_e32 v13, 4, v12
	s_mul_i32 s7, s7, s16
	s_add_co_i32 s2, s2, s4
	s_lshl_b32 s4, s5, 1
	s_add_co_i32 s2, s7, s2
	s_mul_i32 s7, s5, 3
	s_lshl_b32 s11, s5, 2
	s_mul_i32 s14, s5, 5
	s_mul_i32 s15, s5, 6
.LBB46_2:                               ; =>This Inner Loop Header: Depth=1
	v_add_nc_u32_e32 v19, s2, v10
	v_add_nc_u32_e32 v23, s5, v10
	;; [unrolled: 1-line block ×5, first 2 shown]
	v_mad_co_i64_i32 v[19:20], null, v19, 22, s[12:13]
	v_mad_co_u64_u32 v[23:24], null, v23, 36, s[8:9]
	v_mad_co_u64_u32 v[25:26], null, v25, 36, s[8:9]
	v_add_nc_u32_e32 v31, s14, v10
	v_add_co_u32 v17, vcc_lo, v0, v14
	v_mad_co_u64_u32 v[27:28], null, v27, 36, s[8:9]
	v_add_nc_u32_e32 v33, s15, v10
	s_wait_alu 0xfffd
	v_add_co_ci_u32_e64 v18, null, 0, v1, vcc_lo
	v_mad_co_u64_u32 v[29:30], null, v29, 36, s[8:9]
	v_add_co_u32 v35, vcc_lo, v19, v15
	v_mad_co_u64_u32 v[31:32], null, v31, 36, s[8:9]
	s_wait_alu 0xfffd
	v_add_co_ci_u32_e64 v36, null, 0, v20, vcc_lo
	v_add_co_u32 v37, vcc_lo, v23, v16
	v_mad_co_u64_u32 v[33:34], null, v33, 36, s[8:9]
	s_wait_alu 0xfffd
	v_add_co_ci_u32_e64 v38, null, 0, v24, vcc_lo
	v_add_co_u32 v39, vcc_lo, v25, v16
	s_wait_alu 0xfffd
	v_add_co_ci_u32_e64 v40, null, 0, v26, vcc_lo
	v_add_co_u32 v41, vcc_lo, v27, v16
	;; [unrolled: 3-line block ×5, first 2 shown]
	s_clause 0x2
	global_load_b32 v53, v[0:1], off
	global_load_b64 v[21:22], v[17:18], off offset:4
	global_load_b64 v[17:18], v[17:18], off offset:20
	global_load_b32 v54, v[19:20], off offset:2
	s_wait_alu 0xfffd
	v_add_co_ci_u32_e64 v48, null, 0, v34, vcc_lo
	global_load_b64 v[35:36], v[35:36], off offset:6
	s_clause 0x11
	global_load_b64 v[49:50], v[37:38], off offset:4
	global_load_b64 v[37:38], v[37:38], off offset:20
	global_load_b32 v55, v[25:26], off
	global_load_b32 v56, v[23:24], off
	global_load_b64 v[23:24], v[39:40], off offset:4
	global_load_b64 v[25:26], v[39:40], off offset:20
	global_load_b64 v[39:40], v[41:42], off offset:4
	global_load_b32 v57, v[27:28], off
	global_load_b64 v[27:28], v[41:42], off offset:20
	global_load_b64 v[41:42], v[43:44], off offset:4
	global_load_b64 v[43:44], v[43:44], off offset:20
	;; [unrolled: 4-line block ×3, first 2 shown]
	global_load_b64 v[45:46], v[45:46], off offset:20
	global_load_b32 v33, v[33:34], off
	global_load_b32 v31, v[31:32], off
	global_load_u16 v19, v[19:20], off
	v_add_co_u32 v0, vcc_lo, 0x240, v0
	s_wait_alu 0xfffd
	v_add_co_ci_u32_e64 v1, null, 0, v1, vcc_lo
	s_wait_loadcnt 0x13
	v_and_b32_e32 v66, 0xf0f0f0f, v36
	v_lshrrev_b32_e32 v36, 4, v36
	s_wait_loadcnt 0x10
	v_lshrrev_b32_e32 v75, 16, v55
	s_wait_loadcnt 0xf
	v_lshrrev_b32_e32 v74, 16, v56
	v_and_b32_e32 v36, 0xf0f0f0f, v36
	s_wait_loadcnt 0xb
	v_lshrrev_b32_e32 v76, 16, v57
	s_delay_alu instid0(VALU_DEP_3)
	v_cvt_f32_f16_e32 v74, v74
	v_cvt_f32_f16_e32 v75, v75
	v_add_nc_u32_e32 v10, 16, v10
	s_wait_loadcnt 0x7
	v_lshrrev_b32_e32 v77, 16, v58
	v_cvt_f32_f16_e32 v76, v76
	v_lshrrev_b32_e32 v20, 16, v53
	v_ashrrev_i32_e32 v32, v12, v54
	v_ashrrev_i32_e32 v34, v13, v54
	s_wait_loadcnt 0x1
	v_lshrrev_b32_e32 v78, 16, v31
	v_lshrrev_b32_e32 v79, 16, v33
	v_and_b32_e32 v54, 0xf0f0f0f, v35
	v_lshlrev_b32_e32 v59, 4, v32
	v_lshrrev_b32_e32 v63, 12, v32
	v_lshrrev_b32_e32 v64, 5, v32
	v_lshlrev_b32_e32 v65, 2, v32
	v_lshrrev_b32_e32 v71, 12, v34
	v_lshrrev_b32_e32 v72, 5, v34
	v_lshlrev_b32_e32 v73, 2, v34
	v_cvt_f32_f16_e32 v78, v78
	v_lshlrev_b32_e32 v60, 11, v32
	v_lshlrev_b32_e32 v61, 18, v32
	v_and_b32_e32 v59, 16, v59
	v_and_b32_e32 v63, 16, v63
	;; [unrolled: 1-line block ×8, first 2 shown]
	v_cvt_f32_f16_e32 v79, v79
	v_lshlrev_b32_e32 v62, 25, v32
	v_lshrrev_b32_e32 v35, 4, v35
	v_lshlrev_b32_e32 v32, 9, v32
	v_lshlrev_b32_e32 v67, 4, v34
	;; [unrolled: 1-line block ×6, first 2 shown]
	v_and_b32_e32 v61, 0x100000, v61
	v_or3_b32 v54, v59, v54, v60
	v_or3_b32 v59, v64, v63, v65
	v_or3_b32 v63, v72, v71, v73
	v_mul_f32_e32 v71, 0x41000000, v79
	v_and_b32_e32 v62, 0x10000000, v62
	v_and_b32_e32 v35, 0xf0f0f0f, v35
	;; [unrolled: 1-line block ×7, first 2 shown]
	v_or3_b32 v54, v54, v61, v62
	v_and_b32_e32 v70, 0x10000000, v70
	v_or3_b32 v32, v59, v32, v35
	v_or3_b32 v60, v68, v67, v69
	;; [unrolled: 1-line block ×3, first 2 shown]
	v_dot4_i32_iu8 v21, v54, v21, 0 neg_lo:[1,1,0]
	v_dot4_i32_iu8 v36, v54, v49, 0 neg_lo:[1,1,0]
	;; [unrolled: 1-line block ×7, first 2 shown]
	v_or3_b32 v35, v60, v70, v66
	v_dot4_i32_iu8 v17, v32, v17, v21 neg_lo:[1,1,0]
	v_dot4_i32_iu8 v21, v32, v37, v36 neg_lo:[1,1,0]
	;; [unrolled: 1-line block ×14, first 2 shown]
	v_cvt_f32_f16_e32 v20, v20
	v_cvt_f32_f16_e32 v77, v77
	v_dot4_i32_iu8 v17, v34, v18, v17 neg_lo:[1,1,0]
	v_dot4_i32_iu8 v18, v34, v38, v21 neg_lo:[1,1,0]
	;; [unrolled: 1-line block ×7, first 2 shown]
	v_mul_f32_e32 v20, 0x41000000, v20
	v_dual_mul_f32 v64, 0x41000000, v74 :: v_dual_mul_f32 v65, 0x41000000, v75
	v_dual_mul_f32 v67, 0x41000000, v76 :: v_dual_mul_f32 v68, 0x41000000, v77
	v_mul_f32_e32 v69, 0x41000000, v78
	v_cvt_f32_i32_e32 v17, v17
	v_cvt_f32_i32_e32 v18, v18
	;; [unrolled: 1-line block ×7, first 2 shown]
	v_fma_mix_f32 v17, v53, v17, -v20 op_sel_hi:[1,0,0]
	v_fma_mix_f32 v18, v56, v18, -v64 op_sel_hi:[1,0,0]
	;; [unrolled: 1-line block ×7, first 2 shown]
	v_cmp_le_u32_e32 vcc_lo, s22, v10
	s_wait_loadcnt 0x0
	v_fma_mix_f32 v11, v17, v19, v11 op_sel_hi:[0,1,0]
	v_fma_mix_f32 v9, v18, v19, v9 op_sel_hi:[0,1,0]
	;; [unrolled: 1-line block ×7, first 2 shown]
	s_or_b32 s3, vcc_lo, s3
	s_wait_alu 0xfffe
	s_and_not1_b32 exec_lo, exec_lo, s3
	s_cbranch_execnz .LBB46_2
; %bb.3:
	s_or_b32 exec_lo, exec_lo, s3
.LBB46_4:
	s_delay_alu instid0(SALU_CYCLE_1)
	s_or_b32 exec_lo, exec_lo, s21
	s_mov_b32 s3, 0
	; wave barrier
	global_inv scope:SCOPE_SE
	s_mov_b32 s2, exec_lo
	v_cmpx_eq_u32_e32 0, v8
	s_cbranch_execz .LBB46_19
; %bb.5:
	v_mbcnt_lo_u32_b32 v12, -1, 0
	s_load_b64 s[0:1], s[0:1], 0x38
	s_mul_i32 s2, s10, s19
	s_mul_i32 s4, s18, s20
	s_wait_alu 0xfffe
	s_add_co_i32 s2, s2, ttmp9
	v_xor_b32_e32 v0, 16, v12
	v_xor_b32_e32 v1, 8, v12
	s_wait_alu 0xfffe
	s_add_co_i32 s2, s2, s4
	s_wait_alu 0xfffe
	s_lshl_b64 s[2:3], s[2:3], 2
	v_cmp_gt_i32_e32 vcc_lo, 32, v0
	s_wait_alu 0xfffd
	v_cndmask_b32_e32 v0, v12, v0, vcc_lo
	v_cmp_gt_i32_e32 vcc_lo, 32, v1
	s_wait_alu 0xfffd
	v_cndmask_b32_e32 v1, v12, v1, vcc_lo
	s_wait_kmcnt 0x0
	s_wait_alu 0xfffe
	s_add_nc_u64 s[0:1], s[0:1], s[2:3]
	s_delay_alu instid0(VALU_DEP_1)
	v_lshlrev_b32_e32 v1, 2, v1
	v_lshlrev_b32_e32 v0, 2, v0
	ds_bpermute_b32 v8, v0, v11
	s_wait_dscnt 0x0
	v_add_f32_e32 v10, v11, v8
	v_xor_b32_e32 v8, 4, v12
	ds_bpermute_b32 v11, v1, v10
	v_cmp_gt_i32_e32 vcc_lo, 32, v8
	s_wait_dscnt 0x0
	s_wait_alu 0xfffd
	v_dual_add_f32 v11, v10, v11 :: v_dual_cndmask_b32 v8, v12, v8
	v_xor_b32_e32 v10, 2, v12
	s_delay_alu instid0(VALU_DEP_2) | instskip(NEXT) | instid1(VALU_DEP_2)
	v_lshlrev_b32_e32 v8, 2, v8
	v_cmp_gt_i32_e32 vcc_lo, 32, v10
	ds_bpermute_b32 v13, v8, v11
	s_wait_dscnt 0x0
	s_wait_alu 0xfffd
	v_dual_cndmask_b32 v10, v12, v10 :: v_dual_add_f32 v13, v11, v13
	v_xor_b32_e32 v11, 1, v12
	s_delay_alu instid0(VALU_DEP_1) | instskip(SKIP_3) | instid1(VALU_DEP_2)
	v_cmp_gt_i32_e32 vcc_lo, 32, v11
	s_wait_alu 0xfffd
	v_cndmask_b32_e32 v11, v12, v11, vcc_lo
	v_cmp_eq_u32_e32 vcc_lo, 0, v5
	v_lshlrev_b32_e32 v11, 2, v11
	v_lshlrev_b32_e32 v10, 2, v10
	ds_bpermute_b32 v14, v10, v13
	s_wait_dscnt 0x0
	v_add_f32_e32 v12, v13, v14
	ds_bpermute_b32 v13, v11, v12
	s_and_saveexec_b32 s2, vcc_lo
	s_cbranch_execz .LBB46_7
; %bb.6:
	s_wait_dscnt 0x0
	v_dual_add_f32 v5, v12, v13 :: v_dual_mov_b32 v12, 0
	global_store_b32 v12, v5, s[0:1]
.LBB46_7:
	s_wait_alu 0xfffe
	s_or_b32 exec_lo, exec_lo, s2
	ds_bpermute_b32 v5, v0, v9
	s_wait_dscnt 0x0
	v_add_f32_e32 v5, v9, v5
	ds_bpermute_b32 v9, v1, v5
	s_wait_dscnt 0x0
	v_add_f32_e32 v5, v5, v9
	;; [unrolled: 3-line block ×4, first 2 shown]
	ds_bpermute_b32 v9, v11, v5
	s_and_saveexec_b32 s2, vcc_lo
	s_cbranch_execz .LBB46_9
; %bb.8:
	s_mov_b32 s7, 0
	s_wait_dscnt 0x0
	v_add_f32_e32 v5, v5, v9
	v_mov_b32_e32 v9, 0
	s_wait_alu 0xfffe
	s_lshl_b64 s[4:5], s[6:7], 2
	s_wait_alu 0xfffe
	s_add_nc_u64 s[4:5], s[0:1], s[4:5]
	global_store_b32 v9, v5, s[4:5]
.LBB46_9:
	s_wait_alu 0xfffe
	s_or_b32 exec_lo, exec_lo, s2
	ds_bpermute_b32 v5, v0, v7
	s_wait_dscnt 0x0
	v_add_f32_e32 v5, v7, v5
	ds_bpermute_b32 v7, v1, v5
	s_wait_dscnt 0x0
	v_add_f32_e32 v5, v5, v7
	;; [unrolled: 3-line block ×4, first 2 shown]
	ds_bpermute_b32 v7, v11, v5
	s_and_saveexec_b32 s2, vcc_lo
	s_cbranch_execz .LBB46_11
; %bb.10:
	s_lshl_b32 s4, s6, 1
	s_mov_b32 s5, 0
	s_wait_dscnt 0x0
	v_add_f32_e32 v5, v5, v7
	v_mov_b32_e32 v7, 0
	s_wait_alu 0xfffe
	s_lshl_b64 s[4:5], s[4:5], 2
	s_wait_alu 0xfffe
	s_add_nc_u64 s[4:5], s[0:1], s[4:5]
	global_store_b32 v7, v5, s[4:5]
.LBB46_11:
	s_wait_alu 0xfffe
	s_or_b32 exec_lo, exec_lo, s2
	ds_bpermute_b32 v5, v0, v6
	s_wait_dscnt 0x0
	v_add_f32_e32 v5, v6, v5
	ds_bpermute_b32 v6, v1, v5
	s_wait_dscnt 0x0
	v_add_f32_e32 v5, v5, v6
	;; [unrolled: 3-line block ×4, first 2 shown]
	ds_bpermute_b32 v6, v11, v5
	s_and_saveexec_b32 s2, vcc_lo
	s_cbranch_execz .LBB46_13
; %bb.12:
	s_mul_i32 s4, s6, 3
	s_mov_b32 s5, 0
	s_wait_dscnt 0x0
	v_dual_add_f32 v5, v5, v6 :: v_dual_mov_b32 v6, 0
	s_wait_alu 0xfffe
	s_lshl_b64 s[4:5], s[4:5], 2
	s_wait_alu 0xfffe
	s_add_nc_u64 s[4:5], s[0:1], s[4:5]
	global_store_b32 v6, v5, s[4:5]
.LBB46_13:
	s_wait_alu 0xfffe
	s_or_b32 exec_lo, exec_lo, s2
	ds_bpermute_b32 v5, v0, v4
	s_wait_dscnt 0x0
	v_add_f32_e32 v4, v4, v5
	ds_bpermute_b32 v5, v1, v4
	s_wait_dscnt 0x0
	v_add_f32_e32 v4, v4, v5
	;; [unrolled: 3-line block ×4, first 2 shown]
	ds_bpermute_b32 v5, v11, v4
	s_and_saveexec_b32 s2, vcc_lo
	s_cbranch_execz .LBB46_15
; %bb.14:
	s_lshl_b32 s4, s6, 2
	s_mov_b32 s5, 0
	s_wait_dscnt 0x0
	v_dual_add_f32 v4, v4, v5 :: v_dual_mov_b32 v5, 0
	s_wait_alu 0xfffe
	s_lshl_b64 s[4:5], s[4:5], 2
	s_wait_alu 0xfffe
	s_add_nc_u64 s[4:5], s[0:1], s[4:5]
	global_store_b32 v5, v4, s[4:5]
.LBB46_15:
	s_wait_alu 0xfffe
	s_or_b32 exec_lo, exec_lo, s2
	ds_bpermute_b32 v4, v0, v3
	s_wait_dscnt 0x0
	v_add_f32_e32 v3, v3, v4
	ds_bpermute_b32 v4, v1, v3
	s_wait_dscnt 0x0
	v_add_f32_e32 v3, v3, v4
	ds_bpermute_b32 v4, v8, v3
	s_wait_dscnt 0x0
	v_add_f32_e32 v3, v3, v4
	ds_bpermute_b32 v4, v10, v3
	s_wait_dscnt 0x0
	v_add_f32_e32 v3, v3, v4
	ds_bpermute_b32 v4, v11, v3
	s_and_saveexec_b32 s2, vcc_lo
	s_cbranch_execz .LBB46_17
; %bb.16:
	s_mul_i32 s4, s6, 5
	s_mov_b32 s5, 0
	s_wait_dscnt 0x0
	v_dual_add_f32 v3, v3, v4 :: v_dual_mov_b32 v4, 0
	s_wait_alu 0xfffe
	s_lshl_b64 s[4:5], s[4:5], 2
	s_wait_alu 0xfffe
	s_add_nc_u64 s[4:5], s[0:1], s[4:5]
	global_store_b32 v4, v3, s[4:5]
.LBB46_17:
	s_wait_alu 0xfffe
	s_or_b32 exec_lo, exec_lo, s2
	ds_bpermute_b32 v0, v0, v2
	s_wait_dscnt 0x0
	v_add_f32_e32 v0, v2, v0
	ds_bpermute_b32 v1, v1, v0
	s_wait_dscnt 0x0
	v_add_f32_e32 v0, v0, v1
	;; [unrolled: 3-line block ×4, first 2 shown]
	ds_bpermute_b32 v1, v11, v0
	s_and_b32 exec_lo, exec_lo, vcc_lo
	s_cbranch_execz .LBB46_19
; %bb.18:
	s_mul_i32 s2, s6, 6
	s_mov_b32 s3, 0
	s_wait_dscnt 0x0
	v_dual_add_f32 v0, v0, v1 :: v_dual_mov_b32 v1, 0
	s_wait_alu 0xfffe
	s_lshl_b64 s[2:3], s[2:3], 2
	s_wait_alu 0xfffe
	s_add_nc_u64 s[0:1], s[0:1], s[2:3]
	global_store_b32 v1, v0, s[0:1]
.LBB46_19:
	s_endpgm
	.section	.rodata,"a",@progbits
	.p2align	6, 0x0
	.amdhsa_kernel _ZL13mul_mat_vec_qIL9ggml_type6ELi7ELb0ELb0EEvPKvS2_PKi31ggml_cuda_mm_fusion_args_devicePfj15HIP_vector_typeIjLj3EEjjjS8_jjjS8_jjjj
		.amdhsa_group_segment_fixed_size 0
		.amdhsa_private_segment_fixed_size 0
		.amdhsa_kernarg_size 144
		.amdhsa_user_sgpr_count 2
		.amdhsa_user_sgpr_dispatch_ptr 0
		.amdhsa_user_sgpr_queue_ptr 0
		.amdhsa_user_sgpr_kernarg_segment_ptr 1
		.amdhsa_user_sgpr_dispatch_id 0
		.amdhsa_user_sgpr_private_segment_size 0
		.amdhsa_wavefront_size32 1
		.amdhsa_uses_dynamic_stack 0
		.amdhsa_enable_private_segment 0
		.amdhsa_system_sgpr_workgroup_id_x 1
		.amdhsa_system_sgpr_workgroup_id_y 1
		.amdhsa_system_sgpr_workgroup_id_z 1
		.amdhsa_system_sgpr_workgroup_info 0
		.amdhsa_system_vgpr_workitem_id 1
		.amdhsa_next_free_vgpr 80
		.amdhsa_next_free_sgpr 30
		.amdhsa_reserve_vcc 1
		.amdhsa_float_round_mode_32 0
		.amdhsa_float_round_mode_16_64 0
		.amdhsa_float_denorm_mode_32 3
		.amdhsa_float_denorm_mode_16_64 3
		.amdhsa_fp16_overflow 0
		.amdhsa_workgroup_processor_mode 1
		.amdhsa_memory_ordered 1
		.amdhsa_forward_progress 1
		.amdhsa_inst_pref_size 23
		.amdhsa_round_robin_scheduling 0
		.amdhsa_exception_fp_ieee_invalid_op 0
		.amdhsa_exception_fp_denorm_src 0
		.amdhsa_exception_fp_ieee_div_zero 0
		.amdhsa_exception_fp_ieee_overflow 0
		.amdhsa_exception_fp_ieee_underflow 0
		.amdhsa_exception_fp_ieee_inexact 0
		.amdhsa_exception_int_div_zero 0
	.end_amdhsa_kernel
	.section	.text._ZL13mul_mat_vec_qIL9ggml_type6ELi7ELb0ELb0EEvPKvS2_PKi31ggml_cuda_mm_fusion_args_devicePfj15HIP_vector_typeIjLj3EEjjjS8_jjjS8_jjjj,"axG",@progbits,_ZL13mul_mat_vec_qIL9ggml_type6ELi7ELb0ELb0EEvPKvS2_PKi31ggml_cuda_mm_fusion_args_devicePfj15HIP_vector_typeIjLj3EEjjjS8_jjjS8_jjjj,comdat
.Lfunc_end46:
	.size	_ZL13mul_mat_vec_qIL9ggml_type6ELi7ELb0ELb0EEvPKvS2_PKi31ggml_cuda_mm_fusion_args_devicePfj15HIP_vector_typeIjLj3EEjjjS8_jjjS8_jjjj, .Lfunc_end46-_ZL13mul_mat_vec_qIL9ggml_type6ELi7ELb0ELb0EEvPKvS2_PKi31ggml_cuda_mm_fusion_args_devicePfj15HIP_vector_typeIjLj3EEjjjS8_jjjS8_jjjj
                                        ; -- End function
	.set _ZL13mul_mat_vec_qIL9ggml_type6ELi7ELb0ELb0EEvPKvS2_PKi31ggml_cuda_mm_fusion_args_devicePfj15HIP_vector_typeIjLj3EEjjjS8_jjjS8_jjjj.num_vgpr, 80
	.set _ZL13mul_mat_vec_qIL9ggml_type6ELi7ELb0ELb0EEvPKvS2_PKi31ggml_cuda_mm_fusion_args_devicePfj15HIP_vector_typeIjLj3EEjjjS8_jjjS8_jjjj.num_agpr, 0
	.set _ZL13mul_mat_vec_qIL9ggml_type6ELi7ELb0ELb0EEvPKvS2_PKi31ggml_cuda_mm_fusion_args_devicePfj15HIP_vector_typeIjLj3EEjjjS8_jjjS8_jjjj.numbered_sgpr, 30
	.set _ZL13mul_mat_vec_qIL9ggml_type6ELi7ELb0ELb0EEvPKvS2_PKi31ggml_cuda_mm_fusion_args_devicePfj15HIP_vector_typeIjLj3EEjjjS8_jjjS8_jjjj.num_named_barrier, 0
	.set _ZL13mul_mat_vec_qIL9ggml_type6ELi7ELb0ELb0EEvPKvS2_PKi31ggml_cuda_mm_fusion_args_devicePfj15HIP_vector_typeIjLj3EEjjjS8_jjjS8_jjjj.private_seg_size, 0
	.set _ZL13mul_mat_vec_qIL9ggml_type6ELi7ELb0ELb0EEvPKvS2_PKi31ggml_cuda_mm_fusion_args_devicePfj15HIP_vector_typeIjLj3EEjjjS8_jjjS8_jjjj.uses_vcc, 1
	.set _ZL13mul_mat_vec_qIL9ggml_type6ELi7ELb0ELb0EEvPKvS2_PKi31ggml_cuda_mm_fusion_args_devicePfj15HIP_vector_typeIjLj3EEjjjS8_jjjS8_jjjj.uses_flat_scratch, 0
	.set _ZL13mul_mat_vec_qIL9ggml_type6ELi7ELb0ELb0EEvPKvS2_PKi31ggml_cuda_mm_fusion_args_devicePfj15HIP_vector_typeIjLj3EEjjjS8_jjjS8_jjjj.has_dyn_sized_stack, 0
	.set _ZL13mul_mat_vec_qIL9ggml_type6ELi7ELb0ELb0EEvPKvS2_PKi31ggml_cuda_mm_fusion_args_devicePfj15HIP_vector_typeIjLj3EEjjjS8_jjjS8_jjjj.has_recursion, 0
	.set _ZL13mul_mat_vec_qIL9ggml_type6ELi7ELb0ELb0EEvPKvS2_PKi31ggml_cuda_mm_fusion_args_devicePfj15HIP_vector_typeIjLj3EEjjjS8_jjjS8_jjjj.has_indirect_call, 0
	.section	.AMDGPU.csdata,"",@progbits
; Kernel info:
; codeLenInByte = 2868
; TotalNumSgprs: 32
; NumVgprs: 80
; ScratchSize: 0
; MemoryBound: 0
; FloatMode: 240
; IeeeMode: 1
; LDSByteSize: 0 bytes/workgroup (compile time only)
; SGPRBlocks: 0
; VGPRBlocks: 9
; NumSGPRsForWavesPerEU: 32
; NumVGPRsForWavesPerEU: 80
; Occupancy: 16
; WaveLimiterHint : 0
; COMPUTE_PGM_RSRC2:SCRATCH_EN: 0
; COMPUTE_PGM_RSRC2:USER_SGPR: 2
; COMPUTE_PGM_RSRC2:TRAP_HANDLER: 0
; COMPUTE_PGM_RSRC2:TGID_X_EN: 1
; COMPUTE_PGM_RSRC2:TGID_Y_EN: 1
; COMPUTE_PGM_RSRC2:TGID_Z_EN: 1
; COMPUTE_PGM_RSRC2:TIDIG_COMP_CNT: 1
	.section	.text._ZL13mul_mat_vec_qIL9ggml_type6ELi8ELb0ELb0EEvPKvS2_PKi31ggml_cuda_mm_fusion_args_devicePfj15HIP_vector_typeIjLj3EEjjjS8_jjjS8_jjjj,"axG",@progbits,_ZL13mul_mat_vec_qIL9ggml_type6ELi8ELb0ELb0EEvPKvS2_PKi31ggml_cuda_mm_fusion_args_devicePfj15HIP_vector_typeIjLj3EEjjjS8_jjjS8_jjjj,comdat
	.globl	_ZL13mul_mat_vec_qIL9ggml_type6ELi8ELb0ELb0EEvPKvS2_PKi31ggml_cuda_mm_fusion_args_devicePfj15HIP_vector_typeIjLj3EEjjjS8_jjjS8_jjjj ; -- Begin function _ZL13mul_mat_vec_qIL9ggml_type6ELi8ELb0ELb0EEvPKvS2_PKi31ggml_cuda_mm_fusion_args_devicePfj15HIP_vector_typeIjLj3EEjjjS8_jjjS8_jjjj
	.p2align	8
	.type	_ZL13mul_mat_vec_qIL9ggml_type6ELi8ELb0ELb0EEvPKvS2_PKi31ggml_cuda_mm_fusion_args_devicePfj15HIP_vector_typeIjLj3EEjjjS8_jjjS8_jjjj,@function
_ZL13mul_mat_vec_qIL9ggml_type6ELi8ELb0ELb0EEvPKvS2_PKi31ggml_cuda_mm_fusion_args_devicePfj15HIP_vector_typeIjLj3EEjjjS8_jjjS8_jjjj: ; @_ZL13mul_mat_vec_qIL9ggml_type6ELi8ELb0ELb0EEvPKvS2_PKi31ggml_cuda_mm_fusion_args_devicePfj15HIP_vector_typeIjLj3EEjjjS8_jjjS8_jjjj
; %bb.0:
	v_bfe_u32 v9, v0, 10, 10
	s_clause 0x5
	s_load_b32 s2, s[0:1], 0x40
	s_load_b96 s[16:18], s[0:1], 0x80
	s_load_b128 s[4:7], s[0:1], 0x50
	s_load_b32 s23, s[0:1], 0x60
	s_load_b128 s[8:11], s[0:1], 0x68
	s_load_b32 s24, s[0:1], 0x78
	v_dual_mov_b32 v3, 0 :: v_dual_and_b32 v6, 0x3ff, v0
	v_dual_mov_b32 v5, 0 :: v_dual_lshlrev_b32 v0, 5, v9
	v_dual_mov_b32 v4, 0 :: v_dual_mov_b32 v7, 0
	v_mov_b32_e32 v8, 0
	s_delay_alu instid0(VALU_DEP_3)
	v_add_nc_u16 v0, v0, v6
	v_mov_b32_e32 v10, 0
	v_mov_b32_e32 v12, 0
	s_and_b32 s19, ttmp7, 0xffff
	s_lshr_b32 s20, ttmp7, 16
	v_lshrrev_b16 v0, 1, v0
	v_mov_b32_e32 v2, 0
	s_mov_b32 s21, exec_lo
	s_delay_alu instid0(VALU_DEP_2)
	v_and_b32_e32 v11, 0xffff, v0
	s_wait_kmcnt 0x0
	s_lshr_b32 s22, s2, 5
	s_delay_alu instid0(VALU_DEP_1) | instid1(SALU_CYCLE_1)
	v_cmpx_gt_u32_e64 s22, v11
	s_cbranch_execz .LBB47_4
; %bb.1:
	s_load_b128 s[12:15], s[0:1], 0x0
	v_dual_mov_b32 v2, 0 :: v_dual_lshlrev_b32 v1, 1, v6
	s_mul_i32 s2, s17, s20
	s_mov_b32 s3, 0
	s_mul_hi_u32 s7, s7, s19
	s_delay_alu instid0(VALU_DEP_1)
	v_and_b32_e32 v3, 2, v1
	s_mul_hi_u32 s11, s11, s20
	s_mul_u64 s[26:27], s[2:3], 36
	s_mul_i32 s2, s9, s19
	s_add_co_i32 s7, s19, s7
	v_lshlrev_b32_e32 v4, 1, v3
	s_add_co_i32 s9, s20, s11
	s_mul_u64 s[28:29], s[2:3], 36
	s_lshr_b32 s2, s7, s23
	v_dual_mov_b32 v8, 0 :: v_dual_and_b32 v1, 1, v6
	v_dual_mov_b32 v5, 0 :: v_dual_and_b32 v0, 0xffff, v0
	s_lshr_b32 s7, s9, s24
	s_mul_i32 s2, s2, s8
	s_wait_kmcnt 0x0
	s_add_nc_u64 s[8:9], s[14:15], s[26:27]
	v_dual_mov_b32 v7, 0 :: v_dual_lshlrev_b32 v16, 1, v4
	s_add_nc_u64 s[8:9], s[8:9], s[28:29]
	v_dual_mov_b32 v4, 0 :: v_dual_lshlrev_b32 v13, 2, v3
	v_dual_mov_b32 v10, 0 :: v_dual_lshlrev_b32 v15, 3, v1
	v_mov_b32_e32 v12, 0
	v_mad_co_u64_u32 v[0:1], null, v0, 36, s[8:9]
	s_mul_i32 s4, s4, ttmp9
	v_or_b32_e32 v14, 4, v13
	v_lshlrev_b32_e32 v17, 2, v3
	v_mov_b32_e32 v3, 0
	s_mul_i32 s7, s7, s16
	s_add_co_i32 s2, s2, s4
	s_lshl_b32 s4, s5, 1
	s_add_co_i32 s2, s7, s2
	s_mul_i32 s7, s5, 3
	s_lshl_b32 s11, s5, 2
	s_mul_i32 s14, s5, 5
	s_mul_i32 s15, s5, 6
	;; [unrolled: 1-line block ×3, first 2 shown]
.LBB47_2:                               ; =>This Inner Loop Header: Depth=1
	v_add_nc_u32_e32 v20, s2, v11
	v_add_nc_u32_e32 v24, s5, v11
	;; [unrolled: 1-line block ×5, first 2 shown]
	v_mad_co_i64_i32 v[20:21], null, v20, 22, s[12:13]
	v_mad_co_u64_u32 v[24:25], null, v24, 36, s[8:9]
	v_mad_co_u64_u32 v[26:27], null, v26, 36, s[8:9]
	v_add_nc_u32_e32 v32, s14, v11
	v_add_co_u32 v18, vcc_lo, v0, v15
	v_mad_co_u64_u32 v[28:29], null, v28, 36, s[8:9]
	v_add_nc_u32_e32 v34, s15, v11
	s_wait_alu 0xfffd
	v_add_co_ci_u32_e64 v19, null, 0, v1, vcc_lo
	v_mad_co_u64_u32 v[30:31], null, v30, 36, s[8:9]
	v_add_co_u32 v38, vcc_lo, v20, v16
	v_add_nc_u32_e32 v36, s16, v11
	v_mad_co_u64_u32 v[32:33], null, v32, 36, s[8:9]
	s_wait_alu 0xfffd
	v_add_co_ci_u32_e64 v39, null, 0, v21, vcc_lo
	v_add_co_u32 v40, vcc_lo, v24, v17
	v_mad_co_u64_u32 v[34:35], null, v34, 36, s[8:9]
	s_wait_alu 0xfffd
	v_add_co_ci_u32_e64 v41, null, 0, v25, vcc_lo
	v_add_co_u32 v42, vcc_lo, v26, v17
	;; [unrolled: 4-line block ×3, first 2 shown]
	s_wait_alu 0xfffd
	v_add_co_ci_u32_e64 v45, null, 0, v29, vcc_lo
	v_add_co_u32 v46, vcc_lo, v30, v17
	s_wait_alu 0xfffd
	v_add_co_ci_u32_e64 v47, null, 0, v31, vcc_lo
	v_add_co_u32 v48, vcc_lo, v32, v17
	s_clause 0x2
	global_load_b32 v56, v[0:1], off
	global_load_b64 v[22:23], v[18:19], off offset:4
	global_load_b64 v[18:19], v[18:19], off offset:20
	global_load_b32 v57, v[20:21], off offset:2
	s_wait_alu 0xfffd
	v_add_co_ci_u32_e64 v49, null, 0, v33, vcc_lo
	v_add_co_u32 v50, vcc_lo, v34, v17
	s_wait_alu 0xfffd
	v_add_co_ci_u32_e64 v51, null, 0, v35, vcc_lo
	v_add_co_u32 v52, vcc_lo, v36, v17
	s_wait_alu 0xfffd
	v_add_co_ci_u32_e64 v53, null, 0, v37, vcc_lo
	global_load_b64 v[38:39], v[38:39], off offset:6
	s_clause 0x14
	global_load_b64 v[54:55], v[40:41], off offset:4
	global_load_b64 v[40:41], v[40:41], off offset:20
	global_load_b32 v58, v[26:27], off
	global_load_b32 v59, v[24:25], off
	global_load_b64 v[24:25], v[42:43], off offset:4
	global_load_b64 v[26:27], v[42:43], off offset:20
	;; [unrolled: 1-line block ×3, first 2 shown]
	global_load_b32 v60, v[28:29], off
	global_load_b64 v[28:29], v[44:45], off offset:20
	global_load_b64 v[44:45], v[46:47], off offset:4
	;; [unrolled: 1-line block ×3, first 2 shown]
	global_load_b32 v61, v[30:31], off
	global_load_b64 v[30:31], v[48:49], off offset:4
	global_load_b64 v[48:49], v[48:49], off offset:20
	global_load_b32 v62, v[34:35], off
	global_load_b32 v63, v[32:33], off
	global_load_b64 v[32:33], v[52:53], off offset:20
	global_load_b64 v[34:35], v[50:51], off offset:4
	;; [unrolled: 1-line block ×4, first 2 shown]
	global_load_b32 v36, v[36:37], off
	global_load_u16 v20, v[20:21], off
	v_add_co_u32 v0, vcc_lo, 0x240, v0
	s_wait_alu 0xfffd
	v_add_co_ci_u32_e64 v1, null, 0, v1, vcc_lo
	s_wait_loadcnt 0x16
	v_and_b32_e32 v64, 0xf0f0f0f, v38
	v_lshrrev_b32_e32 v38, 4, v38
	v_and_b32_e32 v72, 0xf0f0f0f, v39
	v_lshrrev_b32_e32 v39, 4, v39
	s_wait_loadcnt 0x12
	v_lshrrev_b32_e32 v80, 16, v59
	v_lshrrev_b32_e32 v81, 16, v58
	v_and_b32_e32 v38, 0xf0f0f0f, v38
	v_and_b32_e32 v39, 0xf0f0f0f, v39
	v_lshrrev_b32_e32 v21, 16, v56
	s_wait_loadcnt 0xe
	v_lshrrev_b32_e32 v82, 16, v60
	v_ashrrev_i32_e32 v37, v13, v57
	v_ashrrev_i32_e32 v57, v14, v57
	s_wait_loadcnt 0xa
	v_lshrrev_b32_e32 v83, 16, v61
	v_cvt_f32_f16_e32 v21, v21
	s_wait_loadcnt 0x7
	v_lshrrev_b32_e32 v85, 16, v62
	v_lshlrev_b32_e32 v66, 11, v37
	v_lshrrev_b32_e32 v69, 12, v37
	v_lshrrev_b32_e32 v70, 5, v37
	v_lshlrev_b32_e32 v71, 2, v37
	v_lshrrev_b32_e32 v77, 12, v57
	v_lshrrev_b32_e32 v78, 5, v57
	v_lshlrev_b32_e32 v79, 2, v57
	s_wait_loadcnt 0x1
	v_lshrrev_b32_e32 v86, 16, v36
	v_cvt_f32_f16_e32 v83, v83
	v_lshlrev_b32_e32 v65, 4, v37
	v_lshlrev_b32_e32 v68, 25, v37
	v_and_b32_e32 v66, 0x1000, v66
	v_and_b32_e32 v69, 16, v69
	;; [unrolled: 1-line block ×8, first 2 shown]
	v_cvt_f32_f16_e32 v86, v86
	v_lshlrev_b32_e32 v67, 18, v37
	v_lshlrev_b32_e32 v37, 9, v37
	;; [unrolled: 1-line block ×5, first 2 shown]
	v_and_b32_e32 v68, 0x10000000, v68
	v_or3_b32 v64, v65, v64, v66
	v_or3_b32 v65, v70, v69, v71
	;; [unrolled: 1-line block ×3, first 2 shown]
	v_mul_f32_e32 v78, 0x41000000, v86
	v_and_b32_e32 v67, 0x100000, v67
	v_lshlrev_b32_e32 v76, 25, v57
	v_and_b32_e32 v37, 0x10000000, v37
	v_and_b32_e32 v73, 16, v73
	;; [unrolled: 1-line block ×4, first 2 shown]
	v_or3_b32 v64, v64, v67, v68
	v_lshlrev_b32_e32 v57, 9, v57
	v_and_b32_e32 v76, 0x10000000, v76
	v_or3_b32 v37, v65, v37, v38
	v_or3_b32 v66, v74, v73, v75
	v_dot4_i32_iu8 v22, v64, v22, 0 neg_lo:[1,1,0]
	v_dot4_i32_iu8 v54, v64, v54, 0 neg_lo:[1,1,0]
	v_dot4_i32_iu8 v24, v64, v24, 0 neg_lo:[1,1,0]
	v_dot4_i32_iu8 v42, v64, v42, 0 neg_lo:[1,1,0]
	v_dot4_i32_iu8 v44, v64, v44, 0 neg_lo:[1,1,0]
	v_dot4_i32_iu8 v30, v64, v30, 0 neg_lo:[1,1,0]
	v_dot4_i32_iu8 v34, v64, v34, 0 neg_lo:[1,1,0]
	v_dot4_i32_iu8 v52, v64, v52, 0 neg_lo:[1,1,0]
	v_and_b32_e32 v57, 0x10000000, v57
	v_or3_b32 v38, v66, v76, v72
	v_dot4_i32_iu8 v18, v37, v18, v22 neg_lo:[1,1,0]
	v_dot4_i32_iu8 v22, v37, v40, v54 neg_lo:[1,1,0]
	;; [unrolled: 1-line block ×8, first 2 shown]
	v_lshrrev_b32_e32 v84, 16, v63
	v_or3_b32 v39, v69, v57, v39
	v_dot4_i32_iu8 v18, v38, v23, v18 neg_lo:[1,1,0]
	v_dot4_i32_iu8 v22, v38, v55, v22 neg_lo:[1,1,0]
	;; [unrolled: 1-line block ×8, first 2 shown]
	v_cvt_f32_f16_e32 v80, v80
	v_cvt_f32_f16_e32 v81, v81
	;; [unrolled: 1-line block ×5, first 2 shown]
	v_dot4_i32_iu8 v18, v39, v19, v18 neg_lo:[1,1,0]
	v_dot4_i32_iu8 v19, v39, v41, v22 neg_lo:[1,1,0]
	;; [unrolled: 1-line block ×8, first 2 shown]
	v_dual_mul_f32 v70, 0x41000000, v80 :: v_dual_add_nc_u32 v11, 16, v11
	v_mul_f32_e32 v21, 0x41000000, v21
	v_mul_f32_e32 v71, 0x41000000, v81
	v_dual_mul_f32 v73, 0x41000000, v82 :: v_dual_mul_f32 v74, 0x41000000, v83
	v_mul_f32_e32 v75, 0x41000000, v84
	v_mul_f32_e32 v77, 0x41000000, v85
	v_cvt_f32_i32_e32 v18, v18
	v_cvt_f32_i32_e32 v19, v19
	;; [unrolled: 1-line block ×8, first 2 shown]
	v_fma_mix_f32 v18, v56, v18, -v21 op_sel_hi:[1,0,0]
	v_fma_mix_f32 v19, v59, v19, -v70 op_sel_hi:[1,0,0]
	;; [unrolled: 1-line block ×8, first 2 shown]
	v_cmp_le_u32_e32 vcc_lo, s22, v11
	s_wait_loadcnt 0x0
	v_fma_mix_f32 v12, v18, v20, v12 op_sel_hi:[0,1,0]
	v_fma_mix_f32 v10, v19, v20, v10 op_sel_hi:[0,1,0]
	;; [unrolled: 1-line block ×8, first 2 shown]
	s_or_b32 s3, vcc_lo, s3
	s_wait_alu 0xfffe
	s_and_not1_b32 exec_lo, exec_lo, s3
	s_cbranch_execnz .LBB47_2
; %bb.3:
	s_or_b32 exec_lo, exec_lo, s3
.LBB47_4:
	s_delay_alu instid0(SALU_CYCLE_1)
	s_or_b32 exec_lo, exec_lo, s21
	s_mov_b32 s3, 0
	; wave barrier
	global_inv scope:SCOPE_SE
	s_mov_b32 s2, exec_lo
	v_cmpx_eq_u32_e32 0, v9
	s_cbranch_execz .LBB47_21
; %bb.5:
	v_mbcnt_lo_u32_b32 v13, -1, 0
	s_load_b64 s[0:1], s[0:1], 0x38
	s_mul_i32 s2, s10, s19
	s_mul_i32 s4, s18, s20
	s_wait_alu 0xfffe
	s_add_co_i32 s2, s2, ttmp9
	v_xor_b32_e32 v0, 16, v13
	v_xor_b32_e32 v1, 8, v13
	s_wait_alu 0xfffe
	s_add_co_i32 s2, s2, s4
	s_wait_alu 0xfffe
	s_lshl_b64 s[2:3], s[2:3], 2
	v_cmp_gt_i32_e32 vcc_lo, 32, v0
	s_wait_alu 0xfffd
	v_cndmask_b32_e32 v0, v13, v0, vcc_lo
	v_cmp_gt_i32_e32 vcc_lo, 32, v1
	s_wait_alu 0xfffd
	v_cndmask_b32_e32 v1, v13, v1, vcc_lo
	s_wait_kmcnt 0x0
	s_wait_alu 0xfffe
	s_add_nc_u64 s[0:1], s[0:1], s[2:3]
	s_delay_alu instid0(VALU_DEP_1)
	v_lshlrev_b32_e32 v1, 2, v1
	v_lshlrev_b32_e32 v0, 2, v0
	ds_bpermute_b32 v9, v0, v12
	s_wait_dscnt 0x0
	v_add_f32_e32 v11, v12, v9
	v_xor_b32_e32 v9, 4, v13
	ds_bpermute_b32 v12, v1, v11
	v_cmp_gt_i32_e32 vcc_lo, 32, v9
	s_wait_dscnt 0x0
	s_wait_alu 0xfffd
	v_dual_add_f32 v12, v11, v12 :: v_dual_cndmask_b32 v9, v13, v9
	v_xor_b32_e32 v11, 2, v13
	s_delay_alu instid0(VALU_DEP_2) | instskip(NEXT) | instid1(VALU_DEP_2)
	v_lshlrev_b32_e32 v9, 2, v9
	v_cmp_gt_i32_e32 vcc_lo, 32, v11
	ds_bpermute_b32 v14, v9, v12
	s_wait_dscnt 0x0
	s_wait_alu 0xfffd
	v_dual_cndmask_b32 v11, v13, v11 :: v_dual_add_f32 v14, v12, v14
	v_xor_b32_e32 v12, 1, v13
	s_delay_alu instid0(VALU_DEP_1) | instskip(SKIP_3) | instid1(VALU_DEP_2)
	v_cmp_gt_i32_e32 vcc_lo, 32, v12
	s_wait_alu 0xfffd
	v_cndmask_b32_e32 v12, v13, v12, vcc_lo
	v_cmp_eq_u32_e32 vcc_lo, 0, v6
	v_lshlrev_b32_e32 v12, 2, v12
	v_lshlrev_b32_e32 v11, 2, v11
	ds_bpermute_b32 v15, v11, v14
	s_wait_dscnt 0x0
	v_add_f32_e32 v13, v14, v15
	ds_bpermute_b32 v14, v12, v13
	s_and_saveexec_b32 s2, vcc_lo
	s_cbranch_execz .LBB47_7
; %bb.6:
	s_wait_dscnt 0x0
	v_dual_add_f32 v6, v13, v14 :: v_dual_mov_b32 v13, 0
	global_store_b32 v13, v6, s[0:1]
.LBB47_7:
	s_wait_alu 0xfffe
	s_or_b32 exec_lo, exec_lo, s2
	ds_bpermute_b32 v6, v0, v10
	s_wait_dscnt 0x0
	v_add_f32_e32 v6, v10, v6
	ds_bpermute_b32 v10, v1, v6
	s_wait_dscnt 0x0
	v_add_f32_e32 v6, v6, v10
	;; [unrolled: 3-line block ×4, first 2 shown]
	ds_bpermute_b32 v10, v12, v6
	s_and_saveexec_b32 s2, vcc_lo
	s_cbranch_execz .LBB47_9
; %bb.8:
	s_mov_b32 s7, 0
	s_wait_dscnt 0x0
	v_add_f32_e32 v6, v6, v10
	v_mov_b32_e32 v10, 0
	s_wait_alu 0xfffe
	s_lshl_b64 s[4:5], s[6:7], 2
	s_wait_alu 0xfffe
	s_add_nc_u64 s[4:5], s[0:1], s[4:5]
	global_store_b32 v10, v6, s[4:5]
.LBB47_9:
	s_wait_alu 0xfffe
	s_or_b32 exec_lo, exec_lo, s2
	ds_bpermute_b32 v6, v0, v8
	s_wait_dscnt 0x0
	v_add_f32_e32 v6, v8, v6
	ds_bpermute_b32 v8, v1, v6
	s_wait_dscnt 0x0
	v_add_f32_e32 v6, v6, v8
	;; [unrolled: 3-line block ×4, first 2 shown]
	ds_bpermute_b32 v8, v12, v6
	s_and_saveexec_b32 s2, vcc_lo
	s_cbranch_execz .LBB47_11
; %bb.10:
	s_lshl_b32 s4, s6, 1
	s_mov_b32 s5, 0
	s_wait_dscnt 0x0
	v_add_f32_e32 v6, v6, v8
	v_mov_b32_e32 v8, 0
	s_wait_alu 0xfffe
	s_lshl_b64 s[4:5], s[4:5], 2
	s_wait_alu 0xfffe
	s_add_nc_u64 s[4:5], s[0:1], s[4:5]
	global_store_b32 v8, v6, s[4:5]
.LBB47_11:
	s_wait_alu 0xfffe
	s_or_b32 exec_lo, exec_lo, s2
	ds_bpermute_b32 v6, v0, v7
	s_wait_dscnt 0x0
	v_add_f32_e32 v6, v7, v6
	ds_bpermute_b32 v7, v1, v6
	s_wait_dscnt 0x0
	v_add_f32_e32 v6, v6, v7
	;; [unrolled: 3-line block ×4, first 2 shown]
	ds_bpermute_b32 v7, v12, v6
	s_and_saveexec_b32 s2, vcc_lo
	s_cbranch_execz .LBB47_13
; %bb.12:
	s_mul_i32 s4, s6, 3
	s_mov_b32 s5, 0
	s_wait_dscnt 0x0
	v_dual_add_f32 v6, v6, v7 :: v_dual_mov_b32 v7, 0
	s_wait_alu 0xfffe
	s_lshl_b64 s[4:5], s[4:5], 2
	s_wait_alu 0xfffe
	s_add_nc_u64 s[4:5], s[0:1], s[4:5]
	global_store_b32 v7, v6, s[4:5]
.LBB47_13:
	s_wait_alu 0xfffe
	s_or_b32 exec_lo, exec_lo, s2
	ds_bpermute_b32 v6, v0, v5
	s_wait_dscnt 0x0
	v_add_f32_e32 v5, v5, v6
	ds_bpermute_b32 v6, v1, v5
	s_wait_dscnt 0x0
	v_add_f32_e32 v5, v5, v6
	;; [unrolled: 3-line block ×4, first 2 shown]
	ds_bpermute_b32 v6, v12, v5
	s_and_saveexec_b32 s2, vcc_lo
	s_cbranch_execz .LBB47_15
; %bb.14:
	s_lshl_b32 s4, s6, 2
	s_mov_b32 s5, 0
	s_wait_dscnt 0x0
	v_dual_add_f32 v5, v5, v6 :: v_dual_mov_b32 v6, 0
	s_wait_alu 0xfffe
	s_lshl_b64 s[4:5], s[4:5], 2
	s_wait_alu 0xfffe
	s_add_nc_u64 s[4:5], s[0:1], s[4:5]
	global_store_b32 v6, v5, s[4:5]
.LBB47_15:
	s_wait_alu 0xfffe
	s_or_b32 exec_lo, exec_lo, s2
	ds_bpermute_b32 v5, v0, v4
	s_wait_dscnt 0x0
	v_add_f32_e32 v4, v4, v5
	ds_bpermute_b32 v5, v1, v4
	s_wait_dscnt 0x0
	v_add_f32_e32 v4, v4, v5
	;; [unrolled: 3-line block ×4, first 2 shown]
	ds_bpermute_b32 v5, v12, v4
	s_and_saveexec_b32 s2, vcc_lo
	s_cbranch_execz .LBB47_17
; %bb.16:
	s_mul_i32 s4, s6, 5
	s_mov_b32 s5, 0
	s_wait_dscnt 0x0
	v_dual_add_f32 v4, v4, v5 :: v_dual_mov_b32 v5, 0
	s_wait_alu 0xfffe
	s_lshl_b64 s[4:5], s[4:5], 2
	s_wait_alu 0xfffe
	s_add_nc_u64 s[4:5], s[0:1], s[4:5]
	global_store_b32 v5, v4, s[4:5]
.LBB47_17:
	s_wait_alu 0xfffe
	s_or_b32 exec_lo, exec_lo, s2
	ds_bpermute_b32 v4, v0, v3
	s_wait_dscnt 0x0
	v_add_f32_e32 v3, v3, v4
	ds_bpermute_b32 v4, v1, v3
	s_wait_dscnt 0x0
	v_add_f32_e32 v3, v3, v4
	;; [unrolled: 3-line block ×4, first 2 shown]
	ds_bpermute_b32 v4, v12, v3
	s_and_saveexec_b32 s2, vcc_lo
	s_cbranch_execz .LBB47_19
; %bb.18:
	s_mul_i32 s4, s6, 6
	s_mov_b32 s5, 0
	s_wait_dscnt 0x0
	v_dual_add_f32 v3, v3, v4 :: v_dual_mov_b32 v4, 0
	s_wait_alu 0xfffe
	s_lshl_b64 s[4:5], s[4:5], 2
	s_wait_alu 0xfffe
	s_add_nc_u64 s[4:5], s[0:1], s[4:5]
	global_store_b32 v4, v3, s[4:5]
.LBB47_19:
	s_wait_alu 0xfffe
	s_or_b32 exec_lo, exec_lo, s2
	ds_bpermute_b32 v0, v0, v2
	s_wait_dscnt 0x0
	v_add_f32_e32 v0, v2, v0
	ds_bpermute_b32 v1, v1, v0
	s_wait_dscnt 0x0
	v_add_f32_e32 v0, v0, v1
	;; [unrolled: 3-line block ×4, first 2 shown]
	ds_bpermute_b32 v1, v12, v0
	s_and_b32 exec_lo, exec_lo, vcc_lo
	s_cbranch_execz .LBB47_21
; %bb.20:
	s_mul_i32 s2, s6, 7
	s_mov_b32 s3, 0
	s_wait_dscnt 0x0
	v_dual_add_f32 v0, v0, v1 :: v_dual_mov_b32 v1, 0
	s_wait_alu 0xfffe
	s_lshl_b64 s[2:3], s[2:3], 2
	s_wait_alu 0xfffe
	s_add_nc_u64 s[0:1], s[0:1], s[2:3]
	global_store_b32 v1, v0, s[0:1]
.LBB47_21:
	s_endpgm
	.section	.rodata,"a",@progbits
	.p2align	6, 0x0
	.amdhsa_kernel _ZL13mul_mat_vec_qIL9ggml_type6ELi8ELb0ELb0EEvPKvS2_PKi31ggml_cuda_mm_fusion_args_devicePfj15HIP_vector_typeIjLj3EEjjjS8_jjjS8_jjjj
		.amdhsa_group_segment_fixed_size 0
		.amdhsa_private_segment_fixed_size 0
		.amdhsa_kernarg_size 144
		.amdhsa_user_sgpr_count 2
		.amdhsa_user_sgpr_dispatch_ptr 0
		.amdhsa_user_sgpr_queue_ptr 0
		.amdhsa_user_sgpr_kernarg_segment_ptr 1
		.amdhsa_user_sgpr_dispatch_id 0
		.amdhsa_user_sgpr_private_segment_size 0
		.amdhsa_wavefront_size32 1
		.amdhsa_uses_dynamic_stack 0
		.amdhsa_enable_private_segment 0
		.amdhsa_system_sgpr_workgroup_id_x 1
		.amdhsa_system_sgpr_workgroup_id_y 1
		.amdhsa_system_sgpr_workgroup_id_z 1
		.amdhsa_system_sgpr_workgroup_info 0
		.amdhsa_system_vgpr_workitem_id 1
		.amdhsa_next_free_vgpr 87
		.amdhsa_next_free_sgpr 30
		.amdhsa_reserve_vcc 1
		.amdhsa_float_round_mode_32 0
		.amdhsa_float_round_mode_16_64 0
		.amdhsa_float_denorm_mode_32 3
		.amdhsa_float_denorm_mode_16_64 3
		.amdhsa_fp16_overflow 0
		.amdhsa_workgroup_processor_mode 1
		.amdhsa_memory_ordered 1
		.amdhsa_forward_progress 1
		.amdhsa_inst_pref_size 25
		.amdhsa_round_robin_scheduling 0
		.amdhsa_exception_fp_ieee_invalid_op 0
		.amdhsa_exception_fp_denorm_src 0
		.amdhsa_exception_fp_ieee_div_zero 0
		.amdhsa_exception_fp_ieee_overflow 0
		.amdhsa_exception_fp_ieee_underflow 0
		.amdhsa_exception_fp_ieee_inexact 0
		.amdhsa_exception_int_div_zero 0
	.end_amdhsa_kernel
	.section	.text._ZL13mul_mat_vec_qIL9ggml_type6ELi8ELb0ELb0EEvPKvS2_PKi31ggml_cuda_mm_fusion_args_devicePfj15HIP_vector_typeIjLj3EEjjjS8_jjjS8_jjjj,"axG",@progbits,_ZL13mul_mat_vec_qIL9ggml_type6ELi8ELb0ELb0EEvPKvS2_PKi31ggml_cuda_mm_fusion_args_devicePfj15HIP_vector_typeIjLj3EEjjjS8_jjjS8_jjjj,comdat
.Lfunc_end47:
	.size	_ZL13mul_mat_vec_qIL9ggml_type6ELi8ELb0ELb0EEvPKvS2_PKi31ggml_cuda_mm_fusion_args_devicePfj15HIP_vector_typeIjLj3EEjjjS8_jjjS8_jjjj, .Lfunc_end47-_ZL13mul_mat_vec_qIL9ggml_type6ELi8ELb0ELb0EEvPKvS2_PKi31ggml_cuda_mm_fusion_args_devicePfj15HIP_vector_typeIjLj3EEjjjS8_jjjS8_jjjj
                                        ; -- End function
	.set _ZL13mul_mat_vec_qIL9ggml_type6ELi8ELb0ELb0EEvPKvS2_PKi31ggml_cuda_mm_fusion_args_devicePfj15HIP_vector_typeIjLj3EEjjjS8_jjjS8_jjjj.num_vgpr, 87
	.set _ZL13mul_mat_vec_qIL9ggml_type6ELi8ELb0ELb0EEvPKvS2_PKi31ggml_cuda_mm_fusion_args_devicePfj15HIP_vector_typeIjLj3EEjjjS8_jjjS8_jjjj.num_agpr, 0
	.set _ZL13mul_mat_vec_qIL9ggml_type6ELi8ELb0ELb0EEvPKvS2_PKi31ggml_cuda_mm_fusion_args_devicePfj15HIP_vector_typeIjLj3EEjjjS8_jjjS8_jjjj.numbered_sgpr, 30
	.set _ZL13mul_mat_vec_qIL9ggml_type6ELi8ELb0ELb0EEvPKvS2_PKi31ggml_cuda_mm_fusion_args_devicePfj15HIP_vector_typeIjLj3EEjjjS8_jjjS8_jjjj.num_named_barrier, 0
	.set _ZL13mul_mat_vec_qIL9ggml_type6ELi8ELb0ELb0EEvPKvS2_PKi31ggml_cuda_mm_fusion_args_devicePfj15HIP_vector_typeIjLj3EEjjjS8_jjjS8_jjjj.private_seg_size, 0
	.set _ZL13mul_mat_vec_qIL9ggml_type6ELi8ELb0ELb0EEvPKvS2_PKi31ggml_cuda_mm_fusion_args_devicePfj15HIP_vector_typeIjLj3EEjjjS8_jjjS8_jjjj.uses_vcc, 1
	.set _ZL13mul_mat_vec_qIL9ggml_type6ELi8ELb0ELb0EEvPKvS2_PKi31ggml_cuda_mm_fusion_args_devicePfj15HIP_vector_typeIjLj3EEjjjS8_jjjS8_jjjj.uses_flat_scratch, 0
	.set _ZL13mul_mat_vec_qIL9ggml_type6ELi8ELb0ELb0EEvPKvS2_PKi31ggml_cuda_mm_fusion_args_devicePfj15HIP_vector_typeIjLj3EEjjjS8_jjjS8_jjjj.has_dyn_sized_stack, 0
	.set _ZL13mul_mat_vec_qIL9ggml_type6ELi8ELb0ELb0EEvPKvS2_PKi31ggml_cuda_mm_fusion_args_devicePfj15HIP_vector_typeIjLj3EEjjjS8_jjjS8_jjjj.has_recursion, 0
	.set _ZL13mul_mat_vec_qIL9ggml_type6ELi8ELb0ELb0EEvPKvS2_PKi31ggml_cuda_mm_fusion_args_devicePfj15HIP_vector_typeIjLj3EEjjjS8_jjjS8_jjjj.has_indirect_call, 0
	.section	.AMDGPU.csdata,"",@progbits
; Kernel info:
; codeLenInByte = 3156
; TotalNumSgprs: 32
; NumVgprs: 87
; ScratchSize: 0
; MemoryBound: 0
; FloatMode: 240
; IeeeMode: 1
; LDSByteSize: 0 bytes/workgroup (compile time only)
; SGPRBlocks: 0
; VGPRBlocks: 10
; NumSGPRsForWavesPerEU: 32
; NumVGPRsForWavesPerEU: 87
; Occupancy: 16
; WaveLimiterHint : 0
; COMPUTE_PGM_RSRC2:SCRATCH_EN: 0
; COMPUTE_PGM_RSRC2:USER_SGPR: 2
; COMPUTE_PGM_RSRC2:TRAP_HANDLER: 0
; COMPUTE_PGM_RSRC2:TGID_X_EN: 1
; COMPUTE_PGM_RSRC2:TGID_Y_EN: 1
; COMPUTE_PGM_RSRC2:TGID_Z_EN: 1
; COMPUTE_PGM_RSRC2:TIDIG_COMP_CNT: 1
	.section	.text._ZL17mul_mat_vec_q_moeIL9ggml_type7ELi2EEvPKvS2_PKiPfj15HIP_vector_typeIjLj3EEjjjjjjjjj,"axG",@progbits,_ZL17mul_mat_vec_q_moeIL9ggml_type7ELi2EEvPKvS2_PKiPfj15HIP_vector_typeIjLj3EEjjjjjjjjj,comdat
	.globl	_ZL17mul_mat_vec_q_moeIL9ggml_type7ELi2EEvPKvS2_PKiPfj15HIP_vector_typeIjLj3EEjjjjjjjjj ; -- Begin function _ZL17mul_mat_vec_q_moeIL9ggml_type7ELi2EEvPKvS2_PKiPfj15HIP_vector_typeIjLj3EEjjjjjjjjj
	.p2align	8
	.type	_ZL17mul_mat_vec_q_moeIL9ggml_type7ELi2EEvPKvS2_PKiPfj15HIP_vector_typeIjLj3EEjjjjjjjjj,@function
_ZL17mul_mat_vec_q_moeIL9ggml_type7ELi2EEvPKvS2_PKiPfj15HIP_vector_typeIjLj3EEjjjjjjjjj: ; @_ZL17mul_mat_vec_q_moeIL9ggml_type7ELi2EEvPKvS2_PKiPfj15HIP_vector_typeIjLj3EEjjjjjjjjj
; %bb.0:
	s_load_b256 s[4:11], s[0:1], 0x30
	v_bfe_u32 v6, v0, 10, 10
	s_mov_b32 s2, exec_lo
	s_wait_kmcnt 0x0
	s_delay_alu instid0(VALU_DEP_1)
	v_cmpx_gt_u32_e64 s11, v6
	s_cbranch_execz .LBB48_7
; %bb.1:
	s_clause 0x2
	s_load_b32 s2, s[0:1], 0x20
	s_load_b32 s20, s[0:1], 0x50
	s_load_b256 s[12:19], s[0:1], 0x0
	v_bfe_u32 v8, v0, 1, 9
	v_dual_mov_b32 v0, 0 :: v_dual_and_b32 v7, 0x3ff, v0
	v_mov_b32_e32 v1, 0
	s_mov_b32 s11, exec_lo
	s_wait_kmcnt 0x0
	s_lshr_b32 s3, s2, 5
	s_lshl_b32 s2, ttmp9, 1
	v_cmpx_gt_u32_e64 s3, v8
	s_cbranch_execz .LBB48_5
; %bb.2:
	s_mov_b32 s22, ttmp7
	v_lshrrev_b32_e32 v5, 1, v7
	v_mad_co_u64_u32 v[0:1], null, s20, v6, s[22:23]
	v_dual_mov_b32 v1, 0 :: v_dual_and_b32 v4, 1, v7
	s_load_b96 s[20:22], s[0:1], 0x24
	s_mov_b32 s1, 0
	s_delay_alu instid0(VALU_DEP_1) | instskip(NEXT) | instid1(VALU_DEP_2)
	v_lshlrev_b32_e32 v10, 3, v4
	v_lshlrev_b64_e32 v[2:3], 2, v[0:1]
	s_delay_alu instid0(VALU_DEP_1) | instskip(NEXT) | instid1(VALU_DEP_1)
	v_add_co_u32 v2, vcc_lo, s16, v2
	v_add_co_ci_u32_e64 v3, null, s17, v3, vcc_lo
	global_load_b32 v0, v[2:3], off
	v_mul_lo_u32 v2, s6, v6
	v_lshlrev_b32_e32 v3, 1, v7
	s_wait_kmcnt 0x0
	s_mul_hi_u32 s0, s20, ttmp7
	s_add_co_i32 s6, s2, 1
	s_add_co_i32 s0, ttmp7, s0
	v_and_b32_e32 v14, 2, v3
	s_lshr_b32 s0, s0, s21
	v_mad_co_u64_u32 v[2:3], null, v2, 36, 0
	s_mul_i32 s0, s0, s22
	v_lshlrev_b32_e32 v9, 2, v14
	s_sub_co_i32 s0, ttmp7, s0
	s_delay_alu instid0(SALU_CYCLE_1) | instskip(SKIP_1) | instid1(VALU_DEP_2)
	s_mul_i32 s0, s0, s9
	v_mad_co_u64_u32 v[12:13], null, v5, 36, v[2:3]
	v_or_b32_e32 v11, 4, v9
	s_wait_loadcnt 0x0
	v_mul_lo_u32 v0, v0, s8
	s_mul_u64 s[8:9], s[0:1], 36
	s_wait_alu 0xfffe
	s_add_nc_u64 s[8:9], s[14:15], s[8:9]
	s_delay_alu instid0(VALU_DEP_1)
	v_mad_co_u64_u32 v[2:3], null, s2, s5, v[0:1]
	v_mad_co_u64_u32 v[3:4], null, s5, s6, v[0:1]
	s_wait_alu 0xfffe
	v_add_co_u32 v4, vcc_lo, s8, v12
	s_wait_alu 0xfffd
	v_add_co_ci_u32_e64 v5, null, s9, v13, vcc_lo
	v_lshlrev_b32_e32 v12, 2, v14
	v_mov_b32_e32 v0, v1
.LBB48_3:                               ; =>This Inner Loop Header: Depth=1
	v_add_nc_u32_e32 v15, v2, v8
	v_add_nc_u32_e32 v17, v3, v8
	v_add_co_u32 v13, vcc_lo, v4, v10
	s_wait_alu 0xfffd
	v_add_co_ci_u32_e64 v14, null, 0, v5, vcc_lo
	v_mad_co_i64_i32 v[15:16], null, v15, 24, s[12:13]
	v_mad_co_i64_i32 v[17:18], null, v17, 24, s[12:13]
	global_load_b64 v[19:20], v[13:14], off offset:4
	v_add_nc_u32_e32 v8, 16, v8
	v_add_co_u32 v21, vcc_lo, v15, v12
	s_wait_alu 0xfffd
	v_add_co_ci_u32_e64 v22, null, 0, v16, vcc_lo
	v_add_co_u32 v23, vcc_lo, v17, v12
	s_wait_alu 0xfffd
	v_add_co_ci_u32_e64 v24, null, 0, v18, vcc_lo
	s_clause 0x3
	global_load_b64 v[15:16], v[15:16], off
	global_load_b64 v[21:22], v[21:22], off offset:8
	global_load_b64 v[17:18], v[17:18], off
	global_load_b64 v[23:24], v[23:24], off offset:8
	s_clause 0x1
	global_load_b32 v25, v[4:5], off
	global_load_b64 v[13:14], v[13:14], off offset:20
	v_add_co_u32 v4, vcc_lo, 0x240, v4
	v_cmp_le_u32_e64 s0, s3, v8
	s_wait_alu 0xfffd
	v_add_co_ci_u32_e64 v5, null, 0, v5, vcc_lo
	s_or_b32 s1, s0, s1
	s_wait_loadcnt 0x5
	v_ashrrev_i32_e32 v26, v9, v16
	v_ashrrev_i32_e32 v16, v11, v16
	s_wait_loadcnt 0x3
	v_ashrrev_i32_e32 v44, v9, v18
	v_and_b32_e32 v27, 0xf0f0f0f, v21
	s_wait_loadcnt 0x1
	v_pk_mul_f16 v15, v15, v25
	v_lshlrev_b32_e32 v28, 4, v26
	v_lshlrev_b32_e32 v29, 11, v26
	;; [unrolled: 1-line block ×4, first 2 shown]
	v_lshrrev_b32_e32 v32, 12, v26
	v_lshrrev_b32_e32 v33, 5, v26
	v_lshlrev_b32_e32 v34, 2, v26
	v_lshlrev_b32_e32 v36, 4, v16
	v_lshlrev_b32_e32 v37, 11, v16
	v_lshlrev_b32_e32 v38, 18, v16
	v_lshlrev_b32_e32 v39, 25, v16
	v_lshrrev_b32_e32 v40, 12, v16
	v_lshrrev_b32_e32 v41, 5, v16
	v_lshlrev_b32_e32 v42, 2, v16
	v_pk_mul_f16 v17, v17, v25
	v_and_b32_e32 v25, 16, v28
	v_and_b32_e32 v28, 0x1000, v29
	v_and_b32_e32 v29, 0x100000, v30
	v_and_b32_e32 v30, 0x10000000, v31
	v_and_b32_e32 v31, 16, v32
	v_and_b32_e32 v32, 0x1000, v33
	v_and_b32_e32 v33, 0x100000, v34
	v_and_b32_e32 v34, 16, v36
	v_and_b32_e32 v36, 0x1000, v37
	v_and_b32_e32 v37, 0x100000, v38
	v_and_b32_e32 v38, 0x10000000, v39
	v_and_b32_e32 v39, 16, v40
	v_and_b32_e32 v40, 0x1000, v41
	v_and_b32_e32 v41, 0x100000, v42
	v_lshlrev_b32_e32 v42, 4, v44
	v_lshlrev_b32_e32 v47, 11, v44
	v_ashrrev_i32_e32 v18, v11, v18
	v_and_b32_e32 v45, 0xf0f0f0f, v23
	v_lshlrev_b32_e32 v48, 18, v44
	v_lshlrev_b32_e32 v49, 25, v44
	v_lshrrev_b32_e32 v50, 12, v44
	v_lshrrev_b32_e32 v51, 5, v44
	v_lshlrev_b32_e32 v52, 2, v44
	v_or3_b32 v25, v25, v27, v28
	v_or3_b32 v27, v32, v31, v33
	v_and_b32_e32 v32, 16, v42
	v_and_b32_e32 v33, 0x1000, v47
	v_lshrrev_b32_e32 v21, 4, v21
	v_lshlrev_b32_e32 v26, 9, v26
	v_lshrrev_b32_e32 v23, 4, v23
	v_lshlrev_b32_e32 v44, 9, v44
	v_lshlrev_b32_e32 v53, 4, v18
	;; [unrolled: 1-line block ×4, first 2 shown]
	v_or3_b32 v28, v36, v34, v37
	v_or3_b32 v31, v40, v39, v41
	v_and_b32_e32 v34, 0x100000, v48
	v_and_b32_e32 v36, 0x10000000, v49
	;; [unrolled: 1-line block ×5, first 2 shown]
	v_or3_b32 v32, v32, v45, v33
	v_and_b32_e32 v21, 0xf0f0f0f, v21
	v_and_b32_e32 v26, 0x10000000, v26
	;; [unrolled: 1-line block ×3, first 2 shown]
	v_lshlrev_b32_e32 v56, 25, v18
	v_lshrrev_b32_e32 v57, 12, v18
	v_lshrrev_b32_e32 v58, 5, v18
	v_lshlrev_b32_e32 v59, 2, v18
	v_and_b32_e32 v41, 0x10000000, v44
	v_and_b32_e32 v42, 16, v53
	;; [unrolled: 1-line block ×4, first 2 shown]
	v_or3_b32 v25, v25, v29, v30
	v_or3_b32 v29, v39, v37, v40
	;; [unrolled: 1-line block ×3, first 2 shown]
	v_and_b32_e32 v35, 0xf0f0f0f, v22
	v_lshrrev_b32_e32 v22, 4, v22
	v_lshlrev_b32_e32 v16, 9, v16
	v_and_b32_e32 v46, 0xf0f0f0f, v24
	v_lshrrev_b32_e32 v24, 4, v24
	v_lshlrev_b32_e32 v18, 9, v18
	v_and_b32_e32 v48, 0x10000000, v56
	v_and_b32_e32 v49, 16, v57
	v_and_b32_e32 v50, 0x1000, v58
	v_and_b32_e32 v33, 0x100000, v59
	v_or3_b32 v21, v27, v26, v21
	v_or3_b32 v26, v44, v42, v47
	v_dot4_i32_iu8 v25, v25, v19, 0 neg_lo:[1,1,0]
	v_or3_b32 v23, v29, v41, v23
	v_dot4_i32_iu8 v19, v30, v19, 0 neg_lo:[1,1,0]
	v_and_b32_e32 v22, 0xf0f0f0f, v22
	v_and_b32_e32 v16, 0x10000000, v16
	;; [unrolled: 1-line block ×4, first 2 shown]
	v_or3_b32 v27, v28, v38, v35
	v_or3_b32 v28, v50, v49, v33
	;; [unrolled: 1-line block ×3, first 2 shown]
	s_wait_loadcnt 0x0
	v_dot4_i32_iu8 v21, v21, v13, v25 neg_lo:[1,1,0]
	v_dot4_i32_iu8 v13, v23, v13, v19 neg_lo:[1,1,0]
	v_lshrrev_b32_e32 v43, 16, v15
	v_lshrrev_b32_e32 v19, 16, v17
	v_or3_b32 v16, v31, v16, v22
	v_or3_b32 v18, v28, v18, v24
	v_dot4_i32_iu8 v21, v27, v20, v21 neg_lo:[1,1,0]
	v_dot4_i32_iu8 v13, v26, v20, v13 neg_lo:[1,1,0]
	v_cvt_f32_f16_e32 v20, v43
	v_cvt_f32_f16_e32 v19, v19
	s_delay_alu instid0(VALU_DEP_4) | instskip(NEXT) | instid1(VALU_DEP_4)
	v_dot4_i32_iu8 v16, v16, v14, v21 neg_lo:[1,1,0]
	v_dot4_i32_iu8 v13, v18, v14, v13 neg_lo:[1,1,0]
	s_delay_alu instid0(VALU_DEP_4) | instskip(NEXT) | instid1(VALU_DEP_4)
	v_mul_f32_e32 v14, 0.5, v20
	v_mul_f32_e32 v18, 0.5, v19
	s_delay_alu instid0(VALU_DEP_4) | instskip(NEXT) | instid1(VALU_DEP_4)
	v_cvt_f32_i32_e32 v16, v16
	v_cvt_f32_i32_e32 v13, v13
	s_delay_alu instid0(VALU_DEP_2) | instskip(NEXT) | instid1(VALU_DEP_2)
	v_fma_mix_f32 v14, v16, v15, v14 op_sel_hi:[0,1,0]
	v_fma_mix_f32 v13, v13, v17, v18 op_sel_hi:[0,1,0]
	s_delay_alu instid0(VALU_DEP_1)
	v_dual_add_f32 v1, v1, v14 :: v_dual_add_f32 v0, v0, v13
	s_and_not1_b32 exec_lo, exec_lo, s1
	s_cbranch_execnz .LBB48_3
; %bb.4:
	s_or_b32 exec_lo, exec_lo, s1
.LBB48_5:
	s_wait_alu 0xfffe
	s_or_b32 exec_lo, exec_lo, s11
	v_mbcnt_lo_u32_b32 v2, -1, 0
	s_delay_alu instid0(VALU_DEP_1) | instskip(SKIP_1) | instid1(VALU_DEP_2)
	v_xor_b32_e32 v3, 16, v2
	v_xor_b32_e32 v5, 8, v2
	v_cmp_gt_i32_e32 vcc_lo, 32, v3
	s_wait_alu 0xfffd
	v_cndmask_b32_e32 v3, v2, v3, vcc_lo
	s_delay_alu instid0(VALU_DEP_3) | instskip(NEXT) | instid1(VALU_DEP_2)
	v_cmp_gt_i32_e32 vcc_lo, 32, v5
	v_lshlrev_b32_e32 v3, 2, v3
	ds_bpermute_b32 v4, v3, v1
	ds_bpermute_b32 v3, v3, v0
	s_wait_alu 0xfffd
	v_cndmask_b32_e32 v5, v2, v5, vcc_lo
	s_wait_dscnt 0x0
	v_dual_add_f32 v1, v1, v4 :: v_dual_add_f32 v0, v0, v3
	s_delay_alu instid0(VALU_DEP_2) | instskip(SKIP_3) | instid1(VALU_DEP_1)
	v_lshlrev_b32_e32 v5, 2, v5
	ds_bpermute_b32 v3, v5, v1
	ds_bpermute_b32 v4, v5, v0
	v_xor_b32_e32 v5, 4, v2
	v_cmp_gt_i32_e32 vcc_lo, 32, v5
	s_wait_alu 0xfffd
	v_cndmask_b32_e32 v5, v2, v5, vcc_lo
	s_delay_alu instid0(VALU_DEP_1)
	v_lshlrev_b32_e32 v5, 2, v5
	s_wait_dscnt 0x0
	v_dual_add_f32 v1, v1, v3 :: v_dual_add_f32 v0, v0, v4
	ds_bpermute_b32 v3, v5, v1
	ds_bpermute_b32 v4, v5, v0
	v_xor_b32_e32 v5, 2, v2
	s_delay_alu instid0(VALU_DEP_1) | instskip(SKIP_2) | instid1(VALU_DEP_1)
	v_cmp_gt_i32_e32 vcc_lo, 32, v5
	s_wait_alu 0xfffd
	v_cndmask_b32_e32 v5, v2, v5, vcc_lo
	v_lshlrev_b32_e32 v5, 2, v5
	s_wait_dscnt 0x1
	v_add_f32_e32 v1, v1, v3
	s_wait_dscnt 0x0
	v_add_f32_e32 v3, v0, v4
	ds_bpermute_b32 v0, v5, v1
	ds_bpermute_b32 v4, v5, v3
	v_xor_b32_e32 v5, 1, v2
	s_delay_alu instid0(VALU_DEP_1) | instskip(SKIP_4) | instid1(VALU_DEP_2)
	v_cmp_gt_i32_e32 vcc_lo, 32, v5
	s_wait_alu 0xfffd
	v_cndmask_b32_e32 v2, v2, v5, vcc_lo
	v_cmp_gt_u32_e32 vcc_lo, 2, v7
	s_wait_dscnt 0x1
	v_dual_add_f32 v0, v1, v0 :: v_dual_lshlrev_b32 v5, 2, v2
	s_wait_dscnt 0x0
	v_dual_add_f32 v1, v3, v4 :: v_dual_add_nc_u32 v4, s2, v7
	ds_bpermute_b32 v2, v5, v0
	ds_bpermute_b32 v3, v5, v1
	v_cmp_gt_u32_e64 s0, s4, v4
	s_and_b32 s0, vcc_lo, s0
	s_delay_alu instid0(SALU_CYCLE_1)
	s_and_b32 exec_lo, exec_lo, s0
	s_cbranch_execz .LBB48_7
; %bb.6:
	v_mul_lo_u32 v4, s7, v6
	v_or_b32_e32 v6, s2, v7
	s_mul_i32 s0, s10, ttmp7
	s_wait_dscnt 0x1
	v_dual_mov_b32 v5, 0 :: v_dual_add_f32 v2, v0, v2
	s_wait_dscnt 0x0
	v_add_f32_e32 v3, v1, v3
	v_cmp_eq_u32_e32 vcc_lo, 1, v7
	v_add3_u32 v4, v6, v4, s0
	s_wait_alu 0xfffd
	s_delay_alu instid0(VALU_DEP_3) | instskip(NEXT) | instid1(VALU_DEP_2)
	v_cndmask_b32_e32 v2, v2, v3, vcc_lo
	v_lshlrev_b64_e32 v[0:1], 2, v[4:5]
	s_delay_alu instid0(VALU_DEP_1) | instskip(SKIP_1) | instid1(VALU_DEP_2)
	v_add_co_u32 v0, vcc_lo, s18, v0
	s_wait_alu 0xfffd
	v_add_co_ci_u32_e64 v1, null, s19, v1, vcc_lo
	global_store_b32 v[0:1], v2, off
.LBB48_7:
	s_endpgm
	.section	.rodata,"a",@progbits
	.p2align	6, 0x0
	.amdhsa_kernel _ZL17mul_mat_vec_q_moeIL9ggml_type7ELi2EEvPKvS2_PKiPfj15HIP_vector_typeIjLj3EEjjjjjjjjj
		.amdhsa_group_segment_fixed_size 0
		.amdhsa_private_segment_fixed_size 0
		.amdhsa_kernarg_size 84
		.amdhsa_user_sgpr_count 2
		.amdhsa_user_sgpr_dispatch_ptr 0
		.amdhsa_user_sgpr_queue_ptr 0
		.amdhsa_user_sgpr_kernarg_segment_ptr 1
		.amdhsa_user_sgpr_dispatch_id 0
		.amdhsa_user_sgpr_private_segment_size 0
		.amdhsa_wavefront_size32 1
		.amdhsa_uses_dynamic_stack 0
		.amdhsa_enable_private_segment 0
		.amdhsa_system_sgpr_workgroup_id_x 1
		.amdhsa_system_sgpr_workgroup_id_y 1
		.amdhsa_system_sgpr_workgroup_id_z 0
		.amdhsa_system_sgpr_workgroup_info 0
		.amdhsa_system_vgpr_workitem_id 1
		.amdhsa_next_free_vgpr 60
		.amdhsa_next_free_sgpr 24
		.amdhsa_reserve_vcc 1
		.amdhsa_float_round_mode_32 0
		.amdhsa_float_round_mode_16_64 0
		.amdhsa_float_denorm_mode_32 3
		.amdhsa_float_denorm_mode_16_64 3
		.amdhsa_fp16_overflow 0
		.amdhsa_workgroup_processor_mode 1
		.amdhsa_memory_ordered 1
		.amdhsa_forward_progress 1
		.amdhsa_inst_pref_size 14
		.amdhsa_round_robin_scheduling 0
		.amdhsa_exception_fp_ieee_invalid_op 0
		.amdhsa_exception_fp_denorm_src 0
		.amdhsa_exception_fp_ieee_div_zero 0
		.amdhsa_exception_fp_ieee_overflow 0
		.amdhsa_exception_fp_ieee_underflow 0
		.amdhsa_exception_fp_ieee_inexact 0
		.amdhsa_exception_int_div_zero 0
	.end_amdhsa_kernel
	.section	.text._ZL17mul_mat_vec_q_moeIL9ggml_type7ELi2EEvPKvS2_PKiPfj15HIP_vector_typeIjLj3EEjjjjjjjjj,"axG",@progbits,_ZL17mul_mat_vec_q_moeIL9ggml_type7ELi2EEvPKvS2_PKiPfj15HIP_vector_typeIjLj3EEjjjjjjjjj,comdat
.Lfunc_end48:
	.size	_ZL17mul_mat_vec_q_moeIL9ggml_type7ELi2EEvPKvS2_PKiPfj15HIP_vector_typeIjLj3EEjjjjjjjjj, .Lfunc_end48-_ZL17mul_mat_vec_q_moeIL9ggml_type7ELi2EEvPKvS2_PKiPfj15HIP_vector_typeIjLj3EEjjjjjjjjj
                                        ; -- End function
	.set _ZL17mul_mat_vec_q_moeIL9ggml_type7ELi2EEvPKvS2_PKiPfj15HIP_vector_typeIjLj3EEjjjjjjjjj.num_vgpr, 60
	.set _ZL17mul_mat_vec_q_moeIL9ggml_type7ELi2EEvPKvS2_PKiPfj15HIP_vector_typeIjLj3EEjjjjjjjjj.num_agpr, 0
	.set _ZL17mul_mat_vec_q_moeIL9ggml_type7ELi2EEvPKvS2_PKiPfj15HIP_vector_typeIjLj3EEjjjjjjjjj.numbered_sgpr, 24
	.set _ZL17mul_mat_vec_q_moeIL9ggml_type7ELi2EEvPKvS2_PKiPfj15HIP_vector_typeIjLj3EEjjjjjjjjj.num_named_barrier, 0
	.set _ZL17mul_mat_vec_q_moeIL9ggml_type7ELi2EEvPKvS2_PKiPfj15HIP_vector_typeIjLj3EEjjjjjjjjj.private_seg_size, 0
	.set _ZL17mul_mat_vec_q_moeIL9ggml_type7ELi2EEvPKvS2_PKiPfj15HIP_vector_typeIjLj3EEjjjjjjjjj.uses_vcc, 1
	.set _ZL17mul_mat_vec_q_moeIL9ggml_type7ELi2EEvPKvS2_PKiPfj15HIP_vector_typeIjLj3EEjjjjjjjjj.uses_flat_scratch, 0
	.set _ZL17mul_mat_vec_q_moeIL9ggml_type7ELi2EEvPKvS2_PKiPfj15HIP_vector_typeIjLj3EEjjjjjjjjj.has_dyn_sized_stack, 0
	.set _ZL17mul_mat_vec_q_moeIL9ggml_type7ELi2EEvPKvS2_PKiPfj15HIP_vector_typeIjLj3EEjjjjjjjjj.has_recursion, 0
	.set _ZL17mul_mat_vec_q_moeIL9ggml_type7ELi2EEvPKvS2_PKiPfj15HIP_vector_typeIjLj3EEjjjjjjjjj.has_indirect_call, 0
	.section	.AMDGPU.csdata,"",@progbits
; Kernel info:
; codeLenInByte = 1740
; TotalNumSgprs: 26
; NumVgprs: 60
; ScratchSize: 0
; MemoryBound: 0
; FloatMode: 240
; IeeeMode: 1
; LDSByteSize: 0 bytes/workgroup (compile time only)
; SGPRBlocks: 0
; VGPRBlocks: 7
; NumSGPRsForWavesPerEU: 26
; NumVGPRsForWavesPerEU: 60
; Occupancy: 16
; WaveLimiterHint : 1
; COMPUTE_PGM_RSRC2:SCRATCH_EN: 0
; COMPUTE_PGM_RSRC2:USER_SGPR: 2
; COMPUTE_PGM_RSRC2:TRAP_HANDLER: 0
; COMPUTE_PGM_RSRC2:TGID_X_EN: 1
; COMPUTE_PGM_RSRC2:TGID_Y_EN: 1
; COMPUTE_PGM_RSRC2:TGID_Z_EN: 0
; COMPUTE_PGM_RSRC2:TIDIG_COMP_CNT: 1
	.section	.text._ZL13mul_mat_vec_qIL9ggml_type7ELi1ELb1ELb1EEvPKvS2_PKi31ggml_cuda_mm_fusion_args_devicePfj15HIP_vector_typeIjLj3EEjjjS8_jjjS8_jjjj,"axG",@progbits,_ZL13mul_mat_vec_qIL9ggml_type7ELi1ELb1ELb1EEvPKvS2_PKi31ggml_cuda_mm_fusion_args_devicePfj15HIP_vector_typeIjLj3EEjjjS8_jjjS8_jjjj,comdat
	.globl	_ZL13mul_mat_vec_qIL9ggml_type7ELi1ELb1ELb1EEvPKvS2_PKi31ggml_cuda_mm_fusion_args_devicePfj15HIP_vector_typeIjLj3EEjjjS8_jjjS8_jjjj ; -- Begin function _ZL13mul_mat_vec_qIL9ggml_type7ELi1ELb1ELb1EEvPKvS2_PKi31ggml_cuda_mm_fusion_args_devicePfj15HIP_vector_typeIjLj3EEjjjS8_jjjS8_jjjj
	.p2align	8
	.type	_ZL13mul_mat_vec_qIL9ggml_type7ELi1ELb1ELb1EEvPKvS2_PKi31ggml_cuda_mm_fusion_args_devicePfj15HIP_vector_typeIjLj3EEjjjS8_jjjS8_jjjj,@function
_ZL13mul_mat_vec_qIL9ggml_type7ELi1ELb1ELb1EEvPKvS2_PKi31ggml_cuda_mm_fusion_args_devicePfj15HIP_vector_typeIjLj3EEjjjS8_jjjS8_jjjj: ; @_ZL13mul_mat_vec_qIL9ggml_type7ELi1ELb1ELb1EEvPKvS2_PKi31ggml_cuda_mm_fusion_args_devicePfj15HIP_vector_typeIjLj3EEjjjS8_jjjS8_jjjj
; %bb.0:
	s_clause 0x3
	s_load_b256 s[8:15], s[0:1], 0x0
	s_load_b128 s[16:19], s[0:1], 0x20
	s_load_b128 s[20:23], s[0:1], 0x40
	;; [unrolled: 1-line block ×3, first 2 shown]
	s_and_b32 s27, ttmp7, 0xffff
	s_wait_kmcnt 0x0
	s_cmp_lg_u64 s[12:13], 0
	s_cselect_b32 s2, -1, 0
	s_cmp_eq_u64 s[12:13], 0
	s_cbranch_scc1 .LBB49_42
; %bb.1:
	s_lshl_b32 s3, s27, 2
	s_load_b32 s28, s[12:13], s3 offset:0x0
	s_clause 0x1
	s_load_b32 s29, s[0:1], 0x50
	s_load_b32 s30, s[0:1], 0x78
	s_cbranch_execnz .LBB49_3
.LBB49_2:
	s_load_b64 s[12:13], s[0:1], 0x5c
	s_wait_kmcnt 0x0
	s_mul_hi_u32 s3, s12, s27
	s_delay_alu instid0(SALU_CYCLE_1) | instskip(NEXT) | instid1(SALU_CYCLE_1)
	s_add_co_i32 s3, s27, s3
	s_lshr_b32 s28, s3, s13
.LBB49_3:
	s_and_not1_b32 vcc_lo, exec_lo, s2
	s_mov_b32 s3, s27
	s_mov_b32 s31, s27
	s_cbranch_vccnz .LBB49_5
; %bb.4:
	s_mul_hi_u32 s2, s21, s27
	s_wait_kmcnt 0x0
	s_mov_b32 s3, s28
	s_add_co_i32 s2, s27, s2
	s_delay_alu instid0(SALU_CYCLE_1) | instskip(NEXT) | instid1(SALU_CYCLE_1)
	s_lshr_b32 s2, s2, s22
	s_mul_i32 s2, s2, s23
	s_delay_alu instid0(SALU_CYCLE_1)
	s_sub_co_i32 s31, s27, s2
.LBB49_5:
	s_load_b96 s[24:26], s[0:1], 0x80
	v_bfe_u32 v16, v0, 10, 10
	v_dual_mov_b32 v12, 0 :: v_dual_and_b32 v11, 0x3ff, v0
	s_lshr_b32 s21, ttmp7, 16
	s_cmp_lg_u64 s[14:15], 0
	s_delay_alu instid0(VALU_DEP_1) | instskip(SKIP_4) | instid1(VALU_DEP_1)
	v_dual_mov_b32 v13, 0 :: v_dual_lshlrev_b32 v10, 2, v11
	v_or_b32_e32 v0, v11, v16
	s_cselect_b32 s2, -1, 0
	s_mov_b32 s23, 0
	s_mul_i32 s12, s3, s6
	v_cmp_eq_u32_e32 vcc_lo, 0, v0
	s_and_b32 s13, s2, vcc_lo
	s_delay_alu instid0(SALU_CYCLE_1)
	s_and_saveexec_b32 s3, s13
	s_cbranch_execz .LBB49_7
; %bb.6:
	s_wait_kmcnt 0x0
	s_mul_i32 s22, s26, s21
	s_mov_b32 s13, s23
	s_lshl_b64 s[36:37], s[22:23], 2
	s_mov_b32 s34, ttmp9
	s_add_nc_u64 s[14:15], s[14:15], s[36:37]
	s_lshl_b64 s[22:23], s[12:13], 2
	s_ashr_i32 s35, ttmp9, 31
	s_add_nc_u64 s[14:15], s[14:15], s[22:23]
	s_lshl_b64 s[22:23], s[34:35], 2
	s_delay_alu instid0(SALU_CYCLE_1)
	s_add_nc_u64 s[14:15], s[14:15], s[22:23]
	global_load_b32 v13, v10, s[14:15]
.LBB49_7:
	s_or_b32 exec_lo, exec_lo, s3
	s_cmp_lg_u64 s[16:17], 0
	s_cselect_b32 s14, -1, 0
	s_cmp_lg_u64 s[18:19], 0
	s_cselect_b32 s3, -1, 0
	s_delay_alu instid0(SALU_CYCLE_1) | instskip(NEXT) | instid1(SALU_CYCLE_1)
	s_and_b32 s13, s3, s14
	s_and_b32 s13, s13, vcc_lo
	s_delay_alu instid0(SALU_CYCLE_1)
	s_and_saveexec_b32 s15, s13
	s_cbranch_execz .LBB49_9
; %bb.8:
	s_wait_kmcnt 0x0
	s_mul_i32 s34, s26, s21
	s_mov_b32 s35, 0
	s_mov_b32 s22, ttmp9
	s_lshl_b64 s[36:37], s[34:35], 2
	s_mov_b32 s13, s35
	s_add_nc_u64 s[18:19], s[18:19], s[36:37]
	s_lshl_b64 s[12:13], s[12:13], 2
	s_ashr_i32 s23, ttmp9, 31
	s_add_nc_u64 s[12:13], s[18:19], s[12:13]
	s_lshl_b64 s[18:19], s[22:23], 2
	s_delay_alu instid0(SALU_CYCLE_1)
	s_add_nc_u64 s[12:13], s[12:13], s[18:19]
	global_load_b32 v12, v10, s[12:13]
.LBB49_9:
	s_or_b32 exec_lo, exec_lo, s15
	v_dual_mov_b32 v17, 0 :: v_dual_lshlrev_b32 v0, 5, v16
	v_cndmask_b32_e64 v14, 0, 1, s14
	s_lshr_b32 s15, s20, 5
	s_mov_b32 s18, exec_lo
	s_delay_alu instid0(VALU_DEP_2) | instskip(SKIP_1) | instid1(VALU_DEP_2)
	v_add_nc_u16 v1, v0, v11
	v_mov_b32_e32 v15, 0
	v_lshrrev_b16 v1, 1, v1
	s_delay_alu instid0(VALU_DEP_1) | instskip(SKIP_1) | instid1(VALU_DEP_1)
	v_and_b32_e32 v18, 0xffff, v1
	s_wait_alu 0xfffe
	v_cmpx_gt_u32_e64 s15, v18
	s_cbranch_execz .LBB49_15
; %bb.10:
	s_mul_i32 s22, s31, s5
	s_mul_hi_u32 s5, s7, s21
	v_lshlrev_b32_e32 v1, 1, v11
	v_dual_mov_b32 v17, 0 :: v_dual_add_nc_u32 v0, v0, v11
	s_add_co_i32 s5, s21, s5
	s_wait_kmcnt 0x0
	s_mul_i32 s12, s25, s21
	s_mov_b32 s13, 0
	s_lshr_b32 s5, s5, s30
	v_dual_mov_b32 v15, 0 :: v_dual_and_b32 v2, 2, v1
	s_mov_b32 s23, s13
	s_mul_i32 s7, s28, s4
	s_mul_i32 s19, s5, s24
	s_mul_u64 s[4:5], s[12:13], 36
	v_lshrrev_b32_e32 v0, 1, v0
	s_mul_u64 s[22:23], s[22:23], 36
	s_add_nc_u64 s[4:5], s[10:11], s[4:5]
	v_lshlrev_b32_e32 v19, 2, v2
	v_and_b32_e32 v3, 1, v11
	s_add_nc_u64 s[4:5], s[4:5], s[22:23]
	s_mul_i32 s29, s29, ttmp9
	v_mad_co_u64_u32 v[0:1], null, v0, 36, s[4:5]
	v_or_b32_e32 v20, 4, v19
	v_lshlrev_b32_e32 v21, 3, v3
	v_lshlrev_b32_e32 v22, 2, v2
	s_add_co_i32 s19, s19, s29
	s_delay_alu instid0(SALU_CYCLE_1)
	s_add_co_i32 s5, s7, s19
	s_branch .LBB49_12
.LBB49_11:                              ;   in Loop: Header=BB49_12 Depth=1
	s_wait_loadcnt 0x4
	v_ashrrev_i32_e32 v24, v19, v5
	s_wait_loadcnt 0x3
	v_and_b32_e32 v25, 0xf0f0f0f, v8
	v_lshrrev_b32_e32 v8, 4, v8
	v_ashrrev_i32_e32 v5, v20, v5
	s_wait_loadcnt 0x0
	v_pk_mul_f16 v4, v4, v23
	v_lshlrev_b32_e32 v26, 4, v24
	v_lshlrev_b32_e32 v27, 11, v24
	;; [unrolled: 1-line block ×4, first 2 shown]
	v_lshrrev_b32_e32 v30, 12, v24
	v_and_b32_e32 v26, 16, v26
	v_and_b32_e32 v27, 0x1000, v27
	v_lshrrev_b32_e32 v31, 5, v24
	v_lshlrev_b32_e32 v32, 2, v24
	v_and_b32_e32 v28, 0x100000, v28
	v_and_b32_e32 v29, 0x10000000, v29
	v_or3_b32 v25, v26, v25, v27
	v_lshlrev_b32_e32 v24, 9, v24
	v_and_b32_e32 v26, 16, v30
	v_and_b32_e32 v27, 0x1000, v31
	;; [unrolled: 1-line block ×3, first 2 shown]
	v_or3_b32 v25, v25, v28, v29
	v_and_b32_e32 v8, 0xf0f0f0f, v8
	v_and_b32_e32 v24, 0x10000000, v24
	v_lshlrev_b32_e32 v28, 18, v5
	v_or3_b32 v26, v27, v26, v30
	v_lshlrev_b32_e32 v27, 4, v5
	v_dot4_i32_iu8 v6, v25, v6, 0 neg_lo:[1,1,0]
	v_lshlrev_b32_e32 v25, 11, v5
	v_lshrrev_b32_e32 v29, 12, v5
	v_or3_b32 v8, v26, v24, v8
	v_and_b32_e32 v26, 16, v27
	v_and_b32_e32 v27, 0x100000, v28
	;; [unrolled: 1-line block ×3, first 2 shown]
	v_lshlrev_b32_e32 v24, 25, v5
	v_lshrrev_b32_e32 v30, 5, v5
	v_and_b32_e32 v28, 0xf0f0f0f, v9
	v_lshrrev_b32_e32 v9, 4, v9
	v_or3_b32 v25, v25, v26, v27
	v_lshlrev_b32_e32 v26, 2, v5
	v_and_b32_e32 v24, 0x10000000, v24
	v_and_b32_e32 v27, 16, v29
	;; [unrolled: 1-line block ×3, first 2 shown]
	v_lshlrev_b32_e32 v5, 9, v5
	v_and_b32_e32 v26, 0x100000, v26
	v_dot4_i32_iu8 v2, v8, v2, v6 neg_lo:[1,1,0]
	v_or3_b32 v6, v25, v24, v28
	v_and_b32_e32 v8, 0xf0f0f0f, v9
	v_and_b32_e32 v5, 0x10000000, v5
	v_or3_b32 v9, v29, v27, v26
	v_add_nc_u32_e32 v18, 0x80, v18
	v_dot4_i32_iu8 v2, v6, v7, v2 neg_lo:[1,1,0]
	v_lshrrev_b32_e32 v6, 16, v4
	v_add_co_u32 v0, s4, 0x1200, v0
	v_or3_b32 v5, v9, v5, v8
	v_cmp_le_u32_e32 vcc_lo, s15, v18
	s_wait_alu 0xf1ff
	v_add_co_ci_u32_e64 v1, null, 0, v1, s4
	s_delay_alu instid0(VALU_DEP_3) | instskip(SKIP_2) | instid1(VALU_DEP_2)
	v_dot4_i32_iu8 v2, v5, v3, v2 neg_lo:[1,1,0]
	v_cvt_f32_f16_e32 v3, v6
	s_or_b32 s13, vcc_lo, s13
	v_cvt_f32_i32_e32 v2, v2
	s_delay_alu instid0(VALU_DEP_2) | instskip(NEXT) | instid1(VALU_DEP_1)
	v_mul_f32_e32 v3, 0.5, v3
	v_fma_mix_f32 v2, v2, v4, v3 op_sel_hi:[0,1,0]
	s_delay_alu instid0(VALU_DEP_1)
	v_add_f32_e32 v17, v17, v2
	s_and_not1_b32 exec_lo, exec_lo, s13
	s_cbranch_execz .LBB49_14
.LBB49_12:                              ; =>This Inner Loop Header: Depth=1
	s_wait_alu 0xfffe
	v_add_nc_u32_e32 v24, s5, v18
	s_delay_alu instid0(VALU_DEP_1) | instskip(NEXT) | instid1(VALU_DEP_1)
	v_mad_co_i64_i32 v[2:3], null, v24, 24, s[8:9]
	v_add_co_u32 v6, vcc_lo, v2, v22
	s_wait_alu 0xfffd
	s_delay_alu instid0(VALU_DEP_2)
	v_add_co_ci_u32_e64 v7, null, 0, v3, vcc_lo
	v_add_co_u32 v25, vcc_lo, v0, v21
	s_wait_alu 0xfffd
	v_add_co_ci_u32_e64 v26, null, 0, v1, vcc_lo
	s_clause 0x1
	global_load_b64 v[4:5], v[2:3], off
	global_load_b64 v[8:9], v[6:7], off offset:8
	s_clause 0x2
	global_load_b64 v[6:7], v[25:26], off offset:4
	global_load_b64 v[2:3], v[25:26], off offset:20
	global_load_b32 v23, v[0:1], off
	s_and_not1_b32 vcc_lo, exec_lo, s14
	s_wait_alu 0xfffe
	s_cbranch_vccnz .LBB49_11
; %bb.13:                               ;   in Loop: Header=BB49_12 Depth=1
	v_mad_co_i64_i32 v[24:25], null, v24, 24, s[16:17]
	s_delay_alu instid0(VALU_DEP_1) | instskip(SKIP_1) | instid1(VALU_DEP_2)
	v_add_co_u32 v26, vcc_lo, v24, v22
	s_wait_alu 0xfffd
	v_add_co_ci_u32_e64 v27, null, 0, v25, vcc_lo
	s_clause 0x1
	global_load_b64 v[24:25], v[24:25], off
	global_load_b64 v[26:27], v[26:27], off offset:8
	s_wait_loadcnt 0x1
	v_ashrrev_i32_e32 v28, v19, v25
	v_ashrrev_i32_e32 v25, v20, v25
	s_wait_loadcnt 0x0
	v_and_b32_e32 v29, 0xf0f0f0f, v26
	v_lshrrev_b32_e32 v26, 4, v26
	v_and_b32_e32 v37, 0xf0f0f0f, v27
	v_lshlrev_b32_e32 v30, 4, v28
	v_lshlrev_b32_e32 v31, 11, v28
	v_lshlrev_b32_e32 v32, 18, v28
	v_lshlrev_b32_e32 v33, 25, v28
	v_lshrrev_b32_e32 v34, 12, v28
	v_lshrrev_b32_e32 v35, 5, v28
	v_lshlrev_b32_e32 v36, 2, v28
	v_and_b32_e32 v30, 16, v30
	v_and_b32_e32 v31, 0x1000, v31
	v_lshlrev_b32_e32 v28, 9, v28
	v_lshlrev_b32_e32 v38, 4, v25
	;; [unrolled: 1-line block ×3, first 2 shown]
	v_and_b32_e32 v32, 0x100000, v32
	v_and_b32_e32 v33, 0x10000000, v33
	;; [unrolled: 1-line block ×5, first 2 shown]
	v_or3_b32 v29, v30, v29, v31
	v_lshlrev_b32_e32 v40, 18, v25
	v_lshlrev_b32_e32 v41, 25, v25
	v_lshrrev_b32_e32 v42, 12, v25
	v_lshrrev_b32_e32 v43, 5, v25
	v_lshlrev_b32_e32 v44, 2, v25
	v_and_b32_e32 v26, 0xf0f0f0f, v26
	v_and_b32_e32 v28, 0x10000000, v28
	;; [unrolled: 1-line block ×4, first 2 shown]
	v_or3_b32 v34, v35, v34, v36
	v_or3_b32 v29, v29, v32, v33
	v_lshrrev_b32_e32 v27, 4, v27
	v_lshlrev_b32_e32 v25, 9, v25
	v_and_b32_e32 v30, 0x100000, v40
	v_and_b32_e32 v31, 0x10000000, v41
	;; [unrolled: 1-line block ×5, first 2 shown]
	v_or3_b32 v35, v38, v37, v39
	v_or3_b32 v26, v34, v28, v26
	v_dot4_i32_iu8 v28, v29, v6, 0 neg_lo:[1,1,0]
	v_and_b32_e32 v27, 0xf0f0f0f, v27
	v_and_b32_e32 v25, 0x10000000, v25
	v_or3_b32 v29, v32, v40, v33
	v_or3_b32 v30, v35, v30, v31
	v_dot4_i32_iu8 v26, v26, v2, v28 neg_lo:[1,1,0]
	v_pk_mul_f16 v24, v23, v24
	s_delay_alu instid0(VALU_DEP_4) | instskip(NEXT) | instid1(VALU_DEP_3)
	v_or3_b32 v25, v29, v25, v27
	v_dot4_i32_iu8 v26, v30, v7, v26 neg_lo:[1,1,0]
	s_delay_alu instid0(VALU_DEP_3) | instskip(NEXT) | instid1(VALU_DEP_2)
	v_lshrrev_b32_e32 v27, 16, v24
	v_dot4_i32_iu8 v25, v25, v3, v26 neg_lo:[1,1,0]
	s_delay_alu instid0(VALU_DEP_2) | instskip(NEXT) | instid1(VALU_DEP_2)
	v_cvt_f32_f16_e32 v26, v27
	v_cvt_f32_i32_e32 v25, v25
	s_delay_alu instid0(VALU_DEP_2) | instskip(NEXT) | instid1(VALU_DEP_1)
	v_mul_f32_e32 v26, 0.5, v26
	v_fma_mix_f32 v24, v25, v24, v26 op_sel_hi:[0,1,0]
	s_delay_alu instid0(VALU_DEP_1)
	v_add_f32_e32 v15, v15, v24
	s_branch .LBB49_11
.LBB49_14:
	s_or_b32 exec_lo, exec_lo, s13
.LBB49_15:
	s_delay_alu instid0(SALU_CYCLE_1)
	s_or_b32 exec_lo, exec_lo, s18
	s_load_b32 s5, s[0:1], 0x30
	v_cmp_eq_u32_e64 s4, 0, v16
	s_mov_b32 s7, exec_lo
	v_cmpx_ne_u32_e32 0, v16
	s_cbranch_execz .LBB49_19
; %bb.16:
	v_add_nc_u32_e32 v0, -1, v16
	s_and_b32 vcc_lo, exec_lo, s14
	s_delay_alu instid0(VALU_DEP_1)
	v_lshlrev_b32_e32 v0, 7, v0
	s_wait_alu 0xfffe
	s_cbranch_vccz .LBB49_18
; %bb.17:
	s_delay_alu instid0(VALU_DEP_1)
	v_lshl_add_u32 v1, v11, 2, v0
	ds_store_b32 v1, v15 offset:896
.LBB49_18:
	s_delay_alu instid0(VALU_DEP_1)
	v_lshl_add_u32 v0, v11, 2, v0
	ds_store_b32 v0, v17
.LBB49_19:
	s_or_b32 exec_lo, exec_lo, s7
	s_wait_loadcnt_dscnt 0x0
	s_barrier_signal -1
	s_barrier_wait -1
	global_inv scope:SCOPE_SE
	s_and_saveexec_b32 s7, s4
	s_cbranch_execz .LBB49_61
; %bb.20:
	ds_load_b32 v0, v10
	v_cmp_ne_u32_e32 vcc_lo, 1, v14
	v_add_nc_u32_e32 v1, 0x380, v10
	s_cbranch_vccnz .LBB49_22
; %bb.21:
	ds_load_b32 v2, v1
	s_wait_dscnt 0x0
	v_add_f32_e32 v15, v15, v2
.LBB49_22:
	ds_load_b32 v2, v10 offset:128
	v_cmp_ne_u32_e32 vcc_lo, 1, v14
	s_cbranch_vccnz .LBB49_24
; %bb.23:
	ds_load_b32 v3, v1 offset:128
	s_wait_dscnt 0x0
	v_add_f32_e32 v15, v15, v3
.LBB49_24:
	ds_load_b32 v3, v10 offset:256
	v_cmp_ne_u32_e32 vcc_lo, 1, v14
	s_cbranch_vccnz .LBB49_26
; %bb.25:
	ds_load_b32 v4, v1 offset:256
	s_wait_dscnt 0x0
	v_add_f32_e32 v15, v15, v4
.LBB49_26:
	;; [unrolled: 8-line block ×6, first 2 shown]
	s_wait_dscnt 0x6
	v_add_f32_e32 v0, v17, v0
	v_mbcnt_lo_u32_b32 v1, -1, 0
	s_wait_dscnt 0x5
	s_delay_alu instid0(VALU_DEP_2) | instskip(NEXT) | instid1(VALU_DEP_2)
	v_add_f32_e32 v0, v0, v2
	v_xor_b32_e32 v2, 16, v1
	s_wait_dscnt 0x4
	s_delay_alu instid0(VALU_DEP_2) | instskip(NEXT) | instid1(VALU_DEP_2)
	v_add_f32_e32 v0, v0, v3
	v_cmp_gt_i32_e32 vcc_lo, 32, v2
	v_xor_b32_e32 v3, 8, v1
	s_wait_dscnt 0x3
	s_delay_alu instid0(VALU_DEP_3)
	v_add_f32_e32 v0, v0, v4
	s_wait_alu 0xfffd
	v_cndmask_b32_e32 v2, v1, v2, vcc_lo
	v_cmp_gt_i32_e32 vcc_lo, 32, v3
	s_wait_dscnt 0x2
	s_wait_alu 0xfffd
	v_dual_add_f32 v0, v0, v5 :: v_dual_cndmask_b32 v3, v1, v3
	s_wait_dscnt 0x1
	s_delay_alu instid0(VALU_DEP_1) | instskip(SKIP_1) | instid1(VALU_DEP_1)
	v_dual_add_f32 v0, v0, v6 :: v_dual_lshlrev_b32 v3, 2, v3
	s_wait_dscnt 0x0
	v_add_f32_e32 v4, v0, v7
	v_lshlrev_b32_e32 v0, 2, v2
	ds_bpermute_b32 v2, v0, v4
	s_wait_dscnt 0x0
	v_add_f32_e32 v2, v4, v2
	v_xor_b32_e32 v4, 4, v1
	ds_bpermute_b32 v5, v3, v2
	v_cmp_gt_i32_e32 vcc_lo, 32, v4
	s_wait_alu 0xfffd
	v_cndmask_b32_e32 v4, v1, v4, vcc_lo
	s_delay_alu instid0(VALU_DEP_1)
	v_lshlrev_b32_e32 v4, 2, v4
	s_wait_dscnt 0x0
	v_add_f32_e32 v2, v2, v5
	v_xor_b32_e32 v5, 2, v1
	ds_bpermute_b32 v6, v4, v2
	v_cmp_gt_i32_e32 vcc_lo, 32, v5
	s_wait_alu 0xfffd
	v_cndmask_b32_e32 v5, v1, v5, vcc_lo
	s_wait_dscnt 0x0
	s_delay_alu instid0(VALU_DEP_1)
	v_dual_add_f32 v2, v2, v6 :: v_dual_lshlrev_b32 v5, 2, v5
	v_xor_b32_e32 v6, 1, v1
	ds_bpermute_b32 v7, v5, v2
	v_cmp_gt_i32_e32 vcc_lo, 32, v6
	s_wait_alu 0xfffd
	v_cndmask_b32_e32 v1, v1, v6, vcc_lo
	v_cmp_ne_u32_e32 vcc_lo, 1, v14
	s_delay_alu instid0(VALU_DEP_2)
	v_lshlrev_b32_e32 v6, 2, v1
	s_wait_dscnt 0x0
	v_add_f32_e32 v1, v2, v7
	ds_bpermute_b32 v2, v6, v1
	s_cbranch_vccnz .LBB49_36
; %bb.35:
	ds_bpermute_b32 v0, v0, v15
	s_wait_dscnt 0x0
	v_add_f32_e32 v0, v15, v0
	ds_bpermute_b32 v3, v3, v0
	s_wait_dscnt 0x0
	v_add_f32_e32 v0, v0, v3
	;; [unrolled: 3-line block ×5, first 2 shown]
.LBB49_36:
	v_cmp_eq_u32_e32 vcc_lo, 0, v11
	s_and_b32 exec_lo, exec_lo, vcc_lo
	s_cbranch_execz .LBB49_61
; %bb.37:
	s_wait_dscnt 0x0
	v_add_f32_e32 v0, v1, v2
	v_cmp_ne_u32_e32 vcc_lo, 1, v14
	s_delay_alu instid0(VALU_DEP_2) | instskip(NEXT) | instid1(VALU_DEP_1)
	v_add_f32_e32 v1, v13, v0
	v_cndmask_b32_e64 v0, v0, v1, s2
	s_cbranch_vccnz .LBB49_60
; %bb.38:
	v_add_f32_e32 v1, v12, v15
	s_wait_kmcnt 0x0
	s_cmp_lt_i32 s5, 2
	s_mov_b32 s2, 0
	s_delay_alu instid0(VALU_DEP_1)
	v_cndmask_b32_e64 v1, v15, v1, s3
	s_cbranch_scc1 .LBB49_43
; %bb.39:
	s_cmp_gt_i32 s5, 2
	s_cbranch_scc0 .LBB49_44
; %bb.40:
	s_cmp_eq_u32 s5, 3
	s_cbranch_scc0 .LBB49_45
; %bb.41:
	v_max_num_f32_e32 v2, v1, v1
	s_mov_b32 s3, 0xc0e00000
	s_delay_alu instid0(VALU_DEP_1) | instskip(NEXT) | instid1(VALU_DEP_1)
	v_min_num_f32_e32 v2, 0x40e00000, v2
	v_mul_f32_e32 v3, 0xbfd9db23, v2
	s_delay_alu instid0(VALU_DEP_1) | instskip(NEXT) | instid1(VALU_DEP_1)
	v_mul_f32_e32 v4, 0x3fb8aa3b, v3
	v_fma_f32 v5, 0x3fb8aa3b, v3, -v4
	v_rndne_f32_e32 v6, v4
	s_delay_alu instid0(VALU_DEP_1) | instskip(NEXT) | instid1(VALU_DEP_1)
	v_dual_fmamk_f32 v5, v3, 0x32a5705f, v5 :: v_dual_sub_f32 v4, v4, v6
	v_add_f32_e32 v4, v4, v5
	v_cvt_i32_f32_e32 v5, v6
	v_cmp_ngt_f32_e32 vcc_lo, 0xc2ce8ed0, v3
	s_delay_alu instid0(VALU_DEP_3) | instskip(NEXT) | instid1(TRANS32_DEP_1)
	v_exp_f32_e32 v4, v4
	v_ldexp_f32 v4, v4, v5
	s_wait_alu 0xfffd
	s_delay_alu instid0(VALU_DEP_1) | instskip(SKIP_2) | instid1(VALU_DEP_2)
	v_cndmask_b32_e32 v4, 0, v4, vcc_lo
	v_cmp_nlt_f32_e32 vcc_lo, 0x42b17218, v3
	s_wait_alu 0xfffd
	v_cndmask_b32_e32 v3, 0x7f800000, v4, vcc_lo
	s_delay_alu instid0(VALU_DEP_1) | instskip(NEXT) | instid1(VALU_DEP_1)
	v_add_f32_e32 v3, 1.0, v3
	v_div_scale_f32 v4, null, v3, v3, v2
	v_div_scale_f32 v7, vcc_lo, v2, v3, v2
	s_delay_alu instid0(VALU_DEP_2) | instskip(NEXT) | instid1(TRANS32_DEP_1)
	v_rcp_f32_e32 v5, v4
	v_fma_f32 v6, -v4, v5, 1.0
	s_delay_alu instid0(VALU_DEP_1) | instskip(NEXT) | instid1(VALU_DEP_1)
	v_fmac_f32_e32 v5, v6, v5
	v_mul_f32_e32 v6, v7, v5
	s_delay_alu instid0(VALU_DEP_1) | instskip(NEXT) | instid1(VALU_DEP_1)
	v_fma_f32 v8, -v4, v6, v7
	v_fmac_f32_e32 v6, v8, v5
	s_delay_alu instid0(VALU_DEP_1) | instskip(SKIP_1) | instid1(VALU_DEP_1)
	v_fma_f32 v4, -v4, v6, v7
	s_wait_alu 0xfffd
	v_div_fmas_f32 v4, v4, v5, v6
	s_delay_alu instid0(VALU_DEP_1) | instskip(SKIP_2) | instid1(VALU_DEP_1)
	v_div_fixup_f32 v2, v4, v3, v2
	v_max_num_f32_e32 v7, v0, v0
	s_wait_alu 0xfffe
	v_minmax_num_f32 v5, v7, 0x40e00000, s3
	s_mov_b32 s3, 0
	s_delay_alu instid0(VALU_DEP_1) | instskip(NEXT) | instid1(VALU_DEP_1)
	v_add_f32_e32 v3, 1.0, v5
	v_mul_f32_e32 v2, v3, v2
	s_branch .LBB49_46
.LBB49_42:
                                        ; implicit-def: $sgpr28
	s_clause 0x1
	s_load_b32 s29, s[0:1], 0x50
	s_load_b32 s30, s[0:1], 0x78
	s_branch .LBB49_2
.LBB49_43:
	s_mov_b32 s3, 0
                                        ; implicit-def: $vgpr2
	s_cbranch_execnz .LBB49_50
	s_branch .LBB49_51
.LBB49_44:
	s_mov_b32 s4, -1
	s_mov_b32 s3, 0
                                        ; implicit-def: $vgpr2
	s_branch .LBB49_47
.LBB49_45:
	s_mov_b32 s3, -1
                                        ; implicit-def: $vgpr2
.LBB49_46:
	s_mov_b32 s4, 0
.LBB49_47:
	s_wait_alu 0xfffe
	s_and_b32 vcc_lo, exec_lo, s4
	s_wait_alu 0xfffe
	s_cbranch_vccz .LBB49_49
; %bb.48:
	v_mul_f32_e32 v2, 0xbfb8aa3b, v1
	v_cmp_nlt_f32_e32 vcc_lo, 0x42ce8ed0, v1
	s_delay_alu instid0(VALU_DEP_2) | instskip(SKIP_1) | instid1(VALU_DEP_2)
	v_rndne_f32_e32 v3, v2
	v_fma_f32 v4, 0xbfb8aa3b, v1, -v2
	v_sub_f32_e32 v2, v2, v3
	s_delay_alu instid0(VALU_DEP_2) | instskip(SKIP_1) | instid1(VALU_DEP_2)
	v_fmamk_f32 v4, v1, 0xb2a5705f, v4
	v_cvt_i32_f32_e32 v3, v3
	v_add_f32_e32 v2, v2, v4
	s_delay_alu instid0(VALU_DEP_1) | instskip(NEXT) | instid1(TRANS32_DEP_1)
	v_exp_f32_e32 v2, v2
	v_ldexp_f32 v2, v2, v3
	s_wait_alu 0xfffd
	s_delay_alu instid0(VALU_DEP_1) | instskip(SKIP_2) | instid1(VALU_DEP_2)
	v_cndmask_b32_e32 v2, 0, v2, vcc_lo
	v_cmp_ngt_f32_e32 vcc_lo, 0xc2b17218, v1
	s_wait_alu 0xfffd
	v_cndmask_b32_e32 v2, 0x7f800000, v2, vcc_lo
	s_delay_alu instid0(VALU_DEP_1) | instskip(NEXT) | instid1(VALU_DEP_1)
	v_add_f32_e32 v2, 1.0, v2
	v_div_scale_f32 v3, null, v2, v2, v1
	s_delay_alu instid0(VALU_DEP_1) | instskip(NEXT) | instid1(TRANS32_DEP_1)
	v_rcp_f32_e32 v4, v3
	v_fma_f32 v5, -v3, v4, 1.0
	s_delay_alu instid0(VALU_DEP_1) | instskip(SKIP_1) | instid1(VALU_DEP_1)
	v_fmac_f32_e32 v4, v5, v4
	v_div_scale_f32 v5, vcc_lo, v1, v2, v1
	v_mul_f32_e32 v6, v5, v4
	s_delay_alu instid0(VALU_DEP_1) | instskip(NEXT) | instid1(VALU_DEP_1)
	v_fma_f32 v7, -v3, v6, v5
	v_fmac_f32_e32 v6, v7, v4
	s_delay_alu instid0(VALU_DEP_1) | instskip(SKIP_1) | instid1(VALU_DEP_1)
	v_fma_f32 v3, -v3, v6, v5
	s_wait_alu 0xfffd
	v_div_fmas_f32 v3, v3, v4, v6
	s_delay_alu instid0(VALU_DEP_1) | instskip(NEXT) | instid1(VALU_DEP_1)
	v_div_fixup_f32 v2, v3, v2, v1
	v_mul_f32_e32 v2, v0, v2
.LBB49_49:
	s_branch .LBB49_51
.LBB49_50:
	s_cmp_lg_u32 s5, 1
	s_mov_b32 s2, -1
	s_cselect_b32 s3, -1, 0
.LBB49_51:
	s_wait_alu 0xfffe
	s_and_not1_b32 vcc_lo, exec_lo, s3
	s_wait_alu 0xfffe
	s_cbranch_vccz .LBB49_53
; %bb.52:
	s_and_not1_b32 vcc_lo, exec_lo, s2
	s_wait_alu 0xfffe
	s_cbranch_vccz .LBB49_54
	s_branch .LBB49_59
.LBB49_53:
	v_mul_f32_e32 v2, v1, v0
	s_cbranch_execnz .LBB49_59
.LBB49_54:
	v_mul_f32_e32 v2, 0x3d372713, v1
	v_mul_f32_e32 v3, 0x3f4c422a, v1
	s_delay_alu instid0(VALU_DEP_2) | instskip(NEXT) | instid1(VALU_DEP_1)
	v_fma_f32 v2, v1, v2, 1.0
	v_mul_f32_e32 v2, v3, v2
                                        ; implicit-def: $vgpr3
	s_delay_alu instid0(VALU_DEP_1)
	v_cmp_ngt_f32_e64 s2, 0x3f200000, |v2|
	s_and_saveexec_b32 s3, s2
	s_wait_alu 0xfffe
	s_xor_b32 s2, exec_lo, s3
	s_cbranch_execz .LBB49_56
; %bb.55:
	v_add_f32_e64 v3, |v2|, |v2|
	s_delay_alu instid0(VALU_DEP_1) | instskip(SKIP_1) | instid1(VALU_DEP_2)
	v_mul_f32_e32 v4, 0x3fb8aa3b, v3
	v_cmp_ngt_f32_e32 vcc_lo, 0xc2ce8ed0, v3
	v_rndne_f32_e32 v5, v4
	v_fma_f32 v6, 0x3fb8aa3b, v3, -v4
	s_delay_alu instid0(VALU_DEP_2) | instskip(NEXT) | instid1(VALU_DEP_2)
	v_sub_f32_e32 v4, v4, v5
	v_fmamk_f32 v6, v3, 0x32a5705f, v6
	v_cvt_i32_f32_e32 v5, v5
	s_delay_alu instid0(VALU_DEP_2) | instskip(NEXT) | instid1(VALU_DEP_1)
	v_add_f32_e32 v4, v4, v6
	v_exp_f32_e32 v4, v4
	s_delay_alu instid0(TRANS32_DEP_1) | instskip(SKIP_1) | instid1(VALU_DEP_1)
	v_ldexp_f32 v4, v4, v5
	s_wait_alu 0xfffd
	v_cndmask_b32_e32 v4, 0, v4, vcc_lo
	v_cmp_nlt_f32_e32 vcc_lo, 0x42b17218, v3
	s_wait_alu 0xfffd
	s_delay_alu instid0(VALU_DEP_2) | instskip(NEXT) | instid1(VALU_DEP_1)
	v_cndmask_b32_e32 v3, 0x7f800000, v4, vcc_lo
	v_add_f32_e32 v3, 1.0, v3
	s_delay_alu instid0(VALU_DEP_1) | instskip(NEXT) | instid1(TRANS32_DEP_1)
	v_rcp_f32_e32 v3, v3
	v_fma_f32 v3, v3, -2.0, 1.0
.LBB49_56:
	s_wait_alu 0xfffe
	s_and_not1_saveexec_b32 s2, s2
	s_cbranch_execz .LBB49_58
; %bb.57:
	v_mul_f32_e32 v3, v2, v2
	s_mov_b32 s3, 0xbbbac73d
	s_wait_alu 0xfffe
	s_delay_alu instid0(VALU_DEP_1) | instskip(NEXT) | instid1(VALU_DEP_1)
	v_fmaak_f32 v4, s3, v3, 0x3ca908c9
	v_fmaak_f32 v4, v3, v4, 0xbd5c1c4e
	s_delay_alu instid0(VALU_DEP_1) | instskip(NEXT) | instid1(VALU_DEP_1)
	v_fmaak_f32 v4, v3, v4, 0x3e088382
	v_fmaak_f32 v4, v3, v4, 0xbeaaaa99
	s_delay_alu instid0(VALU_DEP_1) | instskip(NEXT) | instid1(VALU_DEP_1)
	v_mul_f32_e64 v4, |v2|, v4
	v_fma_f32 v3, v3, v4, |v2|
.LBB49_58:
	s_wait_alu 0xfffe
	s_or_b32 exec_lo, exec_lo, s2
	s_delay_alu instid0(VALU_DEP_1) | instskip(NEXT) | instid1(VALU_DEP_1)
	v_bfi_b32 v2, 0x7fffffff, v3, v2
	v_dual_mul_f32 v1, 0.5, v1 :: v_dual_add_f32 v2, 1.0, v2
	s_delay_alu instid0(VALU_DEP_1) | instskip(NEXT) | instid1(VALU_DEP_1)
	v_mul_f32_e32 v1, v1, v2
	v_mul_f32_e32 v2, v0, v1
.LBB49_59:
	s_delay_alu instid0(VALU_DEP_1)
	v_mov_b32_e32 v0, v2
.LBB49_60:
	s_load_b64 s[0:1], s[0:1], 0x38
	s_mul_i32 s2, s6, s27
	s_wait_kmcnt 0x0
	s_mul_i32 s3, s26, s21
	s_wait_alu 0xfffe
	s_add_co_i32 s2, s2, ttmp9
	s_wait_alu 0xfffe
	s_add_co_i32 s2, s2, s3
	s_mov_b32 s3, 0
	s_wait_alu 0xfffe
	s_lshl_b64 s[2:3], s[2:3], 2
	s_wait_alu 0xfffe
	s_add_nc_u64 s[0:1], s[0:1], s[2:3]
	global_store_b32 v10, v0, s[0:1]
.LBB49_61:
	s_endpgm
	.section	.rodata,"a",@progbits
	.p2align	6, 0x0
	.amdhsa_kernel _ZL13mul_mat_vec_qIL9ggml_type7ELi1ELb1ELb1EEvPKvS2_PKi31ggml_cuda_mm_fusion_args_devicePfj15HIP_vector_typeIjLj3EEjjjS8_jjjS8_jjjj
		.amdhsa_group_segment_fixed_size 1792
		.amdhsa_private_segment_fixed_size 0
		.amdhsa_kernarg_size 144
		.amdhsa_user_sgpr_count 2
		.amdhsa_user_sgpr_dispatch_ptr 0
		.amdhsa_user_sgpr_queue_ptr 0
		.amdhsa_user_sgpr_kernarg_segment_ptr 1
		.amdhsa_user_sgpr_dispatch_id 0
		.amdhsa_user_sgpr_private_segment_size 0
		.amdhsa_wavefront_size32 1
		.amdhsa_uses_dynamic_stack 0
		.amdhsa_enable_private_segment 0
		.amdhsa_system_sgpr_workgroup_id_x 1
		.amdhsa_system_sgpr_workgroup_id_y 1
		.amdhsa_system_sgpr_workgroup_id_z 1
		.amdhsa_system_sgpr_workgroup_info 0
		.amdhsa_system_vgpr_workitem_id 1
		.amdhsa_next_free_vgpr 45
		.amdhsa_next_free_sgpr 38
		.amdhsa_reserve_vcc 1
		.amdhsa_float_round_mode_32 0
		.amdhsa_float_round_mode_16_64 0
		.amdhsa_float_denorm_mode_32 3
		.amdhsa_float_denorm_mode_16_64 3
		.amdhsa_fp16_overflow 0
		.amdhsa_workgroup_processor_mode 1
		.amdhsa_memory_ordered 1
		.amdhsa_forward_progress 1
		.amdhsa_inst_pref_size 28
		.amdhsa_round_robin_scheduling 0
		.amdhsa_exception_fp_ieee_invalid_op 0
		.amdhsa_exception_fp_denorm_src 0
		.amdhsa_exception_fp_ieee_div_zero 0
		.amdhsa_exception_fp_ieee_overflow 0
		.amdhsa_exception_fp_ieee_underflow 0
		.amdhsa_exception_fp_ieee_inexact 0
		.amdhsa_exception_int_div_zero 0
	.end_amdhsa_kernel
	.section	.text._ZL13mul_mat_vec_qIL9ggml_type7ELi1ELb1ELb1EEvPKvS2_PKi31ggml_cuda_mm_fusion_args_devicePfj15HIP_vector_typeIjLj3EEjjjS8_jjjS8_jjjj,"axG",@progbits,_ZL13mul_mat_vec_qIL9ggml_type7ELi1ELb1ELb1EEvPKvS2_PKi31ggml_cuda_mm_fusion_args_devicePfj15HIP_vector_typeIjLj3EEjjjS8_jjjS8_jjjj,comdat
.Lfunc_end49:
	.size	_ZL13mul_mat_vec_qIL9ggml_type7ELi1ELb1ELb1EEvPKvS2_PKi31ggml_cuda_mm_fusion_args_devicePfj15HIP_vector_typeIjLj3EEjjjS8_jjjS8_jjjj, .Lfunc_end49-_ZL13mul_mat_vec_qIL9ggml_type7ELi1ELb1ELb1EEvPKvS2_PKi31ggml_cuda_mm_fusion_args_devicePfj15HIP_vector_typeIjLj3EEjjjS8_jjjS8_jjjj
                                        ; -- End function
	.set _ZL13mul_mat_vec_qIL9ggml_type7ELi1ELb1ELb1EEvPKvS2_PKi31ggml_cuda_mm_fusion_args_devicePfj15HIP_vector_typeIjLj3EEjjjS8_jjjS8_jjjj.num_vgpr, 45
	.set _ZL13mul_mat_vec_qIL9ggml_type7ELi1ELb1ELb1EEvPKvS2_PKi31ggml_cuda_mm_fusion_args_devicePfj15HIP_vector_typeIjLj3EEjjjS8_jjjS8_jjjj.num_agpr, 0
	.set _ZL13mul_mat_vec_qIL9ggml_type7ELi1ELb1ELb1EEvPKvS2_PKi31ggml_cuda_mm_fusion_args_devicePfj15HIP_vector_typeIjLj3EEjjjS8_jjjS8_jjjj.numbered_sgpr, 38
	.set _ZL13mul_mat_vec_qIL9ggml_type7ELi1ELb1ELb1EEvPKvS2_PKi31ggml_cuda_mm_fusion_args_devicePfj15HIP_vector_typeIjLj3EEjjjS8_jjjS8_jjjj.num_named_barrier, 0
	.set _ZL13mul_mat_vec_qIL9ggml_type7ELi1ELb1ELb1EEvPKvS2_PKi31ggml_cuda_mm_fusion_args_devicePfj15HIP_vector_typeIjLj3EEjjjS8_jjjS8_jjjj.private_seg_size, 0
	.set _ZL13mul_mat_vec_qIL9ggml_type7ELi1ELb1ELb1EEvPKvS2_PKi31ggml_cuda_mm_fusion_args_devicePfj15HIP_vector_typeIjLj3EEjjjS8_jjjS8_jjjj.uses_vcc, 1
	.set _ZL13mul_mat_vec_qIL9ggml_type7ELi1ELb1ELb1EEvPKvS2_PKi31ggml_cuda_mm_fusion_args_devicePfj15HIP_vector_typeIjLj3EEjjjS8_jjjS8_jjjj.uses_flat_scratch, 0
	.set _ZL13mul_mat_vec_qIL9ggml_type7ELi1ELb1ELb1EEvPKvS2_PKi31ggml_cuda_mm_fusion_args_devicePfj15HIP_vector_typeIjLj3EEjjjS8_jjjS8_jjjj.has_dyn_sized_stack, 0
	.set _ZL13mul_mat_vec_qIL9ggml_type7ELi1ELb1ELb1EEvPKvS2_PKi31ggml_cuda_mm_fusion_args_devicePfj15HIP_vector_typeIjLj3EEjjjS8_jjjS8_jjjj.has_recursion, 0
	.set _ZL13mul_mat_vec_qIL9ggml_type7ELi1ELb1ELb1EEvPKvS2_PKi31ggml_cuda_mm_fusion_args_devicePfj15HIP_vector_typeIjLj3EEjjjS8_jjjS8_jjjj.has_indirect_call, 0
	.section	.AMDGPU.csdata,"",@progbits
; Kernel info:
; codeLenInByte = 3520
; TotalNumSgprs: 40
; NumVgprs: 45
; ScratchSize: 0
; MemoryBound: 0
; FloatMode: 240
; IeeeMode: 1
; LDSByteSize: 1792 bytes/workgroup (compile time only)
; SGPRBlocks: 0
; VGPRBlocks: 5
; NumSGPRsForWavesPerEU: 40
; NumVGPRsForWavesPerEU: 45
; Occupancy: 16
; WaveLimiterHint : 0
; COMPUTE_PGM_RSRC2:SCRATCH_EN: 0
; COMPUTE_PGM_RSRC2:USER_SGPR: 2
; COMPUTE_PGM_RSRC2:TRAP_HANDLER: 0
; COMPUTE_PGM_RSRC2:TGID_X_EN: 1
; COMPUTE_PGM_RSRC2:TGID_Y_EN: 1
; COMPUTE_PGM_RSRC2:TGID_Z_EN: 1
; COMPUTE_PGM_RSRC2:TIDIG_COMP_CNT: 1
	.section	.text._ZL13mul_mat_vec_qIL9ggml_type7ELi1ELb0ELb1EEvPKvS2_PKi31ggml_cuda_mm_fusion_args_devicePfj15HIP_vector_typeIjLj3EEjjjS8_jjjS8_jjjj,"axG",@progbits,_ZL13mul_mat_vec_qIL9ggml_type7ELi1ELb0ELb1EEvPKvS2_PKi31ggml_cuda_mm_fusion_args_devicePfj15HIP_vector_typeIjLj3EEjjjS8_jjjS8_jjjj,comdat
	.globl	_ZL13mul_mat_vec_qIL9ggml_type7ELi1ELb0ELb1EEvPKvS2_PKi31ggml_cuda_mm_fusion_args_devicePfj15HIP_vector_typeIjLj3EEjjjS8_jjjS8_jjjj ; -- Begin function _ZL13mul_mat_vec_qIL9ggml_type7ELi1ELb0ELb1EEvPKvS2_PKi31ggml_cuda_mm_fusion_args_devicePfj15HIP_vector_typeIjLj3EEjjjS8_jjjS8_jjjj
	.p2align	8
	.type	_ZL13mul_mat_vec_qIL9ggml_type7ELi1ELb0ELb1EEvPKvS2_PKi31ggml_cuda_mm_fusion_args_devicePfj15HIP_vector_typeIjLj3EEjjjS8_jjjS8_jjjj,@function
_ZL13mul_mat_vec_qIL9ggml_type7ELi1ELb0ELb1EEvPKvS2_PKi31ggml_cuda_mm_fusion_args_devicePfj15HIP_vector_typeIjLj3EEjjjS8_jjjS8_jjjj: ; @_ZL13mul_mat_vec_qIL9ggml_type7ELi1ELb0ELb1EEvPKvS2_PKi31ggml_cuda_mm_fusion_args_devicePfj15HIP_vector_typeIjLj3EEjjjS8_jjjS8_jjjj
; %bb.0:
	s_clause 0x1
	s_load_b64 s[2:3], s[0:1], 0x10
	s_load_b128 s[8:11], s[0:1], 0x40
	s_and_b32 s15, ttmp7, 0xffff
	s_wait_kmcnt 0x0
	s_cmp_lg_u64 s[2:3], 0
	s_cselect_b32 s12, -1, 0
	s_cmp_eq_u64 s[2:3], 0
	s_cbranch_scc1 .LBB50_15
; %bb.1:
	s_lshl_b32 s4, s15, 2
	s_load_b32 s19, s[2:3], s4 offset:0x0
	s_clause 0x1
	s_load_b128 s[4:7], s[0:1], 0x68
	s_load_b32 s20, s[0:1], 0x50
	s_cbranch_execnz .LBB50_3
.LBB50_2:
	s_load_b64 s[2:3], s[0:1], 0x5c
	s_wait_kmcnt 0x0
	s_mul_hi_u32 s2, s2, s15
	s_delay_alu instid0(SALU_CYCLE_1) | instskip(NEXT) | instid1(SALU_CYCLE_1)
	s_add_co_i32 s2, s15, s2
	s_lshr_b32 s19, s2, s3
.LBB50_3:
	s_load_b32 s21, s[0:1], 0x78
	s_and_not1_b32 vcc_lo, exec_lo, s12
	s_mov_b32 s22, s15
	s_cbranch_vccnz .LBB50_5
; %bb.4:
	s_mul_hi_u32 s2, s9, s15
	s_delay_alu instid0(SALU_CYCLE_1) | instskip(NEXT) | instid1(SALU_CYCLE_1)
	s_add_co_i32 s2, s15, s2
	s_lshr_b32 s2, s2, s10
	s_delay_alu instid0(SALU_CYCLE_1) | instskip(NEXT) | instid1(SALU_CYCLE_1)
	s_mul_i32 s2, s2, s11
	s_sub_co_i32 s22, s15, s2
.LBB50_5:
	v_bfe_u32 v3, v0, 10, 10
	v_and_b32_e32 v2, 0x3ff, v0
	s_load_b96 s[12:14], s[0:1], 0x80
	s_lshr_b32 s18, s8, 5
	s_lshr_b32 s16, ttmp7, 16
	v_lshlrev_b32_e32 v0, 5, v3
	s_mov_b32 s17, exec_lo
	v_mov_b32_e32 v4, 0
	s_delay_alu instid0(VALU_DEP_2) | instskip(NEXT) | instid1(VALU_DEP_1)
	v_add_nc_u16 v1, v0, v2
	v_lshrrev_b16 v1, 1, v1
	s_delay_alu instid0(VALU_DEP_1) | instskip(NEXT) | instid1(VALU_DEP_1)
	v_and_b32_e32 v5, 0xffff, v1
	v_cmpx_gt_u32_e64 s18, v5
	s_cbranch_execz .LBB50_9
; %bb.6:
	s_load_b128 s[8:11], s[0:1], 0x0
	s_wait_kmcnt 0x0
	s_mul_i32 s22, s22, s5
	s_mul_hi_u32 s5, s7, s16
	v_dual_mov_b32 v4, 0 :: v_dual_lshlrev_b32 v1, 1, v2
	v_add_nc_u32_e32 v0, v0, v2
	s_add_co_i32 s5, s16, s5
	s_mul_i32 s2, s13, s16
	s_mov_b32 s3, 0
	s_mul_i32 s7, s19, s4
	s_lshr_b32 s4, s5, s21
	v_and_b32_e32 v9, 2, v1
	s_mov_b32 s23, s3
	s_mul_i32 s19, s4, s12
	s_mul_u64 s[4:5], s[2:3], 36
	v_lshrrev_b32_e32 v0, 1, v0
	s_mul_u64 s[12:13], s[22:23], 36
	v_lshlrev_b32_e32 v6, 2, v9
	v_and_b32_e32 v8, 1, v2
	s_mul_i32 s20, s20, ttmp9
	s_add_nc_u64 s[4:5], s[10:11], s[4:5]
	v_lshlrev_b32_e32 v9, 2, v9
	s_add_nc_u64 s[4:5], s[4:5], s[12:13]
	v_or_b32_e32 v7, 4, v6
	v_mad_co_u64_u32 v[0:1], null, v0, 36, s[4:5]
	v_lshlrev_b32_e32 v8, 3, v8
	s_wait_alu 0xfffe
	s_add_co_i32 s19, s19, s20
	s_wait_alu 0xfffe
	s_add_co_i32 s4, s7, s19
.LBB50_7:                               ; =>This Inner Loop Header: Depth=1
	s_wait_alu 0xfffe
	v_add_nc_u32_e32 v12, s4, v5
	v_add_co_u32 v10, vcc_lo, v0, v8
	s_wait_alu 0xfffd
	v_add_co_ci_u32_e64 v11, null, 0, v1, vcc_lo
	s_delay_alu instid0(VALU_DEP_3)
	v_mad_co_i64_i32 v[12:13], null, v12, 24, s[8:9]
	v_add_nc_u32_e32 v5, 0x80, v5
	global_load_b64 v[14:15], v[10:11], off offset:4
	v_add_co_u32 v16, vcc_lo, v12, v9
	s_wait_alu 0xfffd
	v_add_co_ci_u32_e64 v17, null, 0, v13, vcc_lo
	v_cmp_le_u32_e32 vcc_lo, s18, v5
	s_clause 0x1
	global_load_b64 v[12:13], v[12:13], off
	global_load_b64 v[16:17], v[16:17], off offset:8
	s_clause 0x1
	global_load_b32 v18, v[0:1], off
	global_load_b64 v[10:11], v[10:11], off offset:20
	v_add_co_u32 v0, s2, 0x1200, v0
	s_wait_alu 0xf1ff
	v_add_co_ci_u32_e64 v1, null, 0, v1, s2
	s_or_b32 s3, vcc_lo, s3
	s_wait_loadcnt 0x3
	v_ashrrev_i32_e32 v19, v6, v13
	v_ashrrev_i32_e32 v13, v7, v13
	s_wait_loadcnt 0x1
	v_pk_mul_f16 v12, v12, v18
	v_and_b32_e32 v18, 0xf0f0f0f, v16
	v_lshrrev_b32_e32 v16, 4, v16
	v_lshlrev_b32_e32 v20, 4, v19
	v_lshlrev_b32_e32 v21, 11, v19
	v_lshlrev_b32_e32 v22, 18, v19
	v_lshlrev_b32_e32 v23, 25, v19
	v_lshrrev_b32_e32 v24, 12, v19
	v_lshrrev_b32_e32 v25, 5, v19
	v_lshlrev_b32_e32 v26, 2, v19
	v_and_b32_e32 v20, 16, v20
	v_and_b32_e32 v21, 0x1000, v21
	v_lshlrev_b32_e32 v19, 9, v19
	v_lshlrev_b32_e32 v28, 4, v13
	;; [unrolled: 1-line block ×4, first 2 shown]
	v_and_b32_e32 v22, 0x100000, v22
	v_and_b32_e32 v23, 0x10000000, v23
	;; [unrolled: 1-line block ×5, first 2 shown]
	v_or3_b32 v18, v20, v18, v21
	v_lshlrev_b32_e32 v31, 25, v13
	v_lshrrev_b32_e32 v32, 12, v13
	v_lshrrev_b32_e32 v33, 5, v13
	v_lshlrev_b32_e32 v34, 2, v13
	v_and_b32_e32 v16, 0xf0f0f0f, v16
	v_and_b32_e32 v19, 0x10000000, v19
	;; [unrolled: 1-line block ×5, first 2 shown]
	v_or3_b32 v20, v25, v24, v26
	v_or3_b32 v18, v18, v22, v23
	v_and_b32_e32 v27, 0xf0f0f0f, v17
	v_lshrrev_b32_e32 v17, 4, v17
	v_lshlrev_b32_e32 v13, 9, v13
	v_and_b32_e32 v31, 0x10000000, v31
	v_and_b32_e32 v32, 16, v32
	;; [unrolled: 1-line block ×4, first 2 shown]
	v_or3_b32 v21, v29, v28, v30
	v_or3_b32 v16, v20, v19, v16
	v_dot4_i32_iu8 v14, v18, v14, 0 neg_lo:[1,1,0]
	v_and_b32_e32 v17, 0xf0f0f0f, v17
	v_and_b32_e32 v13, 0x10000000, v13
	v_or3_b32 v18, v33, v32, v34
	v_or3_b32 v19, v21, v31, v27
	s_wait_loadcnt 0x0
	v_dot4_i32_iu8 v10, v16, v10, v14 neg_lo:[1,1,0]
	v_lshrrev_b32_e32 v14, 16, v12
	v_or3_b32 v13, v18, v13, v17
	s_delay_alu instid0(VALU_DEP_3) | instskip(NEXT) | instid1(VALU_DEP_3)
	v_dot4_i32_iu8 v10, v19, v15, v10 neg_lo:[1,1,0]
	v_cvt_f32_f16_e32 v14, v14
	s_delay_alu instid0(VALU_DEP_2) | instskip(NEXT) | instid1(VALU_DEP_2)
	v_dot4_i32_iu8 v10, v13, v11, v10 neg_lo:[1,1,0]
	v_mul_f32_e32 v11, 0.5, v14
	s_delay_alu instid0(VALU_DEP_2) | instskip(NEXT) | instid1(VALU_DEP_1)
	v_cvt_f32_i32_e32 v10, v10
	v_fma_mix_f32 v10, v10, v12, v11 op_sel_hi:[0,1,0]
	s_delay_alu instid0(VALU_DEP_1)
	v_add_f32_e32 v4, v4, v10
	s_wait_alu 0xfffe
	s_and_not1_b32 exec_lo, exec_lo, s3
	s_cbranch_execnz .LBB50_7
; %bb.8:
	s_or_b32 exec_lo, exec_lo, s3
.LBB50_9:
	s_delay_alu instid0(SALU_CYCLE_1)
	s_or_b32 exec_lo, exec_lo, s17
	v_lshlrev_b32_e32 v0, 2, v2
	s_mov_b32 s3, exec_lo
	v_cmp_eq_u32_e32 vcc_lo, 0, v3
	v_cmpx_ne_u32_e32 0, v3
; %bb.10:
	v_lshlrev_b32_e32 v1, 7, v3
	s_delay_alu instid0(VALU_DEP_1)
	v_add3_u32 v1, v1, v0, 0xffffff80
	ds_store_b32 v1, v4
; %bb.11:
	s_wait_alu 0xfffe
	s_or_b32 exec_lo, exec_lo, s3
	s_wait_dscnt 0x0
	s_barrier_signal -1
	s_barrier_wait -1
	global_inv scope:SCOPE_SE
	s_and_saveexec_b32 s2, vcc_lo
	s_cbranch_execz .LBB50_14
; %bb.12:
	ds_load_2addr_b32 v[5:6], v0 offset1:32
	ds_load_2addr_b32 v[7:8], v0 offset0:64 offset1:96
	ds_load_2addr_b32 v[9:10], v0 offset0:128 offset1:160
	v_mbcnt_lo_u32_b32 v3, -1, 0
	ds_load_b32 v0, v0 offset:768
	s_mov_b32 s3, 0
	s_wait_dscnt 0x3
	v_add_f32_e32 v1, v4, v5
	v_xor_b32_e32 v4, 16, v3
	s_delay_alu instid0(VALU_DEP_1) | instskip(SKIP_1) | instid1(VALU_DEP_3)
	v_cmp_gt_i32_e32 vcc_lo, 32, v4
	s_wait_alu 0xfffd
	v_dual_cndmask_b32 v4, v3, v4 :: v_dual_add_f32 v1, v1, v6
	s_wait_dscnt 0x2
	s_delay_alu instid0(VALU_DEP_1) | instskip(NEXT) | instid1(VALU_DEP_1)
	v_add_f32_e32 v1, v1, v7
	v_add_f32_e32 v1, v1, v8
	s_wait_dscnt 0x1
	s_delay_alu instid0(VALU_DEP_1) | instskip(NEXT) | instid1(VALU_DEP_1)
	v_add_f32_e32 v1, v1, v9
	v_add_f32_e32 v1, v1, v10
	s_wait_dscnt 0x0
	s_delay_alu instid0(VALU_DEP_1)
	v_add_f32_e32 v0, v1, v0
	v_lshlrev_b32_e32 v1, 2, v4
	v_xor_b32_e32 v4, 8, v3
	ds_bpermute_b32 v1, v1, v0
	v_cmp_gt_i32_e32 vcc_lo, 32, v4
	s_wait_alu 0xfffd
	v_cndmask_b32_e32 v4, v3, v4, vcc_lo
	s_delay_alu instid0(VALU_DEP_1) | instskip(SKIP_4) | instid1(VALU_DEP_1)
	v_lshlrev_b32_e32 v4, 2, v4
	s_wait_dscnt 0x0
	v_add_f32_e32 v0, v0, v1
	ds_bpermute_b32 v1, v4, v0
	v_xor_b32_e32 v4, 4, v3
	v_cmp_gt_i32_e32 vcc_lo, 32, v4
	s_wait_alu 0xfffd
	v_cndmask_b32_e32 v4, v3, v4, vcc_lo
	s_delay_alu instid0(VALU_DEP_1) | instskip(SKIP_4) | instid1(VALU_DEP_1)
	v_lshlrev_b32_e32 v4, 2, v4
	s_wait_dscnt 0x0
	v_add_f32_e32 v0, v0, v1
	ds_bpermute_b32 v1, v4, v0
	v_xor_b32_e32 v4, 2, v3
	;; [unrolled: 9-line block ×3, first 2 shown]
	v_cmp_gt_i32_e32 vcc_lo, 32, v4
	s_wait_alu 0xfffd
	v_cndmask_b32_e32 v3, v3, v4, vcc_lo
	v_cmp_eq_u32_e32 vcc_lo, 0, v2
	s_wait_dscnt 0x0
	s_delay_alu instid0(VALU_DEP_2)
	v_dual_add_f32 v0, v0, v1 :: v_dual_lshlrev_b32 v3, 2, v3
	ds_bpermute_b32 v1, v3, v0
	s_and_b32 exec_lo, exec_lo, vcc_lo
	s_cbranch_execz .LBB50_14
; %bb.13:
	s_load_b64 s[0:1], s[0:1], 0x38
	s_wait_kmcnt 0x0
	s_mul_i32 s2, s6, s15
	s_mul_i32 s4, s14, s16
	s_wait_alu 0xfffe
	s_add_co_i32 s2, s2, ttmp9
	v_mov_b32_e32 v2, 0
	s_wait_alu 0xfffe
	s_add_co_i32 s2, s2, s4
	s_wait_dscnt 0x0
	v_add_f32_e32 v0, v0, v1
	s_wait_alu 0xfffe
	s_lshl_b64 s[2:3], s[2:3], 2
	s_wait_alu 0xfffe
	s_add_nc_u64 s[0:1], s[0:1], s[2:3]
	global_store_b32 v2, v0, s[0:1]
.LBB50_14:
	s_endpgm
.LBB50_15:
                                        ; implicit-def: $sgpr19
	s_clause 0x1
	s_load_b128 s[4:7], s[0:1], 0x68
	s_load_b32 s20, s[0:1], 0x50
	s_branch .LBB50_2
	.section	.rodata,"a",@progbits
	.p2align	6, 0x0
	.amdhsa_kernel _ZL13mul_mat_vec_qIL9ggml_type7ELi1ELb0ELb1EEvPKvS2_PKi31ggml_cuda_mm_fusion_args_devicePfj15HIP_vector_typeIjLj3EEjjjS8_jjjS8_jjjj
		.amdhsa_group_segment_fixed_size 896
		.amdhsa_private_segment_fixed_size 0
		.amdhsa_kernarg_size 144
		.amdhsa_user_sgpr_count 2
		.amdhsa_user_sgpr_dispatch_ptr 0
		.amdhsa_user_sgpr_queue_ptr 0
		.amdhsa_user_sgpr_kernarg_segment_ptr 1
		.amdhsa_user_sgpr_dispatch_id 0
		.amdhsa_user_sgpr_private_segment_size 0
		.amdhsa_wavefront_size32 1
		.amdhsa_uses_dynamic_stack 0
		.amdhsa_enable_private_segment 0
		.amdhsa_system_sgpr_workgroup_id_x 1
		.amdhsa_system_sgpr_workgroup_id_y 1
		.amdhsa_system_sgpr_workgroup_id_z 1
		.amdhsa_system_sgpr_workgroup_info 0
		.amdhsa_system_vgpr_workitem_id 1
		.amdhsa_next_free_vgpr 35
		.amdhsa_next_free_sgpr 24
		.amdhsa_reserve_vcc 1
		.amdhsa_float_round_mode_32 0
		.amdhsa_float_round_mode_16_64 0
		.amdhsa_float_denorm_mode_32 3
		.amdhsa_float_denorm_mode_16_64 3
		.amdhsa_fp16_overflow 0
		.amdhsa_workgroup_processor_mode 1
		.amdhsa_memory_ordered 1
		.amdhsa_forward_progress 1
		.amdhsa_inst_pref_size 12
		.amdhsa_round_robin_scheduling 0
		.amdhsa_exception_fp_ieee_invalid_op 0
		.amdhsa_exception_fp_denorm_src 0
		.amdhsa_exception_fp_ieee_div_zero 0
		.amdhsa_exception_fp_ieee_overflow 0
		.amdhsa_exception_fp_ieee_underflow 0
		.amdhsa_exception_fp_ieee_inexact 0
		.amdhsa_exception_int_div_zero 0
	.end_amdhsa_kernel
	.section	.text._ZL13mul_mat_vec_qIL9ggml_type7ELi1ELb0ELb1EEvPKvS2_PKi31ggml_cuda_mm_fusion_args_devicePfj15HIP_vector_typeIjLj3EEjjjS8_jjjS8_jjjj,"axG",@progbits,_ZL13mul_mat_vec_qIL9ggml_type7ELi1ELb0ELb1EEvPKvS2_PKi31ggml_cuda_mm_fusion_args_devicePfj15HIP_vector_typeIjLj3EEjjjS8_jjjS8_jjjj,comdat
.Lfunc_end50:
	.size	_ZL13mul_mat_vec_qIL9ggml_type7ELi1ELb0ELb1EEvPKvS2_PKi31ggml_cuda_mm_fusion_args_devicePfj15HIP_vector_typeIjLj3EEjjjS8_jjjS8_jjjj, .Lfunc_end50-_ZL13mul_mat_vec_qIL9ggml_type7ELi1ELb0ELb1EEvPKvS2_PKi31ggml_cuda_mm_fusion_args_devicePfj15HIP_vector_typeIjLj3EEjjjS8_jjjS8_jjjj
                                        ; -- End function
	.set _ZL13mul_mat_vec_qIL9ggml_type7ELi1ELb0ELb1EEvPKvS2_PKi31ggml_cuda_mm_fusion_args_devicePfj15HIP_vector_typeIjLj3EEjjjS8_jjjS8_jjjj.num_vgpr, 35
	.set _ZL13mul_mat_vec_qIL9ggml_type7ELi1ELb0ELb1EEvPKvS2_PKi31ggml_cuda_mm_fusion_args_devicePfj15HIP_vector_typeIjLj3EEjjjS8_jjjS8_jjjj.num_agpr, 0
	.set _ZL13mul_mat_vec_qIL9ggml_type7ELi1ELb0ELb1EEvPKvS2_PKi31ggml_cuda_mm_fusion_args_devicePfj15HIP_vector_typeIjLj3EEjjjS8_jjjS8_jjjj.numbered_sgpr, 24
	.set _ZL13mul_mat_vec_qIL9ggml_type7ELi1ELb0ELb1EEvPKvS2_PKi31ggml_cuda_mm_fusion_args_devicePfj15HIP_vector_typeIjLj3EEjjjS8_jjjS8_jjjj.num_named_barrier, 0
	.set _ZL13mul_mat_vec_qIL9ggml_type7ELi1ELb0ELb1EEvPKvS2_PKi31ggml_cuda_mm_fusion_args_devicePfj15HIP_vector_typeIjLj3EEjjjS8_jjjS8_jjjj.private_seg_size, 0
	.set _ZL13mul_mat_vec_qIL9ggml_type7ELi1ELb0ELb1EEvPKvS2_PKi31ggml_cuda_mm_fusion_args_devicePfj15HIP_vector_typeIjLj3EEjjjS8_jjjS8_jjjj.uses_vcc, 1
	.set _ZL13mul_mat_vec_qIL9ggml_type7ELi1ELb0ELb1EEvPKvS2_PKi31ggml_cuda_mm_fusion_args_devicePfj15HIP_vector_typeIjLj3EEjjjS8_jjjS8_jjjj.uses_flat_scratch, 0
	.set _ZL13mul_mat_vec_qIL9ggml_type7ELi1ELb0ELb1EEvPKvS2_PKi31ggml_cuda_mm_fusion_args_devicePfj15HIP_vector_typeIjLj3EEjjjS8_jjjS8_jjjj.has_dyn_sized_stack, 0
	.set _ZL13mul_mat_vec_qIL9ggml_type7ELi1ELb0ELb1EEvPKvS2_PKi31ggml_cuda_mm_fusion_args_devicePfj15HIP_vector_typeIjLj3EEjjjS8_jjjS8_jjjj.has_recursion, 0
	.set _ZL13mul_mat_vec_qIL9ggml_type7ELi1ELb0ELb1EEvPKvS2_PKi31ggml_cuda_mm_fusion_args_devicePfj15HIP_vector_typeIjLj3EEjjjS8_jjjS8_jjjj.has_indirect_call, 0
	.section	.AMDGPU.csdata,"",@progbits
; Kernel info:
; codeLenInByte = 1448
; TotalNumSgprs: 26
; NumVgprs: 35
; ScratchSize: 0
; MemoryBound: 0
; FloatMode: 240
; IeeeMode: 1
; LDSByteSize: 896 bytes/workgroup (compile time only)
; SGPRBlocks: 0
; VGPRBlocks: 4
; NumSGPRsForWavesPerEU: 26
; NumVGPRsForWavesPerEU: 35
; Occupancy: 16
; WaveLimiterHint : 0
; COMPUTE_PGM_RSRC2:SCRATCH_EN: 0
; COMPUTE_PGM_RSRC2:USER_SGPR: 2
; COMPUTE_PGM_RSRC2:TRAP_HANDLER: 0
; COMPUTE_PGM_RSRC2:TGID_X_EN: 1
; COMPUTE_PGM_RSRC2:TGID_Y_EN: 1
; COMPUTE_PGM_RSRC2:TGID_Z_EN: 1
; COMPUTE_PGM_RSRC2:TIDIG_COMP_CNT: 1
	.section	.text._ZL13mul_mat_vec_qIL9ggml_type7ELi1ELb1ELb0EEvPKvS2_PKi31ggml_cuda_mm_fusion_args_devicePfj15HIP_vector_typeIjLj3EEjjjS8_jjjS8_jjjj,"axG",@progbits,_ZL13mul_mat_vec_qIL9ggml_type7ELi1ELb1ELb0EEvPKvS2_PKi31ggml_cuda_mm_fusion_args_devicePfj15HIP_vector_typeIjLj3EEjjjS8_jjjS8_jjjj,comdat
	.globl	_ZL13mul_mat_vec_qIL9ggml_type7ELi1ELb1ELb0EEvPKvS2_PKi31ggml_cuda_mm_fusion_args_devicePfj15HIP_vector_typeIjLj3EEjjjS8_jjjS8_jjjj ; -- Begin function _ZL13mul_mat_vec_qIL9ggml_type7ELi1ELb1ELb0EEvPKvS2_PKi31ggml_cuda_mm_fusion_args_devicePfj15HIP_vector_typeIjLj3EEjjjS8_jjjS8_jjjj
	.p2align	8
	.type	_ZL13mul_mat_vec_qIL9ggml_type7ELi1ELb1ELb0EEvPKvS2_PKi31ggml_cuda_mm_fusion_args_devicePfj15HIP_vector_typeIjLj3EEjjjS8_jjjS8_jjjj,@function
_ZL13mul_mat_vec_qIL9ggml_type7ELi1ELb1ELb0EEvPKvS2_PKi31ggml_cuda_mm_fusion_args_devicePfj15HIP_vector_typeIjLj3EEjjjS8_jjjS8_jjjj: ; @_ZL13mul_mat_vec_qIL9ggml_type7ELi1ELb1ELb0EEvPKvS2_PKi31ggml_cuda_mm_fusion_args_devicePfj15HIP_vector_typeIjLj3EEjjjS8_jjjS8_jjjj
; %bb.0:
	s_clause 0x3
	s_load_b256 s[8:15], s[0:1], 0x0
	s_load_b128 s[16:19], s[0:1], 0x20
	s_load_b128 s[20:23], s[0:1], 0x40
	;; [unrolled: 1-line block ×3, first 2 shown]
	s_and_b32 s27, ttmp7, 0xffff
	s_wait_kmcnt 0x0
	s_cmp_lg_u64 s[12:13], 0
	s_cselect_b32 s2, -1, 0
	s_cmp_eq_u64 s[12:13], 0
	s_cbranch_scc1 .LBB51_42
; %bb.1:
	s_lshl_b32 s3, s27, 2
	s_load_b32 s28, s[12:13], s3 offset:0x0
	s_clause 0x1
	s_load_b32 s29, s[0:1], 0x50
	s_load_b32 s30, s[0:1], 0x78
	s_cbranch_execnz .LBB51_3
.LBB51_2:
	s_load_b64 s[12:13], s[0:1], 0x5c
	s_wait_kmcnt 0x0
	s_mul_hi_u32 s3, s12, s27
	s_delay_alu instid0(SALU_CYCLE_1) | instskip(NEXT) | instid1(SALU_CYCLE_1)
	s_add_co_i32 s3, s27, s3
	s_lshr_b32 s28, s3, s13
.LBB51_3:
	s_and_not1_b32 vcc_lo, exec_lo, s2
	s_mov_b32 s3, s27
	s_mov_b32 s31, s27
	s_cbranch_vccnz .LBB51_5
; %bb.4:
	s_mul_hi_u32 s2, s21, s27
	s_wait_kmcnt 0x0
	s_mov_b32 s3, s28
	s_add_co_i32 s2, s27, s2
	s_delay_alu instid0(SALU_CYCLE_1) | instskip(NEXT) | instid1(SALU_CYCLE_1)
	s_lshr_b32 s2, s2, s22
	s_mul_i32 s2, s2, s23
	s_delay_alu instid0(SALU_CYCLE_1)
	s_sub_co_i32 s31, s27, s2
.LBB51_5:
	s_load_b96 s[24:26], s[0:1], 0x80
	v_bfe_u32 v16, v0, 10, 10
	v_dual_mov_b32 v12, 0 :: v_dual_and_b32 v11, 0x3ff, v0
	s_lshr_b32 s21, ttmp7, 16
	s_cmp_lg_u64 s[14:15], 0
	s_delay_alu instid0(VALU_DEP_1) | instskip(SKIP_4) | instid1(VALU_DEP_1)
	v_dual_mov_b32 v13, 0 :: v_dual_lshlrev_b32 v10, 2, v11
	v_or_b32_e32 v0, v11, v16
	s_cselect_b32 s2, -1, 0
	s_mov_b32 s23, 0
	s_mul_i32 s12, s3, s6
	v_cmp_eq_u32_e32 vcc_lo, 0, v0
	s_and_b32 s13, s2, vcc_lo
	s_delay_alu instid0(SALU_CYCLE_1)
	s_and_saveexec_b32 s3, s13
	s_cbranch_execz .LBB51_7
; %bb.6:
	s_wait_kmcnt 0x0
	s_mul_i32 s22, s26, s21
	s_mov_b32 s13, s23
	s_lshl_b64 s[36:37], s[22:23], 2
	s_mov_b32 s34, ttmp9
	s_add_nc_u64 s[14:15], s[14:15], s[36:37]
	s_lshl_b64 s[22:23], s[12:13], 2
	s_ashr_i32 s35, ttmp9, 31
	s_add_nc_u64 s[14:15], s[14:15], s[22:23]
	s_lshl_b64 s[22:23], s[34:35], 2
	s_delay_alu instid0(SALU_CYCLE_1)
	s_add_nc_u64 s[14:15], s[14:15], s[22:23]
	global_load_b32 v13, v10, s[14:15]
.LBB51_7:
	s_or_b32 exec_lo, exec_lo, s3
	s_cmp_lg_u64 s[16:17], 0
	s_cselect_b32 s14, -1, 0
	s_cmp_lg_u64 s[18:19], 0
	s_cselect_b32 s3, -1, 0
	s_delay_alu instid0(SALU_CYCLE_1) | instskip(NEXT) | instid1(SALU_CYCLE_1)
	s_and_b32 s13, s3, s14
	s_and_b32 s13, s13, vcc_lo
	s_delay_alu instid0(SALU_CYCLE_1)
	s_and_saveexec_b32 s15, s13
	s_cbranch_execz .LBB51_9
; %bb.8:
	s_wait_kmcnt 0x0
	s_mul_i32 s34, s26, s21
	s_mov_b32 s35, 0
	s_mov_b32 s22, ttmp9
	s_lshl_b64 s[36:37], s[34:35], 2
	s_mov_b32 s13, s35
	s_add_nc_u64 s[18:19], s[18:19], s[36:37]
	s_lshl_b64 s[12:13], s[12:13], 2
	s_ashr_i32 s23, ttmp9, 31
	s_add_nc_u64 s[12:13], s[18:19], s[12:13]
	s_lshl_b64 s[18:19], s[22:23], 2
	s_delay_alu instid0(SALU_CYCLE_1)
	s_add_nc_u64 s[12:13], s[12:13], s[18:19]
	global_load_b32 v12, v10, s[12:13]
.LBB51_9:
	s_or_b32 exec_lo, exec_lo, s15
	v_dual_mov_b32 v17, 0 :: v_dual_lshlrev_b32 v0, 5, v16
	v_cndmask_b32_e64 v14, 0, 1, s14
	s_lshr_b32 s15, s20, 5
	s_mov_b32 s18, exec_lo
	s_delay_alu instid0(VALU_DEP_2) | instskip(SKIP_1) | instid1(VALU_DEP_2)
	v_add_nc_u16 v1, v0, v11
	v_mov_b32_e32 v15, 0
	v_lshrrev_b16 v1, 1, v1
	s_delay_alu instid0(VALU_DEP_1) | instskip(SKIP_1) | instid1(VALU_DEP_1)
	v_and_b32_e32 v18, 0xffff, v1
	s_wait_alu 0xfffe
	v_cmpx_gt_u32_e64 s15, v18
	s_cbranch_execz .LBB51_15
; %bb.10:
	s_mul_i32 s22, s31, s5
	s_mul_hi_u32 s5, s7, s21
	v_lshlrev_b32_e32 v1, 1, v11
	v_dual_mov_b32 v17, 0 :: v_dual_add_nc_u32 v0, v0, v11
	s_add_co_i32 s5, s21, s5
	s_wait_kmcnt 0x0
	s_mul_i32 s12, s25, s21
	s_mov_b32 s13, 0
	s_lshr_b32 s5, s5, s30
	v_dual_mov_b32 v15, 0 :: v_dual_and_b32 v2, 2, v1
	s_mov_b32 s23, s13
	s_mul_i32 s7, s28, s4
	s_mul_i32 s19, s5, s24
	s_mul_u64 s[4:5], s[12:13], 36
	v_lshrrev_b32_e32 v0, 1, v0
	s_mul_u64 s[22:23], s[22:23], 36
	s_add_nc_u64 s[4:5], s[10:11], s[4:5]
	v_lshlrev_b32_e32 v19, 2, v2
	v_and_b32_e32 v3, 1, v11
	s_add_nc_u64 s[4:5], s[4:5], s[22:23]
	s_mul_i32 s29, s29, ttmp9
	v_mad_co_u64_u32 v[0:1], null, v0, 36, s[4:5]
	v_or_b32_e32 v20, 4, v19
	v_lshlrev_b32_e32 v21, 3, v3
	v_lshlrev_b32_e32 v22, 2, v2
	s_add_co_i32 s19, s19, s29
	s_delay_alu instid0(SALU_CYCLE_1)
	s_add_co_i32 s5, s7, s19
	s_branch .LBB51_12
.LBB51_11:                              ;   in Loop: Header=BB51_12 Depth=1
	s_wait_loadcnt 0x4
	v_ashrrev_i32_e32 v24, v19, v5
	s_wait_loadcnt 0x3
	v_and_b32_e32 v25, 0xf0f0f0f, v8
	v_lshrrev_b32_e32 v8, 4, v8
	v_ashrrev_i32_e32 v5, v20, v5
	s_wait_loadcnt 0x0
	v_pk_mul_f16 v4, v4, v23
	v_lshlrev_b32_e32 v26, 4, v24
	v_lshlrev_b32_e32 v27, 11, v24
	;; [unrolled: 1-line block ×4, first 2 shown]
	v_lshrrev_b32_e32 v30, 12, v24
	v_and_b32_e32 v26, 16, v26
	v_and_b32_e32 v27, 0x1000, v27
	v_lshrrev_b32_e32 v31, 5, v24
	v_lshlrev_b32_e32 v32, 2, v24
	v_and_b32_e32 v28, 0x100000, v28
	v_and_b32_e32 v29, 0x10000000, v29
	v_or3_b32 v25, v26, v25, v27
	v_lshlrev_b32_e32 v24, 9, v24
	v_and_b32_e32 v26, 16, v30
	v_and_b32_e32 v27, 0x1000, v31
	;; [unrolled: 1-line block ×3, first 2 shown]
	v_or3_b32 v25, v25, v28, v29
	v_and_b32_e32 v8, 0xf0f0f0f, v8
	v_and_b32_e32 v24, 0x10000000, v24
	v_lshlrev_b32_e32 v28, 18, v5
	v_or3_b32 v26, v27, v26, v30
	v_lshlrev_b32_e32 v27, 4, v5
	v_dot4_i32_iu8 v6, v25, v6, 0 neg_lo:[1,1,0]
	v_lshlrev_b32_e32 v25, 11, v5
	v_lshrrev_b32_e32 v29, 12, v5
	v_or3_b32 v8, v26, v24, v8
	v_and_b32_e32 v26, 16, v27
	v_and_b32_e32 v27, 0x100000, v28
	;; [unrolled: 1-line block ×3, first 2 shown]
	v_lshlrev_b32_e32 v24, 25, v5
	v_lshrrev_b32_e32 v30, 5, v5
	v_and_b32_e32 v28, 0xf0f0f0f, v9
	v_lshrrev_b32_e32 v9, 4, v9
	v_or3_b32 v25, v25, v26, v27
	v_lshlrev_b32_e32 v26, 2, v5
	v_and_b32_e32 v24, 0x10000000, v24
	v_and_b32_e32 v27, 16, v29
	;; [unrolled: 1-line block ×3, first 2 shown]
	v_lshlrev_b32_e32 v5, 9, v5
	v_and_b32_e32 v26, 0x100000, v26
	v_dot4_i32_iu8 v2, v8, v2, v6 neg_lo:[1,1,0]
	v_or3_b32 v6, v25, v24, v28
	v_and_b32_e32 v8, 0xf0f0f0f, v9
	v_and_b32_e32 v5, 0x10000000, v5
	v_or3_b32 v9, v29, v27, v26
	v_add_nc_u32_e32 v18, 0x80, v18
	v_dot4_i32_iu8 v2, v6, v7, v2 neg_lo:[1,1,0]
	v_lshrrev_b32_e32 v6, 16, v4
	v_add_co_u32 v0, s4, 0x1200, v0
	v_or3_b32 v5, v9, v5, v8
	v_cmp_le_u32_e32 vcc_lo, s15, v18
	s_wait_alu 0xf1ff
	v_add_co_ci_u32_e64 v1, null, 0, v1, s4
	s_delay_alu instid0(VALU_DEP_3) | instskip(SKIP_2) | instid1(VALU_DEP_2)
	v_dot4_i32_iu8 v2, v5, v3, v2 neg_lo:[1,1,0]
	v_cvt_f32_f16_e32 v3, v6
	s_or_b32 s13, vcc_lo, s13
	v_cvt_f32_i32_e32 v2, v2
	s_delay_alu instid0(VALU_DEP_2) | instskip(NEXT) | instid1(VALU_DEP_1)
	v_mul_f32_e32 v3, 0.5, v3
	v_fma_mix_f32 v2, v2, v4, v3 op_sel_hi:[0,1,0]
	s_delay_alu instid0(VALU_DEP_1)
	v_add_f32_e32 v17, v17, v2
	s_and_not1_b32 exec_lo, exec_lo, s13
	s_cbranch_execz .LBB51_14
.LBB51_12:                              ; =>This Inner Loop Header: Depth=1
	s_wait_alu 0xfffe
	v_add_nc_u32_e32 v24, s5, v18
	s_delay_alu instid0(VALU_DEP_1) | instskip(NEXT) | instid1(VALU_DEP_1)
	v_mad_co_i64_i32 v[2:3], null, v24, 24, s[8:9]
	v_add_co_u32 v6, vcc_lo, v2, v22
	s_wait_alu 0xfffd
	s_delay_alu instid0(VALU_DEP_2)
	v_add_co_ci_u32_e64 v7, null, 0, v3, vcc_lo
	v_add_co_u32 v25, vcc_lo, v0, v21
	s_wait_alu 0xfffd
	v_add_co_ci_u32_e64 v26, null, 0, v1, vcc_lo
	s_clause 0x1
	global_load_b64 v[4:5], v[2:3], off
	global_load_b64 v[8:9], v[6:7], off offset:8
	s_clause 0x2
	global_load_b64 v[6:7], v[25:26], off offset:4
	global_load_b64 v[2:3], v[25:26], off offset:20
	global_load_b32 v23, v[0:1], off
	s_and_not1_b32 vcc_lo, exec_lo, s14
	s_wait_alu 0xfffe
	s_cbranch_vccnz .LBB51_11
; %bb.13:                               ;   in Loop: Header=BB51_12 Depth=1
	v_mad_co_i64_i32 v[24:25], null, v24, 24, s[16:17]
	s_delay_alu instid0(VALU_DEP_1) | instskip(SKIP_1) | instid1(VALU_DEP_2)
	v_add_co_u32 v26, vcc_lo, v24, v22
	s_wait_alu 0xfffd
	v_add_co_ci_u32_e64 v27, null, 0, v25, vcc_lo
	s_clause 0x1
	global_load_b64 v[24:25], v[24:25], off
	global_load_b64 v[26:27], v[26:27], off offset:8
	s_wait_loadcnt 0x1
	v_ashrrev_i32_e32 v28, v19, v25
	v_ashrrev_i32_e32 v25, v20, v25
	s_wait_loadcnt 0x0
	v_and_b32_e32 v29, 0xf0f0f0f, v26
	v_lshrrev_b32_e32 v26, 4, v26
	v_and_b32_e32 v37, 0xf0f0f0f, v27
	v_lshlrev_b32_e32 v30, 4, v28
	v_lshlrev_b32_e32 v31, 11, v28
	;; [unrolled: 1-line block ×4, first 2 shown]
	v_lshrrev_b32_e32 v34, 12, v28
	v_lshrrev_b32_e32 v35, 5, v28
	v_lshlrev_b32_e32 v36, 2, v28
	v_and_b32_e32 v30, 16, v30
	v_and_b32_e32 v31, 0x1000, v31
	v_lshlrev_b32_e32 v28, 9, v28
	v_lshlrev_b32_e32 v38, 4, v25
	;; [unrolled: 1-line block ×3, first 2 shown]
	v_and_b32_e32 v32, 0x100000, v32
	v_and_b32_e32 v33, 0x10000000, v33
	;; [unrolled: 1-line block ×5, first 2 shown]
	v_or3_b32 v29, v30, v29, v31
	v_lshlrev_b32_e32 v40, 18, v25
	v_lshlrev_b32_e32 v41, 25, v25
	v_lshrrev_b32_e32 v42, 12, v25
	v_lshrrev_b32_e32 v43, 5, v25
	v_lshlrev_b32_e32 v44, 2, v25
	v_and_b32_e32 v26, 0xf0f0f0f, v26
	v_and_b32_e32 v28, 0x10000000, v28
	v_and_b32_e32 v38, 16, v38
	v_and_b32_e32 v39, 0x1000, v39
	v_or3_b32 v34, v35, v34, v36
	v_or3_b32 v29, v29, v32, v33
	v_lshrrev_b32_e32 v27, 4, v27
	v_lshlrev_b32_e32 v25, 9, v25
	v_and_b32_e32 v30, 0x100000, v40
	v_and_b32_e32 v31, 0x10000000, v41
	;; [unrolled: 1-line block ×5, first 2 shown]
	v_or3_b32 v35, v38, v37, v39
	v_or3_b32 v26, v34, v28, v26
	v_dot4_i32_iu8 v28, v29, v6, 0 neg_lo:[1,1,0]
	v_and_b32_e32 v27, 0xf0f0f0f, v27
	v_and_b32_e32 v25, 0x10000000, v25
	v_or3_b32 v29, v32, v40, v33
	v_or3_b32 v30, v35, v30, v31
	v_dot4_i32_iu8 v26, v26, v2, v28 neg_lo:[1,1,0]
	v_pk_mul_f16 v24, v23, v24
	s_delay_alu instid0(VALU_DEP_4) | instskip(NEXT) | instid1(VALU_DEP_3)
	v_or3_b32 v25, v29, v25, v27
	v_dot4_i32_iu8 v26, v30, v7, v26 neg_lo:[1,1,0]
	s_delay_alu instid0(VALU_DEP_3) | instskip(NEXT) | instid1(VALU_DEP_2)
	v_lshrrev_b32_e32 v27, 16, v24
	v_dot4_i32_iu8 v25, v25, v3, v26 neg_lo:[1,1,0]
	s_delay_alu instid0(VALU_DEP_2) | instskip(NEXT) | instid1(VALU_DEP_2)
	v_cvt_f32_f16_e32 v26, v27
	v_cvt_f32_i32_e32 v25, v25
	s_delay_alu instid0(VALU_DEP_2) | instskip(NEXT) | instid1(VALU_DEP_1)
	v_mul_f32_e32 v26, 0.5, v26
	v_fma_mix_f32 v24, v25, v24, v26 op_sel_hi:[0,1,0]
	s_delay_alu instid0(VALU_DEP_1)
	v_add_f32_e32 v15, v15, v24
	s_branch .LBB51_11
.LBB51_14:
	s_or_b32 exec_lo, exec_lo, s13
.LBB51_15:
	s_delay_alu instid0(SALU_CYCLE_1)
	s_or_b32 exec_lo, exec_lo, s18
	s_load_b32 s5, s[0:1], 0x30
	v_cmp_eq_u32_e64 s4, 0, v16
	s_mov_b32 s7, exec_lo
	v_cmpx_ne_u32_e32 0, v16
	s_cbranch_execz .LBB51_19
; %bb.16:
	v_add_nc_u32_e32 v0, -1, v16
	s_and_b32 vcc_lo, exec_lo, s14
	s_delay_alu instid0(VALU_DEP_1)
	v_lshlrev_b32_e32 v0, 7, v0
	s_wait_alu 0xfffe
	s_cbranch_vccz .LBB51_18
; %bb.17:
	s_delay_alu instid0(VALU_DEP_1)
	v_lshl_add_u32 v1, v11, 2, v0
	ds_store_b32 v1, v15 offset:896
.LBB51_18:
	s_delay_alu instid0(VALU_DEP_1)
	v_lshl_add_u32 v0, v11, 2, v0
	ds_store_b32 v0, v17
.LBB51_19:
	s_or_b32 exec_lo, exec_lo, s7
	s_wait_loadcnt_dscnt 0x0
	s_barrier_signal -1
	s_barrier_wait -1
	global_inv scope:SCOPE_SE
	s_and_saveexec_b32 s7, s4
	s_cbranch_execz .LBB51_61
; %bb.20:
	ds_load_b32 v0, v10
	v_cmp_ne_u32_e32 vcc_lo, 1, v14
	v_add_nc_u32_e32 v1, 0x380, v10
	s_cbranch_vccnz .LBB51_22
; %bb.21:
	ds_load_b32 v2, v1
	s_wait_dscnt 0x0
	v_add_f32_e32 v15, v15, v2
.LBB51_22:
	ds_load_b32 v2, v10 offset:128
	v_cmp_ne_u32_e32 vcc_lo, 1, v14
	s_cbranch_vccnz .LBB51_24
; %bb.23:
	ds_load_b32 v3, v1 offset:128
	s_wait_dscnt 0x0
	v_add_f32_e32 v15, v15, v3
.LBB51_24:
	ds_load_b32 v3, v10 offset:256
	v_cmp_ne_u32_e32 vcc_lo, 1, v14
	s_cbranch_vccnz .LBB51_26
; %bb.25:
	ds_load_b32 v4, v1 offset:256
	s_wait_dscnt 0x0
	v_add_f32_e32 v15, v15, v4
.LBB51_26:
	;; [unrolled: 8-line block ×6, first 2 shown]
	s_wait_dscnt 0x6
	v_add_f32_e32 v0, v17, v0
	v_mbcnt_lo_u32_b32 v1, -1, 0
	s_wait_dscnt 0x5
	s_delay_alu instid0(VALU_DEP_2) | instskip(NEXT) | instid1(VALU_DEP_2)
	v_add_f32_e32 v0, v0, v2
	v_xor_b32_e32 v2, 16, v1
	s_wait_dscnt 0x4
	s_delay_alu instid0(VALU_DEP_2) | instskip(NEXT) | instid1(VALU_DEP_2)
	v_add_f32_e32 v0, v0, v3
	v_cmp_gt_i32_e32 vcc_lo, 32, v2
	v_xor_b32_e32 v3, 8, v1
	s_wait_dscnt 0x3
	s_delay_alu instid0(VALU_DEP_3)
	v_add_f32_e32 v0, v0, v4
	s_wait_alu 0xfffd
	v_cndmask_b32_e32 v2, v1, v2, vcc_lo
	v_cmp_gt_i32_e32 vcc_lo, 32, v3
	s_wait_dscnt 0x2
	s_wait_alu 0xfffd
	v_dual_add_f32 v0, v0, v5 :: v_dual_cndmask_b32 v3, v1, v3
	s_wait_dscnt 0x1
	s_delay_alu instid0(VALU_DEP_1) | instskip(SKIP_1) | instid1(VALU_DEP_1)
	v_dual_add_f32 v0, v0, v6 :: v_dual_lshlrev_b32 v3, 2, v3
	s_wait_dscnt 0x0
	v_add_f32_e32 v4, v0, v7
	v_lshlrev_b32_e32 v0, 2, v2
	ds_bpermute_b32 v2, v0, v4
	s_wait_dscnt 0x0
	v_add_f32_e32 v2, v4, v2
	v_xor_b32_e32 v4, 4, v1
	ds_bpermute_b32 v5, v3, v2
	v_cmp_gt_i32_e32 vcc_lo, 32, v4
	s_wait_alu 0xfffd
	v_cndmask_b32_e32 v4, v1, v4, vcc_lo
	s_delay_alu instid0(VALU_DEP_1)
	v_lshlrev_b32_e32 v4, 2, v4
	s_wait_dscnt 0x0
	v_add_f32_e32 v2, v2, v5
	v_xor_b32_e32 v5, 2, v1
	ds_bpermute_b32 v6, v4, v2
	v_cmp_gt_i32_e32 vcc_lo, 32, v5
	s_wait_alu 0xfffd
	v_cndmask_b32_e32 v5, v1, v5, vcc_lo
	s_wait_dscnt 0x0
	s_delay_alu instid0(VALU_DEP_1)
	v_dual_add_f32 v2, v2, v6 :: v_dual_lshlrev_b32 v5, 2, v5
	v_xor_b32_e32 v6, 1, v1
	ds_bpermute_b32 v7, v5, v2
	v_cmp_gt_i32_e32 vcc_lo, 32, v6
	s_wait_alu 0xfffd
	v_cndmask_b32_e32 v1, v1, v6, vcc_lo
	v_cmp_ne_u32_e32 vcc_lo, 1, v14
	s_delay_alu instid0(VALU_DEP_2)
	v_lshlrev_b32_e32 v6, 2, v1
	s_wait_dscnt 0x0
	v_add_f32_e32 v1, v2, v7
	ds_bpermute_b32 v2, v6, v1
	s_cbranch_vccnz .LBB51_36
; %bb.35:
	ds_bpermute_b32 v0, v0, v15
	s_wait_dscnt 0x0
	v_add_f32_e32 v0, v15, v0
	ds_bpermute_b32 v3, v3, v0
	s_wait_dscnt 0x0
	v_add_f32_e32 v0, v0, v3
	ds_bpermute_b32 v3, v4, v0
	s_wait_dscnt 0x0
	v_add_f32_e32 v0, v0, v3
	ds_bpermute_b32 v3, v5, v0
	s_wait_dscnt 0x0
	v_add_f32_e32 v0, v0, v3
	ds_bpermute_b32 v3, v6, v0
	s_wait_dscnt 0x0
	v_add_f32_e32 v15, v0, v3
.LBB51_36:
	v_cmp_eq_u32_e32 vcc_lo, 0, v11
	s_and_b32 exec_lo, exec_lo, vcc_lo
	s_cbranch_execz .LBB51_61
; %bb.37:
	s_wait_dscnt 0x0
	v_add_f32_e32 v0, v1, v2
	v_cmp_ne_u32_e32 vcc_lo, 1, v14
	s_delay_alu instid0(VALU_DEP_2) | instskip(NEXT) | instid1(VALU_DEP_1)
	v_add_f32_e32 v1, v13, v0
	v_cndmask_b32_e64 v0, v0, v1, s2
	s_cbranch_vccnz .LBB51_60
; %bb.38:
	v_add_f32_e32 v1, v12, v15
	s_wait_kmcnt 0x0
	s_cmp_lt_i32 s5, 2
	s_mov_b32 s2, 0
	s_delay_alu instid0(VALU_DEP_1)
	v_cndmask_b32_e64 v1, v15, v1, s3
	s_cbranch_scc1 .LBB51_43
; %bb.39:
	s_cmp_gt_i32 s5, 2
	s_cbranch_scc0 .LBB51_44
; %bb.40:
	s_cmp_eq_u32 s5, 3
	s_cbranch_scc0 .LBB51_45
; %bb.41:
	v_max_num_f32_e32 v2, v1, v1
	s_mov_b32 s3, 0xc0e00000
	s_delay_alu instid0(VALU_DEP_1) | instskip(NEXT) | instid1(VALU_DEP_1)
	v_min_num_f32_e32 v2, 0x40e00000, v2
	v_mul_f32_e32 v3, 0xbfd9db23, v2
	s_delay_alu instid0(VALU_DEP_1) | instskip(NEXT) | instid1(VALU_DEP_1)
	v_mul_f32_e32 v4, 0x3fb8aa3b, v3
	v_fma_f32 v5, 0x3fb8aa3b, v3, -v4
	v_rndne_f32_e32 v6, v4
	s_delay_alu instid0(VALU_DEP_1) | instskip(NEXT) | instid1(VALU_DEP_1)
	v_dual_fmamk_f32 v5, v3, 0x32a5705f, v5 :: v_dual_sub_f32 v4, v4, v6
	v_add_f32_e32 v4, v4, v5
	v_cvt_i32_f32_e32 v5, v6
	v_cmp_ngt_f32_e32 vcc_lo, 0xc2ce8ed0, v3
	s_delay_alu instid0(VALU_DEP_3) | instskip(NEXT) | instid1(TRANS32_DEP_1)
	v_exp_f32_e32 v4, v4
	v_ldexp_f32 v4, v4, v5
	s_wait_alu 0xfffd
	s_delay_alu instid0(VALU_DEP_1) | instskip(SKIP_2) | instid1(VALU_DEP_2)
	v_cndmask_b32_e32 v4, 0, v4, vcc_lo
	v_cmp_nlt_f32_e32 vcc_lo, 0x42b17218, v3
	s_wait_alu 0xfffd
	v_cndmask_b32_e32 v3, 0x7f800000, v4, vcc_lo
	s_delay_alu instid0(VALU_DEP_1) | instskip(NEXT) | instid1(VALU_DEP_1)
	v_add_f32_e32 v3, 1.0, v3
	v_div_scale_f32 v4, null, v3, v3, v2
	v_div_scale_f32 v7, vcc_lo, v2, v3, v2
	s_delay_alu instid0(VALU_DEP_2) | instskip(NEXT) | instid1(TRANS32_DEP_1)
	v_rcp_f32_e32 v5, v4
	v_fma_f32 v6, -v4, v5, 1.0
	s_delay_alu instid0(VALU_DEP_1) | instskip(NEXT) | instid1(VALU_DEP_1)
	v_fmac_f32_e32 v5, v6, v5
	v_mul_f32_e32 v6, v7, v5
	s_delay_alu instid0(VALU_DEP_1) | instskip(NEXT) | instid1(VALU_DEP_1)
	v_fma_f32 v8, -v4, v6, v7
	v_fmac_f32_e32 v6, v8, v5
	s_delay_alu instid0(VALU_DEP_1) | instskip(SKIP_1) | instid1(VALU_DEP_1)
	v_fma_f32 v4, -v4, v6, v7
	s_wait_alu 0xfffd
	v_div_fmas_f32 v4, v4, v5, v6
	s_delay_alu instid0(VALU_DEP_1) | instskip(SKIP_2) | instid1(VALU_DEP_1)
	v_div_fixup_f32 v2, v4, v3, v2
	v_max_num_f32_e32 v7, v0, v0
	s_wait_alu 0xfffe
	v_minmax_num_f32 v5, v7, 0x40e00000, s3
	s_mov_b32 s3, 0
	s_delay_alu instid0(VALU_DEP_1) | instskip(NEXT) | instid1(VALU_DEP_1)
	v_add_f32_e32 v3, 1.0, v5
	v_mul_f32_e32 v2, v3, v2
	s_branch .LBB51_46
.LBB51_42:
                                        ; implicit-def: $sgpr28
	s_clause 0x1
	s_load_b32 s29, s[0:1], 0x50
	s_load_b32 s30, s[0:1], 0x78
	s_branch .LBB51_2
.LBB51_43:
	s_mov_b32 s3, 0
                                        ; implicit-def: $vgpr2
	s_cbranch_execnz .LBB51_50
	s_branch .LBB51_51
.LBB51_44:
	s_mov_b32 s4, -1
	s_mov_b32 s3, 0
                                        ; implicit-def: $vgpr2
	s_branch .LBB51_47
.LBB51_45:
	s_mov_b32 s3, -1
                                        ; implicit-def: $vgpr2
.LBB51_46:
	s_mov_b32 s4, 0
.LBB51_47:
	s_wait_alu 0xfffe
	s_and_b32 vcc_lo, exec_lo, s4
	s_wait_alu 0xfffe
	s_cbranch_vccz .LBB51_49
; %bb.48:
	v_mul_f32_e32 v2, 0xbfb8aa3b, v1
	v_cmp_nlt_f32_e32 vcc_lo, 0x42ce8ed0, v1
	s_delay_alu instid0(VALU_DEP_2) | instskip(SKIP_1) | instid1(VALU_DEP_2)
	v_rndne_f32_e32 v3, v2
	v_fma_f32 v4, 0xbfb8aa3b, v1, -v2
	v_sub_f32_e32 v2, v2, v3
	s_delay_alu instid0(VALU_DEP_2) | instskip(SKIP_1) | instid1(VALU_DEP_2)
	v_fmamk_f32 v4, v1, 0xb2a5705f, v4
	v_cvt_i32_f32_e32 v3, v3
	v_add_f32_e32 v2, v2, v4
	s_delay_alu instid0(VALU_DEP_1) | instskip(NEXT) | instid1(TRANS32_DEP_1)
	v_exp_f32_e32 v2, v2
	v_ldexp_f32 v2, v2, v3
	s_wait_alu 0xfffd
	s_delay_alu instid0(VALU_DEP_1) | instskip(SKIP_2) | instid1(VALU_DEP_2)
	v_cndmask_b32_e32 v2, 0, v2, vcc_lo
	v_cmp_ngt_f32_e32 vcc_lo, 0xc2b17218, v1
	s_wait_alu 0xfffd
	v_cndmask_b32_e32 v2, 0x7f800000, v2, vcc_lo
	s_delay_alu instid0(VALU_DEP_1) | instskip(NEXT) | instid1(VALU_DEP_1)
	v_add_f32_e32 v2, 1.0, v2
	v_div_scale_f32 v3, null, v2, v2, v1
	s_delay_alu instid0(VALU_DEP_1) | instskip(NEXT) | instid1(TRANS32_DEP_1)
	v_rcp_f32_e32 v4, v3
	v_fma_f32 v5, -v3, v4, 1.0
	s_delay_alu instid0(VALU_DEP_1) | instskip(SKIP_1) | instid1(VALU_DEP_1)
	v_fmac_f32_e32 v4, v5, v4
	v_div_scale_f32 v5, vcc_lo, v1, v2, v1
	v_mul_f32_e32 v6, v5, v4
	s_delay_alu instid0(VALU_DEP_1) | instskip(NEXT) | instid1(VALU_DEP_1)
	v_fma_f32 v7, -v3, v6, v5
	v_fmac_f32_e32 v6, v7, v4
	s_delay_alu instid0(VALU_DEP_1) | instskip(SKIP_1) | instid1(VALU_DEP_1)
	v_fma_f32 v3, -v3, v6, v5
	s_wait_alu 0xfffd
	v_div_fmas_f32 v3, v3, v4, v6
	s_delay_alu instid0(VALU_DEP_1) | instskip(NEXT) | instid1(VALU_DEP_1)
	v_div_fixup_f32 v2, v3, v2, v1
	v_mul_f32_e32 v2, v0, v2
.LBB51_49:
	s_branch .LBB51_51
.LBB51_50:
	s_cmp_lg_u32 s5, 1
	s_mov_b32 s2, -1
	s_cselect_b32 s3, -1, 0
.LBB51_51:
	s_wait_alu 0xfffe
	s_and_not1_b32 vcc_lo, exec_lo, s3
	s_wait_alu 0xfffe
	s_cbranch_vccz .LBB51_53
; %bb.52:
	s_and_not1_b32 vcc_lo, exec_lo, s2
	s_wait_alu 0xfffe
	s_cbranch_vccz .LBB51_54
	s_branch .LBB51_59
.LBB51_53:
	v_mul_f32_e32 v2, v1, v0
	s_cbranch_execnz .LBB51_59
.LBB51_54:
	v_mul_f32_e32 v2, 0x3d372713, v1
	v_mul_f32_e32 v3, 0x3f4c422a, v1
	s_delay_alu instid0(VALU_DEP_2) | instskip(NEXT) | instid1(VALU_DEP_1)
	v_fma_f32 v2, v1, v2, 1.0
	v_mul_f32_e32 v2, v3, v2
                                        ; implicit-def: $vgpr3
	s_delay_alu instid0(VALU_DEP_1)
	v_cmp_ngt_f32_e64 s2, 0x3f200000, |v2|
	s_and_saveexec_b32 s3, s2
	s_wait_alu 0xfffe
	s_xor_b32 s2, exec_lo, s3
	s_cbranch_execz .LBB51_56
; %bb.55:
	v_add_f32_e64 v3, |v2|, |v2|
	s_delay_alu instid0(VALU_DEP_1) | instskip(SKIP_1) | instid1(VALU_DEP_2)
	v_mul_f32_e32 v4, 0x3fb8aa3b, v3
	v_cmp_ngt_f32_e32 vcc_lo, 0xc2ce8ed0, v3
	v_rndne_f32_e32 v5, v4
	v_fma_f32 v6, 0x3fb8aa3b, v3, -v4
	s_delay_alu instid0(VALU_DEP_2) | instskip(NEXT) | instid1(VALU_DEP_2)
	v_sub_f32_e32 v4, v4, v5
	v_fmamk_f32 v6, v3, 0x32a5705f, v6
	v_cvt_i32_f32_e32 v5, v5
	s_delay_alu instid0(VALU_DEP_2) | instskip(NEXT) | instid1(VALU_DEP_1)
	v_add_f32_e32 v4, v4, v6
	v_exp_f32_e32 v4, v4
	s_delay_alu instid0(TRANS32_DEP_1) | instskip(SKIP_1) | instid1(VALU_DEP_1)
	v_ldexp_f32 v4, v4, v5
	s_wait_alu 0xfffd
	v_cndmask_b32_e32 v4, 0, v4, vcc_lo
	v_cmp_nlt_f32_e32 vcc_lo, 0x42b17218, v3
	s_wait_alu 0xfffd
	s_delay_alu instid0(VALU_DEP_2) | instskip(NEXT) | instid1(VALU_DEP_1)
	v_cndmask_b32_e32 v3, 0x7f800000, v4, vcc_lo
	v_add_f32_e32 v3, 1.0, v3
	s_delay_alu instid0(VALU_DEP_1) | instskip(NEXT) | instid1(TRANS32_DEP_1)
	v_rcp_f32_e32 v3, v3
	v_fma_f32 v3, v3, -2.0, 1.0
.LBB51_56:
	s_wait_alu 0xfffe
	s_and_not1_saveexec_b32 s2, s2
	s_cbranch_execz .LBB51_58
; %bb.57:
	v_mul_f32_e32 v3, v2, v2
	s_mov_b32 s3, 0xbbbac73d
	s_wait_alu 0xfffe
	s_delay_alu instid0(VALU_DEP_1) | instskip(NEXT) | instid1(VALU_DEP_1)
	v_fmaak_f32 v4, s3, v3, 0x3ca908c9
	v_fmaak_f32 v4, v3, v4, 0xbd5c1c4e
	s_delay_alu instid0(VALU_DEP_1) | instskip(NEXT) | instid1(VALU_DEP_1)
	v_fmaak_f32 v4, v3, v4, 0x3e088382
	v_fmaak_f32 v4, v3, v4, 0xbeaaaa99
	s_delay_alu instid0(VALU_DEP_1) | instskip(NEXT) | instid1(VALU_DEP_1)
	v_mul_f32_e64 v4, |v2|, v4
	v_fma_f32 v3, v3, v4, |v2|
.LBB51_58:
	s_wait_alu 0xfffe
	s_or_b32 exec_lo, exec_lo, s2
	s_delay_alu instid0(VALU_DEP_1) | instskip(NEXT) | instid1(VALU_DEP_1)
	v_bfi_b32 v2, 0x7fffffff, v3, v2
	v_dual_mul_f32 v1, 0.5, v1 :: v_dual_add_f32 v2, 1.0, v2
	s_delay_alu instid0(VALU_DEP_1) | instskip(NEXT) | instid1(VALU_DEP_1)
	v_mul_f32_e32 v1, v1, v2
	v_mul_f32_e32 v2, v0, v1
.LBB51_59:
	s_delay_alu instid0(VALU_DEP_1)
	v_mov_b32_e32 v0, v2
.LBB51_60:
	s_load_b64 s[0:1], s[0:1], 0x38
	s_mul_i32 s2, s6, s27
	s_wait_kmcnt 0x0
	s_mul_i32 s3, s26, s21
	s_wait_alu 0xfffe
	s_add_co_i32 s2, s2, ttmp9
	s_wait_alu 0xfffe
	s_add_co_i32 s2, s2, s3
	s_mov_b32 s3, 0
	s_wait_alu 0xfffe
	s_lshl_b64 s[2:3], s[2:3], 2
	s_wait_alu 0xfffe
	s_add_nc_u64 s[0:1], s[0:1], s[2:3]
	global_store_b32 v10, v0, s[0:1]
.LBB51_61:
	s_endpgm
	.section	.rodata,"a",@progbits
	.p2align	6, 0x0
	.amdhsa_kernel _ZL13mul_mat_vec_qIL9ggml_type7ELi1ELb1ELb0EEvPKvS2_PKi31ggml_cuda_mm_fusion_args_devicePfj15HIP_vector_typeIjLj3EEjjjS8_jjjS8_jjjj
		.amdhsa_group_segment_fixed_size 1792
		.amdhsa_private_segment_fixed_size 0
		.amdhsa_kernarg_size 144
		.amdhsa_user_sgpr_count 2
		.amdhsa_user_sgpr_dispatch_ptr 0
		.amdhsa_user_sgpr_queue_ptr 0
		.amdhsa_user_sgpr_kernarg_segment_ptr 1
		.amdhsa_user_sgpr_dispatch_id 0
		.amdhsa_user_sgpr_private_segment_size 0
		.amdhsa_wavefront_size32 1
		.amdhsa_uses_dynamic_stack 0
		.amdhsa_enable_private_segment 0
		.amdhsa_system_sgpr_workgroup_id_x 1
		.amdhsa_system_sgpr_workgroup_id_y 1
		.amdhsa_system_sgpr_workgroup_id_z 1
		.amdhsa_system_sgpr_workgroup_info 0
		.amdhsa_system_vgpr_workitem_id 1
		.amdhsa_next_free_vgpr 45
		.amdhsa_next_free_sgpr 38
		.amdhsa_reserve_vcc 1
		.amdhsa_float_round_mode_32 0
		.amdhsa_float_round_mode_16_64 0
		.amdhsa_float_denorm_mode_32 3
		.amdhsa_float_denorm_mode_16_64 3
		.amdhsa_fp16_overflow 0
		.amdhsa_workgroup_processor_mode 1
		.amdhsa_memory_ordered 1
		.amdhsa_forward_progress 1
		.amdhsa_inst_pref_size 28
		.amdhsa_round_robin_scheduling 0
		.amdhsa_exception_fp_ieee_invalid_op 0
		.amdhsa_exception_fp_denorm_src 0
		.amdhsa_exception_fp_ieee_div_zero 0
		.amdhsa_exception_fp_ieee_overflow 0
		.amdhsa_exception_fp_ieee_underflow 0
		.amdhsa_exception_fp_ieee_inexact 0
		.amdhsa_exception_int_div_zero 0
	.end_amdhsa_kernel
	.section	.text._ZL13mul_mat_vec_qIL9ggml_type7ELi1ELb1ELb0EEvPKvS2_PKi31ggml_cuda_mm_fusion_args_devicePfj15HIP_vector_typeIjLj3EEjjjS8_jjjS8_jjjj,"axG",@progbits,_ZL13mul_mat_vec_qIL9ggml_type7ELi1ELb1ELb0EEvPKvS2_PKi31ggml_cuda_mm_fusion_args_devicePfj15HIP_vector_typeIjLj3EEjjjS8_jjjS8_jjjj,comdat
.Lfunc_end51:
	.size	_ZL13mul_mat_vec_qIL9ggml_type7ELi1ELb1ELb0EEvPKvS2_PKi31ggml_cuda_mm_fusion_args_devicePfj15HIP_vector_typeIjLj3EEjjjS8_jjjS8_jjjj, .Lfunc_end51-_ZL13mul_mat_vec_qIL9ggml_type7ELi1ELb1ELb0EEvPKvS2_PKi31ggml_cuda_mm_fusion_args_devicePfj15HIP_vector_typeIjLj3EEjjjS8_jjjS8_jjjj
                                        ; -- End function
	.set _ZL13mul_mat_vec_qIL9ggml_type7ELi1ELb1ELb0EEvPKvS2_PKi31ggml_cuda_mm_fusion_args_devicePfj15HIP_vector_typeIjLj3EEjjjS8_jjjS8_jjjj.num_vgpr, 45
	.set _ZL13mul_mat_vec_qIL9ggml_type7ELi1ELb1ELb0EEvPKvS2_PKi31ggml_cuda_mm_fusion_args_devicePfj15HIP_vector_typeIjLj3EEjjjS8_jjjS8_jjjj.num_agpr, 0
	.set _ZL13mul_mat_vec_qIL9ggml_type7ELi1ELb1ELb0EEvPKvS2_PKi31ggml_cuda_mm_fusion_args_devicePfj15HIP_vector_typeIjLj3EEjjjS8_jjjS8_jjjj.numbered_sgpr, 38
	.set _ZL13mul_mat_vec_qIL9ggml_type7ELi1ELb1ELb0EEvPKvS2_PKi31ggml_cuda_mm_fusion_args_devicePfj15HIP_vector_typeIjLj3EEjjjS8_jjjS8_jjjj.num_named_barrier, 0
	.set _ZL13mul_mat_vec_qIL9ggml_type7ELi1ELb1ELb0EEvPKvS2_PKi31ggml_cuda_mm_fusion_args_devicePfj15HIP_vector_typeIjLj3EEjjjS8_jjjS8_jjjj.private_seg_size, 0
	.set _ZL13mul_mat_vec_qIL9ggml_type7ELi1ELb1ELb0EEvPKvS2_PKi31ggml_cuda_mm_fusion_args_devicePfj15HIP_vector_typeIjLj3EEjjjS8_jjjS8_jjjj.uses_vcc, 1
	.set _ZL13mul_mat_vec_qIL9ggml_type7ELi1ELb1ELb0EEvPKvS2_PKi31ggml_cuda_mm_fusion_args_devicePfj15HIP_vector_typeIjLj3EEjjjS8_jjjS8_jjjj.uses_flat_scratch, 0
	.set _ZL13mul_mat_vec_qIL9ggml_type7ELi1ELb1ELb0EEvPKvS2_PKi31ggml_cuda_mm_fusion_args_devicePfj15HIP_vector_typeIjLj3EEjjjS8_jjjS8_jjjj.has_dyn_sized_stack, 0
	.set _ZL13mul_mat_vec_qIL9ggml_type7ELi1ELb1ELb0EEvPKvS2_PKi31ggml_cuda_mm_fusion_args_devicePfj15HIP_vector_typeIjLj3EEjjjS8_jjjS8_jjjj.has_recursion, 0
	.set _ZL13mul_mat_vec_qIL9ggml_type7ELi1ELb1ELb0EEvPKvS2_PKi31ggml_cuda_mm_fusion_args_devicePfj15HIP_vector_typeIjLj3EEjjjS8_jjjS8_jjjj.has_indirect_call, 0
	.section	.AMDGPU.csdata,"",@progbits
; Kernel info:
; codeLenInByte = 3520
; TotalNumSgprs: 40
; NumVgprs: 45
; ScratchSize: 0
; MemoryBound: 0
; FloatMode: 240
; IeeeMode: 1
; LDSByteSize: 1792 bytes/workgroup (compile time only)
; SGPRBlocks: 0
; VGPRBlocks: 5
; NumSGPRsForWavesPerEU: 40
; NumVGPRsForWavesPerEU: 45
; Occupancy: 16
; WaveLimiterHint : 0
; COMPUTE_PGM_RSRC2:SCRATCH_EN: 0
; COMPUTE_PGM_RSRC2:USER_SGPR: 2
; COMPUTE_PGM_RSRC2:TRAP_HANDLER: 0
; COMPUTE_PGM_RSRC2:TGID_X_EN: 1
; COMPUTE_PGM_RSRC2:TGID_Y_EN: 1
; COMPUTE_PGM_RSRC2:TGID_Z_EN: 1
; COMPUTE_PGM_RSRC2:TIDIG_COMP_CNT: 1
	.section	.text._ZL13mul_mat_vec_qIL9ggml_type7ELi1ELb0ELb0EEvPKvS2_PKi31ggml_cuda_mm_fusion_args_devicePfj15HIP_vector_typeIjLj3EEjjjS8_jjjS8_jjjj,"axG",@progbits,_ZL13mul_mat_vec_qIL9ggml_type7ELi1ELb0ELb0EEvPKvS2_PKi31ggml_cuda_mm_fusion_args_devicePfj15HIP_vector_typeIjLj3EEjjjS8_jjjS8_jjjj,comdat
	.globl	_ZL13mul_mat_vec_qIL9ggml_type7ELi1ELb0ELb0EEvPKvS2_PKi31ggml_cuda_mm_fusion_args_devicePfj15HIP_vector_typeIjLj3EEjjjS8_jjjS8_jjjj ; -- Begin function _ZL13mul_mat_vec_qIL9ggml_type7ELi1ELb0ELb0EEvPKvS2_PKi31ggml_cuda_mm_fusion_args_devicePfj15HIP_vector_typeIjLj3EEjjjS8_jjjS8_jjjj
	.p2align	8
	.type	_ZL13mul_mat_vec_qIL9ggml_type7ELi1ELb0ELb0EEvPKvS2_PKi31ggml_cuda_mm_fusion_args_devicePfj15HIP_vector_typeIjLj3EEjjjS8_jjjS8_jjjj,@function
_ZL13mul_mat_vec_qIL9ggml_type7ELi1ELb0ELb0EEvPKvS2_PKi31ggml_cuda_mm_fusion_args_devicePfj15HIP_vector_typeIjLj3EEjjjS8_jjjS8_jjjj: ; @_ZL13mul_mat_vec_qIL9ggml_type7ELi1ELb0ELb0EEvPKvS2_PKi31ggml_cuda_mm_fusion_args_devicePfj15HIP_vector_typeIjLj3EEjjjS8_jjjS8_jjjj
; %bb.0:
	s_clause 0x1
	s_load_b64 s[2:3], s[0:1], 0x10
	s_load_b128 s[8:11], s[0:1], 0x40
	s_and_b32 s15, ttmp7, 0xffff
	s_wait_kmcnt 0x0
	s_cmp_lg_u64 s[2:3], 0
	s_cselect_b32 s12, -1, 0
	s_cmp_eq_u64 s[2:3], 0
	s_cbranch_scc1 .LBB52_15
; %bb.1:
	s_lshl_b32 s4, s15, 2
	s_load_b32 s19, s[2:3], s4 offset:0x0
	s_clause 0x1
	s_load_b128 s[4:7], s[0:1], 0x68
	s_load_b32 s20, s[0:1], 0x50
	s_cbranch_execnz .LBB52_3
.LBB52_2:
	s_load_b64 s[2:3], s[0:1], 0x5c
	s_wait_kmcnt 0x0
	s_mul_hi_u32 s2, s2, s15
	s_delay_alu instid0(SALU_CYCLE_1) | instskip(NEXT) | instid1(SALU_CYCLE_1)
	s_add_co_i32 s2, s15, s2
	s_lshr_b32 s19, s2, s3
.LBB52_3:
	s_load_b32 s21, s[0:1], 0x78
	s_and_not1_b32 vcc_lo, exec_lo, s12
	s_mov_b32 s22, s15
	s_cbranch_vccnz .LBB52_5
; %bb.4:
	s_mul_hi_u32 s2, s9, s15
	s_delay_alu instid0(SALU_CYCLE_1) | instskip(NEXT) | instid1(SALU_CYCLE_1)
	s_add_co_i32 s2, s15, s2
	s_lshr_b32 s2, s2, s10
	s_delay_alu instid0(SALU_CYCLE_1) | instskip(NEXT) | instid1(SALU_CYCLE_1)
	s_mul_i32 s2, s2, s11
	s_sub_co_i32 s22, s15, s2
.LBB52_5:
	v_bfe_u32 v3, v0, 10, 10
	v_and_b32_e32 v2, 0x3ff, v0
	s_load_b96 s[12:14], s[0:1], 0x80
	s_lshr_b32 s18, s8, 5
	s_lshr_b32 s16, ttmp7, 16
	v_lshlrev_b32_e32 v0, 5, v3
	s_mov_b32 s17, exec_lo
	v_mov_b32_e32 v4, 0
	s_delay_alu instid0(VALU_DEP_2) | instskip(NEXT) | instid1(VALU_DEP_1)
	v_add_nc_u16 v1, v0, v2
	v_lshrrev_b16 v1, 1, v1
	s_delay_alu instid0(VALU_DEP_1) | instskip(NEXT) | instid1(VALU_DEP_1)
	v_and_b32_e32 v5, 0xffff, v1
	v_cmpx_gt_u32_e64 s18, v5
	s_cbranch_execz .LBB52_9
; %bb.6:
	s_load_b128 s[8:11], s[0:1], 0x0
	s_wait_kmcnt 0x0
	s_mul_i32 s22, s22, s5
	s_mul_hi_u32 s5, s7, s16
	v_dual_mov_b32 v4, 0 :: v_dual_lshlrev_b32 v1, 1, v2
	v_add_nc_u32_e32 v0, v0, v2
	s_add_co_i32 s5, s16, s5
	s_mul_i32 s2, s13, s16
	s_mov_b32 s3, 0
	s_mul_i32 s7, s19, s4
	s_lshr_b32 s4, s5, s21
	v_and_b32_e32 v9, 2, v1
	s_mov_b32 s23, s3
	s_mul_i32 s19, s4, s12
	s_mul_u64 s[4:5], s[2:3], 36
	v_lshrrev_b32_e32 v0, 1, v0
	s_mul_u64 s[12:13], s[22:23], 36
	v_lshlrev_b32_e32 v6, 2, v9
	v_and_b32_e32 v8, 1, v2
	s_mul_i32 s20, s20, ttmp9
	s_add_nc_u64 s[4:5], s[10:11], s[4:5]
	v_lshlrev_b32_e32 v9, 2, v9
	s_add_nc_u64 s[4:5], s[4:5], s[12:13]
	v_or_b32_e32 v7, 4, v6
	v_mad_co_u64_u32 v[0:1], null, v0, 36, s[4:5]
	v_lshlrev_b32_e32 v8, 3, v8
	s_wait_alu 0xfffe
	s_add_co_i32 s19, s19, s20
	s_wait_alu 0xfffe
	s_add_co_i32 s4, s7, s19
.LBB52_7:                               ; =>This Inner Loop Header: Depth=1
	s_wait_alu 0xfffe
	v_add_nc_u32_e32 v12, s4, v5
	v_add_co_u32 v10, vcc_lo, v0, v8
	s_wait_alu 0xfffd
	v_add_co_ci_u32_e64 v11, null, 0, v1, vcc_lo
	s_delay_alu instid0(VALU_DEP_3)
	v_mad_co_i64_i32 v[12:13], null, v12, 24, s[8:9]
	v_add_nc_u32_e32 v5, 0x80, v5
	global_load_b64 v[14:15], v[10:11], off offset:4
	v_add_co_u32 v16, vcc_lo, v12, v9
	s_wait_alu 0xfffd
	v_add_co_ci_u32_e64 v17, null, 0, v13, vcc_lo
	v_cmp_le_u32_e32 vcc_lo, s18, v5
	s_clause 0x1
	global_load_b64 v[12:13], v[12:13], off
	global_load_b64 v[16:17], v[16:17], off offset:8
	s_clause 0x1
	global_load_b32 v18, v[0:1], off
	global_load_b64 v[10:11], v[10:11], off offset:20
	v_add_co_u32 v0, s2, 0x1200, v0
	s_wait_alu 0xf1ff
	v_add_co_ci_u32_e64 v1, null, 0, v1, s2
	s_or_b32 s3, vcc_lo, s3
	s_wait_loadcnt 0x3
	v_ashrrev_i32_e32 v19, v6, v13
	v_ashrrev_i32_e32 v13, v7, v13
	s_wait_loadcnt 0x1
	v_pk_mul_f16 v12, v12, v18
	v_and_b32_e32 v18, 0xf0f0f0f, v16
	v_lshrrev_b32_e32 v16, 4, v16
	v_lshlrev_b32_e32 v20, 4, v19
	v_lshlrev_b32_e32 v21, 11, v19
	;; [unrolled: 1-line block ×4, first 2 shown]
	v_lshrrev_b32_e32 v24, 12, v19
	v_lshrrev_b32_e32 v25, 5, v19
	v_lshlrev_b32_e32 v26, 2, v19
	v_and_b32_e32 v20, 16, v20
	v_and_b32_e32 v21, 0x1000, v21
	v_lshlrev_b32_e32 v19, 9, v19
	v_lshlrev_b32_e32 v28, 4, v13
	v_lshlrev_b32_e32 v29, 11, v13
	v_lshlrev_b32_e32 v30, 18, v13
	v_and_b32_e32 v22, 0x100000, v22
	v_and_b32_e32 v23, 0x10000000, v23
	;; [unrolled: 1-line block ×5, first 2 shown]
	v_or3_b32 v18, v20, v18, v21
	v_lshlrev_b32_e32 v31, 25, v13
	v_lshrrev_b32_e32 v32, 12, v13
	v_lshrrev_b32_e32 v33, 5, v13
	v_lshlrev_b32_e32 v34, 2, v13
	v_and_b32_e32 v16, 0xf0f0f0f, v16
	v_and_b32_e32 v19, 0x10000000, v19
	;; [unrolled: 1-line block ×5, first 2 shown]
	v_or3_b32 v20, v25, v24, v26
	v_or3_b32 v18, v18, v22, v23
	v_and_b32_e32 v27, 0xf0f0f0f, v17
	v_lshrrev_b32_e32 v17, 4, v17
	v_lshlrev_b32_e32 v13, 9, v13
	v_and_b32_e32 v31, 0x10000000, v31
	v_and_b32_e32 v32, 16, v32
	;; [unrolled: 1-line block ×4, first 2 shown]
	v_or3_b32 v21, v29, v28, v30
	v_or3_b32 v16, v20, v19, v16
	v_dot4_i32_iu8 v14, v18, v14, 0 neg_lo:[1,1,0]
	v_and_b32_e32 v17, 0xf0f0f0f, v17
	v_and_b32_e32 v13, 0x10000000, v13
	v_or3_b32 v18, v33, v32, v34
	v_or3_b32 v19, v21, v31, v27
	s_wait_loadcnt 0x0
	v_dot4_i32_iu8 v10, v16, v10, v14 neg_lo:[1,1,0]
	v_lshrrev_b32_e32 v14, 16, v12
	v_or3_b32 v13, v18, v13, v17
	s_delay_alu instid0(VALU_DEP_3) | instskip(NEXT) | instid1(VALU_DEP_3)
	v_dot4_i32_iu8 v10, v19, v15, v10 neg_lo:[1,1,0]
	v_cvt_f32_f16_e32 v14, v14
	s_delay_alu instid0(VALU_DEP_2) | instskip(NEXT) | instid1(VALU_DEP_2)
	v_dot4_i32_iu8 v10, v13, v11, v10 neg_lo:[1,1,0]
	v_mul_f32_e32 v11, 0.5, v14
	s_delay_alu instid0(VALU_DEP_2) | instskip(NEXT) | instid1(VALU_DEP_1)
	v_cvt_f32_i32_e32 v10, v10
	v_fma_mix_f32 v10, v10, v12, v11 op_sel_hi:[0,1,0]
	s_delay_alu instid0(VALU_DEP_1)
	v_add_f32_e32 v4, v4, v10
	s_wait_alu 0xfffe
	s_and_not1_b32 exec_lo, exec_lo, s3
	s_cbranch_execnz .LBB52_7
; %bb.8:
	s_or_b32 exec_lo, exec_lo, s3
.LBB52_9:
	s_delay_alu instid0(SALU_CYCLE_1)
	s_or_b32 exec_lo, exec_lo, s17
	v_lshlrev_b32_e32 v0, 2, v2
	s_mov_b32 s3, exec_lo
	v_cmp_eq_u32_e32 vcc_lo, 0, v3
	v_cmpx_ne_u32_e32 0, v3
; %bb.10:
	v_lshlrev_b32_e32 v1, 7, v3
	s_delay_alu instid0(VALU_DEP_1)
	v_add3_u32 v1, v1, v0, 0xffffff80
	ds_store_b32 v1, v4
; %bb.11:
	s_wait_alu 0xfffe
	s_or_b32 exec_lo, exec_lo, s3
	s_wait_dscnt 0x0
	s_barrier_signal -1
	s_barrier_wait -1
	global_inv scope:SCOPE_SE
	s_and_saveexec_b32 s2, vcc_lo
	s_cbranch_execz .LBB52_14
; %bb.12:
	ds_load_2addr_b32 v[5:6], v0 offset1:32
	ds_load_2addr_b32 v[7:8], v0 offset0:64 offset1:96
	ds_load_2addr_b32 v[9:10], v0 offset0:128 offset1:160
	v_mbcnt_lo_u32_b32 v3, -1, 0
	ds_load_b32 v0, v0 offset:768
	s_mov_b32 s3, 0
	s_wait_dscnt 0x3
	v_add_f32_e32 v1, v4, v5
	v_xor_b32_e32 v4, 16, v3
	s_delay_alu instid0(VALU_DEP_1) | instskip(SKIP_1) | instid1(VALU_DEP_3)
	v_cmp_gt_i32_e32 vcc_lo, 32, v4
	s_wait_alu 0xfffd
	v_dual_cndmask_b32 v4, v3, v4 :: v_dual_add_f32 v1, v1, v6
	s_wait_dscnt 0x2
	s_delay_alu instid0(VALU_DEP_1) | instskip(NEXT) | instid1(VALU_DEP_1)
	v_add_f32_e32 v1, v1, v7
	v_add_f32_e32 v1, v1, v8
	s_wait_dscnt 0x1
	s_delay_alu instid0(VALU_DEP_1) | instskip(NEXT) | instid1(VALU_DEP_1)
	v_add_f32_e32 v1, v1, v9
	v_add_f32_e32 v1, v1, v10
	s_wait_dscnt 0x0
	s_delay_alu instid0(VALU_DEP_1)
	v_add_f32_e32 v0, v1, v0
	v_lshlrev_b32_e32 v1, 2, v4
	v_xor_b32_e32 v4, 8, v3
	ds_bpermute_b32 v1, v1, v0
	v_cmp_gt_i32_e32 vcc_lo, 32, v4
	s_wait_alu 0xfffd
	v_cndmask_b32_e32 v4, v3, v4, vcc_lo
	s_delay_alu instid0(VALU_DEP_1) | instskip(SKIP_4) | instid1(VALU_DEP_1)
	v_lshlrev_b32_e32 v4, 2, v4
	s_wait_dscnt 0x0
	v_add_f32_e32 v0, v0, v1
	ds_bpermute_b32 v1, v4, v0
	v_xor_b32_e32 v4, 4, v3
	v_cmp_gt_i32_e32 vcc_lo, 32, v4
	s_wait_alu 0xfffd
	v_cndmask_b32_e32 v4, v3, v4, vcc_lo
	s_delay_alu instid0(VALU_DEP_1) | instskip(SKIP_4) | instid1(VALU_DEP_1)
	v_lshlrev_b32_e32 v4, 2, v4
	s_wait_dscnt 0x0
	v_add_f32_e32 v0, v0, v1
	ds_bpermute_b32 v1, v4, v0
	v_xor_b32_e32 v4, 2, v3
	;; [unrolled: 9-line block ×3, first 2 shown]
	v_cmp_gt_i32_e32 vcc_lo, 32, v4
	s_wait_alu 0xfffd
	v_cndmask_b32_e32 v3, v3, v4, vcc_lo
	v_cmp_eq_u32_e32 vcc_lo, 0, v2
	s_wait_dscnt 0x0
	s_delay_alu instid0(VALU_DEP_2)
	v_dual_add_f32 v0, v0, v1 :: v_dual_lshlrev_b32 v3, 2, v3
	ds_bpermute_b32 v1, v3, v0
	s_and_b32 exec_lo, exec_lo, vcc_lo
	s_cbranch_execz .LBB52_14
; %bb.13:
	s_load_b64 s[0:1], s[0:1], 0x38
	s_wait_kmcnt 0x0
	s_mul_i32 s2, s6, s15
	s_mul_i32 s4, s14, s16
	s_wait_alu 0xfffe
	s_add_co_i32 s2, s2, ttmp9
	v_mov_b32_e32 v2, 0
	s_wait_alu 0xfffe
	s_add_co_i32 s2, s2, s4
	s_wait_dscnt 0x0
	v_add_f32_e32 v0, v0, v1
	s_wait_alu 0xfffe
	s_lshl_b64 s[2:3], s[2:3], 2
	s_wait_alu 0xfffe
	s_add_nc_u64 s[0:1], s[0:1], s[2:3]
	global_store_b32 v2, v0, s[0:1]
.LBB52_14:
	s_endpgm
.LBB52_15:
                                        ; implicit-def: $sgpr19
	s_clause 0x1
	s_load_b128 s[4:7], s[0:1], 0x68
	s_load_b32 s20, s[0:1], 0x50
	s_branch .LBB52_2
	.section	.rodata,"a",@progbits
	.p2align	6, 0x0
	.amdhsa_kernel _ZL13mul_mat_vec_qIL9ggml_type7ELi1ELb0ELb0EEvPKvS2_PKi31ggml_cuda_mm_fusion_args_devicePfj15HIP_vector_typeIjLj3EEjjjS8_jjjS8_jjjj
		.amdhsa_group_segment_fixed_size 896
		.amdhsa_private_segment_fixed_size 0
		.amdhsa_kernarg_size 144
		.amdhsa_user_sgpr_count 2
		.amdhsa_user_sgpr_dispatch_ptr 0
		.amdhsa_user_sgpr_queue_ptr 0
		.amdhsa_user_sgpr_kernarg_segment_ptr 1
		.amdhsa_user_sgpr_dispatch_id 0
		.amdhsa_user_sgpr_private_segment_size 0
		.amdhsa_wavefront_size32 1
		.amdhsa_uses_dynamic_stack 0
		.amdhsa_enable_private_segment 0
		.amdhsa_system_sgpr_workgroup_id_x 1
		.amdhsa_system_sgpr_workgroup_id_y 1
		.amdhsa_system_sgpr_workgroup_id_z 1
		.amdhsa_system_sgpr_workgroup_info 0
		.amdhsa_system_vgpr_workitem_id 1
		.amdhsa_next_free_vgpr 35
		.amdhsa_next_free_sgpr 24
		.amdhsa_reserve_vcc 1
		.amdhsa_float_round_mode_32 0
		.amdhsa_float_round_mode_16_64 0
		.amdhsa_float_denorm_mode_32 3
		.amdhsa_float_denorm_mode_16_64 3
		.amdhsa_fp16_overflow 0
		.amdhsa_workgroup_processor_mode 1
		.amdhsa_memory_ordered 1
		.amdhsa_forward_progress 1
		.amdhsa_inst_pref_size 12
		.amdhsa_round_robin_scheduling 0
		.amdhsa_exception_fp_ieee_invalid_op 0
		.amdhsa_exception_fp_denorm_src 0
		.amdhsa_exception_fp_ieee_div_zero 0
		.amdhsa_exception_fp_ieee_overflow 0
		.amdhsa_exception_fp_ieee_underflow 0
		.amdhsa_exception_fp_ieee_inexact 0
		.amdhsa_exception_int_div_zero 0
	.end_amdhsa_kernel
	.section	.text._ZL13mul_mat_vec_qIL9ggml_type7ELi1ELb0ELb0EEvPKvS2_PKi31ggml_cuda_mm_fusion_args_devicePfj15HIP_vector_typeIjLj3EEjjjS8_jjjS8_jjjj,"axG",@progbits,_ZL13mul_mat_vec_qIL9ggml_type7ELi1ELb0ELb0EEvPKvS2_PKi31ggml_cuda_mm_fusion_args_devicePfj15HIP_vector_typeIjLj3EEjjjS8_jjjS8_jjjj,comdat
.Lfunc_end52:
	.size	_ZL13mul_mat_vec_qIL9ggml_type7ELi1ELb0ELb0EEvPKvS2_PKi31ggml_cuda_mm_fusion_args_devicePfj15HIP_vector_typeIjLj3EEjjjS8_jjjS8_jjjj, .Lfunc_end52-_ZL13mul_mat_vec_qIL9ggml_type7ELi1ELb0ELb0EEvPKvS2_PKi31ggml_cuda_mm_fusion_args_devicePfj15HIP_vector_typeIjLj3EEjjjS8_jjjS8_jjjj
                                        ; -- End function
	.set _ZL13mul_mat_vec_qIL9ggml_type7ELi1ELb0ELb0EEvPKvS2_PKi31ggml_cuda_mm_fusion_args_devicePfj15HIP_vector_typeIjLj3EEjjjS8_jjjS8_jjjj.num_vgpr, 35
	.set _ZL13mul_mat_vec_qIL9ggml_type7ELi1ELb0ELb0EEvPKvS2_PKi31ggml_cuda_mm_fusion_args_devicePfj15HIP_vector_typeIjLj3EEjjjS8_jjjS8_jjjj.num_agpr, 0
	.set _ZL13mul_mat_vec_qIL9ggml_type7ELi1ELb0ELb0EEvPKvS2_PKi31ggml_cuda_mm_fusion_args_devicePfj15HIP_vector_typeIjLj3EEjjjS8_jjjS8_jjjj.numbered_sgpr, 24
	.set _ZL13mul_mat_vec_qIL9ggml_type7ELi1ELb0ELb0EEvPKvS2_PKi31ggml_cuda_mm_fusion_args_devicePfj15HIP_vector_typeIjLj3EEjjjS8_jjjS8_jjjj.num_named_barrier, 0
	.set _ZL13mul_mat_vec_qIL9ggml_type7ELi1ELb0ELb0EEvPKvS2_PKi31ggml_cuda_mm_fusion_args_devicePfj15HIP_vector_typeIjLj3EEjjjS8_jjjS8_jjjj.private_seg_size, 0
	.set _ZL13mul_mat_vec_qIL9ggml_type7ELi1ELb0ELb0EEvPKvS2_PKi31ggml_cuda_mm_fusion_args_devicePfj15HIP_vector_typeIjLj3EEjjjS8_jjjS8_jjjj.uses_vcc, 1
	.set _ZL13mul_mat_vec_qIL9ggml_type7ELi1ELb0ELb0EEvPKvS2_PKi31ggml_cuda_mm_fusion_args_devicePfj15HIP_vector_typeIjLj3EEjjjS8_jjjS8_jjjj.uses_flat_scratch, 0
	.set _ZL13mul_mat_vec_qIL9ggml_type7ELi1ELb0ELb0EEvPKvS2_PKi31ggml_cuda_mm_fusion_args_devicePfj15HIP_vector_typeIjLj3EEjjjS8_jjjS8_jjjj.has_dyn_sized_stack, 0
	.set _ZL13mul_mat_vec_qIL9ggml_type7ELi1ELb0ELb0EEvPKvS2_PKi31ggml_cuda_mm_fusion_args_devicePfj15HIP_vector_typeIjLj3EEjjjS8_jjjS8_jjjj.has_recursion, 0
	.set _ZL13mul_mat_vec_qIL9ggml_type7ELi1ELb0ELb0EEvPKvS2_PKi31ggml_cuda_mm_fusion_args_devicePfj15HIP_vector_typeIjLj3EEjjjS8_jjjS8_jjjj.has_indirect_call, 0
	.section	.AMDGPU.csdata,"",@progbits
; Kernel info:
; codeLenInByte = 1448
; TotalNumSgprs: 26
; NumVgprs: 35
; ScratchSize: 0
; MemoryBound: 0
; FloatMode: 240
; IeeeMode: 1
; LDSByteSize: 896 bytes/workgroup (compile time only)
; SGPRBlocks: 0
; VGPRBlocks: 4
; NumSGPRsForWavesPerEU: 26
; NumVGPRsForWavesPerEU: 35
; Occupancy: 16
; WaveLimiterHint : 0
; COMPUTE_PGM_RSRC2:SCRATCH_EN: 0
; COMPUTE_PGM_RSRC2:USER_SGPR: 2
; COMPUTE_PGM_RSRC2:TRAP_HANDLER: 0
; COMPUTE_PGM_RSRC2:TGID_X_EN: 1
; COMPUTE_PGM_RSRC2:TGID_Y_EN: 1
; COMPUTE_PGM_RSRC2:TGID_Z_EN: 1
; COMPUTE_PGM_RSRC2:TIDIG_COMP_CNT: 1
	.section	.text._ZL13mul_mat_vec_qIL9ggml_type7ELi2ELb0ELb0EEvPKvS2_PKi31ggml_cuda_mm_fusion_args_devicePfj15HIP_vector_typeIjLj3EEjjjS8_jjjS8_jjjj,"axG",@progbits,_ZL13mul_mat_vec_qIL9ggml_type7ELi2ELb0ELb0EEvPKvS2_PKi31ggml_cuda_mm_fusion_args_devicePfj15HIP_vector_typeIjLj3EEjjjS8_jjjS8_jjjj,comdat
	.globl	_ZL13mul_mat_vec_qIL9ggml_type7ELi2ELb0ELb0EEvPKvS2_PKi31ggml_cuda_mm_fusion_args_devicePfj15HIP_vector_typeIjLj3EEjjjS8_jjjS8_jjjj ; -- Begin function _ZL13mul_mat_vec_qIL9ggml_type7ELi2ELb0ELb0EEvPKvS2_PKi31ggml_cuda_mm_fusion_args_devicePfj15HIP_vector_typeIjLj3EEjjjS8_jjjS8_jjjj
	.p2align	8
	.type	_ZL13mul_mat_vec_qIL9ggml_type7ELi2ELb0ELb0EEvPKvS2_PKi31ggml_cuda_mm_fusion_args_devicePfj15HIP_vector_typeIjLj3EEjjjS8_jjjS8_jjjj,@function
_ZL13mul_mat_vec_qIL9ggml_type7ELi2ELb0ELb0EEvPKvS2_PKi31ggml_cuda_mm_fusion_args_devicePfj15HIP_vector_typeIjLj3EEjjjS8_jjjS8_jjjj: ; @_ZL13mul_mat_vec_qIL9ggml_type7ELi2ELb0ELb0EEvPKvS2_PKi31ggml_cuda_mm_fusion_args_devicePfj15HIP_vector_typeIjLj3EEjjjS8_jjjS8_jjjj
; %bb.0:
	v_bfe_u32 v4, v0, 10, 10
	s_clause 0x5
	s_load_b32 s2, s[0:1], 0x40
	s_load_b96 s[16:18], s[0:1], 0x80
	s_load_b128 s[4:7], s[0:1], 0x50
	s_load_b32 s23, s[0:1], 0x60
	s_load_b128 s[8:11], s[0:1], 0x68
	s_load_b32 s24, s[0:1], 0x78
	v_dual_mov_b32 v3, 0 :: v_dual_and_b32 v2, 0x3ff, v0
	v_lshlrev_b32_e32 v0, 5, v4
	s_and_b32 s19, ttmp7, 0xffff
	s_lshr_b32 s20, ttmp7, 16
	s_mov_b32 s22, exec_lo
	v_mov_b32_e32 v6, 0
	v_add_nc_u16 v0, v0, v2
	s_delay_alu instid0(VALU_DEP_1) | instskip(NEXT) | instid1(VALU_DEP_1)
	v_lshrrev_b16 v0, 1, v0
	v_and_b32_e32 v5, 0xffff, v0
	s_wait_kmcnt 0x0
	s_lshr_b32 s21, s2, 5
	s_delay_alu instid0(VALU_DEP_1) | instid1(SALU_CYCLE_1)
	v_cmpx_gt_u32_e64 s21, v5
	s_cbranch_execz .LBB53_4
; %bb.1:
	s_load_b128 s[12:15], s[0:1], 0x0
	v_lshlrev_b32_e32 v1, 1, v2
	v_dual_mov_b32 v3, 0 :: v_dual_and_b32 v6, 1, v2
	s_mul_i32 s2, s17, s20
	s_mov_b32 s3, 0
	s_mul_hi_u32 s7, s7, s19
	s_mul_hi_u32 s11, s11, s20
	s_mul_u64 s[26:27], s[2:3], 36
	s_mul_i32 s2, s9, s19
	s_add_co_i32 s7, s19, s7
	v_dual_mov_b32 v6, 0 :: v_dual_lshlrev_b32 v9, 3, v6
	v_and_b32_e32 v10, 2, v1
	s_add_co_i32 s9, s20, s11
	s_mul_u64 s[28:29], s[2:3], 36
	s_lshr_b32 s2, s7, s23
	v_and_b32_e32 v0, 0xffff, v0
	s_lshr_b32 s7, s9, s24
	s_mul_i32 s2, s2, s8
	s_wait_kmcnt 0x0
	s_add_nc_u64 s[8:9], s[14:15], s[26:27]
	v_lshlrev_b32_e32 v7, 2, v10
	s_add_nc_u64 s[8:9], s[8:9], s[28:29]
	s_mul_i32 s4, s4, ttmp9
	v_mad_co_u64_u32 v[0:1], null, v0, 36, s[8:9]
	s_delay_alu instid0(VALU_DEP_2) | instskip(SKIP_3) | instid1(SALU_CYCLE_1)
	v_or_b32_e32 v8, 4, v7
	v_lshlrev_b32_e32 v10, 2, v10
	s_mul_i32 s7, s7, s16
	s_add_co_i32 s2, s2, s4
	s_add_co_i32 s4, s7, s2
.LBB53_2:                               ; =>This Inner Loop Header: Depth=1
	s_delay_alu instid0(SALU_CYCLE_1)
	v_add_nc_u32_e32 v13, s4, v5
	v_add_nc_u32_e32 v15, s5, v5
	v_add_co_u32 v11, vcc_lo, v0, v9
	s_wait_alu 0xfffd
	v_add_co_ci_u32_e64 v12, null, 0, v1, vcc_lo
	v_mad_co_i64_i32 v[13:14], null, v13, 24, s[12:13]
	v_mad_co_u64_u32 v[15:16], null, v15, 36, s[8:9]
	s_clause 0x2
	global_load_b32 v25, v[0:1], off
	global_load_b64 v[17:18], v[11:12], off offset:4
	global_load_b64 v[11:12], v[11:12], off offset:20
	global_load_b64 v[19:20], v[13:14], off
	v_add_nc_u32_e32 v5, 16, v5
	v_add_co_u32 v13, vcc_lo, v13, v10
	s_wait_alu 0xfffd
	v_add_co_ci_u32_e64 v14, null, 0, v14, vcc_lo
	v_add_co_u32 v21, vcc_lo, v15, v10
	s_wait_alu 0xfffd
	v_add_co_ci_u32_e64 v22, null, 0, v16, vcc_lo
	global_load_b64 v[13:14], v[13:14], off offset:8
	s_clause 0x2
	global_load_b64 v[23:24], v[21:22], off offset:4
	global_load_b64 v[21:22], v[21:22], off offset:20
	global_load_b32 v15, v[15:16], off
	v_add_co_u32 v0, vcc_lo, 0x240, v0
	v_cmp_le_u32_e64 s2, s21, v5
	s_wait_alu 0xfffd
	v_add_co_ci_u32_e64 v1, null, 0, v1, vcc_lo
	s_or_b32 s3, s2, s3
	s_wait_loadcnt 0x4
	v_ashrrev_i32_e32 v16, v7, v20
	v_ashrrev_i32_e32 v20, v8, v20
	v_pk_mul_f16 v25, v19, v25
	s_delay_alu instid0(VALU_DEP_3)
	v_lshlrev_b32_e32 v27, 4, v16
	v_lshlrev_b32_e32 v28, 11, v16
	;; [unrolled: 1-line block ×4, first 2 shown]
	s_wait_loadcnt 0x3
	v_and_b32_e32 v26, 0xf0f0f0f, v13
	v_lshrrev_b32_e32 v31, 12, v16
	v_lshrrev_b32_e32 v32, 5, v16
	v_lshlrev_b32_e32 v33, 2, v16
	s_wait_loadcnt 0x0
	v_pk_mul_f16 v15, v19, v15
	v_and_b32_e32 v19, 16, v27
	v_and_b32_e32 v27, 0x1000, v28
	v_lshrrev_b32_e32 v13, 4, v13
	v_lshlrev_b32_e32 v16, 9, v16
	v_lshlrev_b32_e32 v35, 4, v20
	;; [unrolled: 1-line block ×4, first 2 shown]
	v_and_b32_e32 v28, 0x100000, v29
	v_and_b32_e32 v29, 0x10000000, v30
	;; [unrolled: 1-line block ×5, first 2 shown]
	v_or3_b32 v19, v19, v26, v27
	v_lshlrev_b32_e32 v38, 25, v20
	v_lshrrev_b32_e32 v39, 12, v20
	v_lshrrev_b32_e32 v40, 5, v20
	v_lshlrev_b32_e32 v41, 2, v20
	v_and_b32_e32 v13, 0xf0f0f0f, v13
	v_and_b32_e32 v16, 0x10000000, v16
	;; [unrolled: 1-line block ×5, first 2 shown]
	v_or3_b32 v30, v31, v30, v32
	v_or3_b32 v19, v19, v28, v29
	v_and_b32_e32 v34, 0xf0f0f0f, v14
	v_lshrrev_b32_e32 v14, 4, v14
	v_lshlrev_b32_e32 v20, 9, v20
	v_and_b32_e32 v37, 0x10000000, v38
	v_and_b32_e32 v26, 16, v39
	;; [unrolled: 1-line block ×4, first 2 shown]
	v_or3_b32 v29, v35, v33, v36
	v_or3_b32 v13, v30, v16, v13
	v_dot4_i32_iu8 v16, v19, v17, 0 neg_lo:[1,1,0]
	v_dot4_i32_iu8 v17, v19, v23, 0 neg_lo:[1,1,0]
	v_and_b32_e32 v14, 0xf0f0f0f, v14
	v_and_b32_e32 v19, 0x10000000, v20
	v_or3_b32 v20, v27, v26, v28
	v_or3_b32 v23, v29, v37, v34
	v_dot4_i32_iu8 v11, v13, v11, v16 neg_lo:[1,1,0]
	v_dot4_i32_iu8 v13, v13, v21, v17 neg_lo:[1,1,0]
	v_lshrrev_b32_e32 v16, 16, v25
	v_lshrrev_b32_e32 v17, 16, v15
	v_or3_b32 v14, v20, v19, v14
	v_dot4_i32_iu8 v11, v23, v18, v11 neg_lo:[1,1,0]
	v_dot4_i32_iu8 v13, v23, v24, v13 neg_lo:[1,1,0]
	v_cvt_f32_f16_e32 v16, v16
	v_cvt_f32_f16_e32 v17, v17
	s_delay_alu instid0(VALU_DEP_4) | instskip(NEXT) | instid1(VALU_DEP_4)
	v_dot4_i32_iu8 v11, v14, v12, v11 neg_lo:[1,1,0]
	v_dot4_i32_iu8 v12, v14, v22, v13 neg_lo:[1,1,0]
	s_delay_alu instid0(VALU_DEP_3) | instskip(NEXT) | instid1(VALU_DEP_3)
	v_dual_mul_f32 v13, 0.5, v16 :: v_dual_mul_f32 v14, 0.5, v17
	v_cvt_f32_i32_e32 v11, v11
	s_delay_alu instid0(VALU_DEP_3) | instskip(NEXT) | instid1(VALU_DEP_2)
	v_cvt_f32_i32_e32 v12, v12
	v_fma_mix_f32 v11, v11, v25, v13 op_sel_hi:[0,1,0]
	s_delay_alu instid0(VALU_DEP_2) | instskip(NEXT) | instid1(VALU_DEP_1)
	v_fma_mix_f32 v12, v12, v15, v14 op_sel_hi:[0,1,0]
	v_dual_add_f32 v6, v6, v11 :: v_dual_add_f32 v3, v3, v12
	s_and_not1_b32 exec_lo, exec_lo, s3
	s_cbranch_execnz .LBB53_2
; %bb.3:
	s_or_b32 exec_lo, exec_lo, s3
.LBB53_4:
	s_delay_alu instid0(SALU_CYCLE_1)
	s_or_b32 exec_lo, exec_lo, s22
	s_mov_b32 s3, 0
	; wave barrier
	global_inv scope:SCOPE_SE
	s_mov_b32 s2, exec_lo
	v_cmpx_eq_u32_e32 0, v4
	s_cbranch_execz .LBB53_9
; %bb.5:
	v_mbcnt_lo_u32_b32 v7, -1, 0
	s_load_b64 s[0:1], s[0:1], 0x38
	s_mul_i32 s2, s10, s19
	s_mul_i32 s4, s18, s20
	s_add_co_i32 s2, s2, ttmp9
	v_xor_b32_e32 v0, 16, v7
	v_xor_b32_e32 v1, 8, v7
	s_wait_alu 0xfffe
	s_add_co_i32 s2, s2, s4
	s_delay_alu instid0(SALU_CYCLE_1)
	s_lshl_b64 s[2:3], s[2:3], 2
	v_cmp_gt_i32_e32 vcc_lo, 32, v0
	s_wait_alu 0xfffd
	v_cndmask_b32_e32 v0, v7, v0, vcc_lo
	v_cmp_gt_i32_e32 vcc_lo, 32, v1
	s_wait_alu 0xfffd
	v_cndmask_b32_e32 v1, v7, v1, vcc_lo
	s_wait_kmcnt 0x0
	s_add_nc_u64 s[0:1], s[0:1], s[2:3]
	s_delay_alu instid0(VALU_DEP_1)
	v_lshlrev_b32_e32 v1, 2, v1
	v_lshlrev_b32_e32 v0, 2, v0
	ds_bpermute_b32 v4, v0, v6
	s_wait_dscnt 0x0
	v_add_f32_e32 v5, v6, v4
	v_xor_b32_e32 v4, 4, v7
	ds_bpermute_b32 v6, v1, v5
	v_cmp_gt_i32_e32 vcc_lo, 32, v4
	s_wait_alu 0xfffd
	v_cndmask_b32_e32 v4, v7, v4, vcc_lo
	s_wait_dscnt 0x0
	v_add_f32_e32 v6, v5, v6
	v_xor_b32_e32 v5, 2, v7
	s_delay_alu instid0(VALU_DEP_1) | instskip(SKIP_2) | instid1(VALU_DEP_1)
	v_cmp_gt_i32_e32 vcc_lo, 32, v5
	s_wait_alu 0xfffd
	v_cndmask_b32_e32 v5, v7, v5, vcc_lo
	v_lshlrev_b32_e32 v5, 2, v5
	v_lshlrev_b32_e32 v4, 2, v4
	ds_bpermute_b32 v8, v4, v6
	s_wait_dscnt 0x0
	v_add_f32_e32 v8, v6, v8
	v_xor_b32_e32 v6, 1, v7
	ds_bpermute_b32 v9, v5, v8
	v_cmp_gt_i32_e32 vcc_lo, 32, v6
	s_wait_alu 0xfffd
	v_cndmask_b32_e32 v6, v7, v6, vcc_lo
	v_cmp_eq_u32_e32 vcc_lo, 0, v2
	s_wait_dscnt 0x0
	s_delay_alu instid0(VALU_DEP_2)
	v_dual_add_f32 v7, v8, v9 :: v_dual_lshlrev_b32 v6, 2, v6
	ds_bpermute_b32 v8, v6, v7
	s_and_saveexec_b32 s2, vcc_lo
	s_cbranch_execz .LBB53_7
; %bb.6:
	s_wait_dscnt 0x0
	v_dual_add_f32 v2, v7, v8 :: v_dual_mov_b32 v7, 0
	global_store_b32 v7, v2, s[0:1]
.LBB53_7:
	s_or_b32 exec_lo, exec_lo, s2
	ds_bpermute_b32 v0, v0, v3
	s_wait_dscnt 0x0
	v_add_f32_e32 v0, v3, v0
	ds_bpermute_b32 v1, v1, v0
	s_wait_dscnt 0x0
	v_add_f32_e32 v0, v0, v1
	;; [unrolled: 3-line block ×4, first 2 shown]
	ds_bpermute_b32 v1, v6, v0
	s_and_b32 exec_lo, exec_lo, vcc_lo
	s_cbranch_execz .LBB53_9
; %bb.8:
	s_mov_b32 s7, 0
	s_wait_dscnt 0x0
	v_dual_add_f32 v0, v0, v1 :: v_dual_mov_b32 v1, 0
	s_lshl_b64 s[2:3], s[6:7], 2
	s_delay_alu instid0(SALU_CYCLE_1)
	s_add_nc_u64 s[0:1], s[0:1], s[2:3]
	global_store_b32 v1, v0, s[0:1]
.LBB53_9:
	s_endpgm
	.section	.rodata,"a",@progbits
	.p2align	6, 0x0
	.amdhsa_kernel _ZL13mul_mat_vec_qIL9ggml_type7ELi2ELb0ELb0EEvPKvS2_PKi31ggml_cuda_mm_fusion_args_devicePfj15HIP_vector_typeIjLj3EEjjjS8_jjjS8_jjjj
		.amdhsa_group_segment_fixed_size 0
		.amdhsa_private_segment_fixed_size 0
		.amdhsa_kernarg_size 144
		.amdhsa_user_sgpr_count 2
		.amdhsa_user_sgpr_dispatch_ptr 0
		.amdhsa_user_sgpr_queue_ptr 0
		.amdhsa_user_sgpr_kernarg_segment_ptr 1
		.amdhsa_user_sgpr_dispatch_id 0
		.amdhsa_user_sgpr_private_segment_size 0
		.amdhsa_wavefront_size32 1
		.amdhsa_uses_dynamic_stack 0
		.amdhsa_enable_private_segment 0
		.amdhsa_system_sgpr_workgroup_id_x 1
		.amdhsa_system_sgpr_workgroup_id_y 1
		.amdhsa_system_sgpr_workgroup_id_z 1
		.amdhsa_system_sgpr_workgroup_info 0
		.amdhsa_system_vgpr_workitem_id 1
		.amdhsa_next_free_vgpr 42
		.amdhsa_next_free_sgpr 30
		.amdhsa_reserve_vcc 1
		.amdhsa_float_round_mode_32 0
		.amdhsa_float_round_mode_16_64 0
		.amdhsa_float_denorm_mode_32 3
		.amdhsa_float_denorm_mode_16_64 3
		.amdhsa_fp16_overflow 0
		.amdhsa_workgroup_processor_mode 1
		.amdhsa_memory_ordered 1
		.amdhsa_forward_progress 1
		.amdhsa_inst_pref_size 12
		.amdhsa_round_robin_scheduling 0
		.amdhsa_exception_fp_ieee_invalid_op 0
		.amdhsa_exception_fp_denorm_src 0
		.amdhsa_exception_fp_ieee_div_zero 0
		.amdhsa_exception_fp_ieee_overflow 0
		.amdhsa_exception_fp_ieee_underflow 0
		.amdhsa_exception_fp_ieee_inexact 0
		.amdhsa_exception_int_div_zero 0
	.end_amdhsa_kernel
	.section	.text._ZL13mul_mat_vec_qIL9ggml_type7ELi2ELb0ELb0EEvPKvS2_PKi31ggml_cuda_mm_fusion_args_devicePfj15HIP_vector_typeIjLj3EEjjjS8_jjjS8_jjjj,"axG",@progbits,_ZL13mul_mat_vec_qIL9ggml_type7ELi2ELb0ELb0EEvPKvS2_PKi31ggml_cuda_mm_fusion_args_devicePfj15HIP_vector_typeIjLj3EEjjjS8_jjjS8_jjjj,comdat
.Lfunc_end53:
	.size	_ZL13mul_mat_vec_qIL9ggml_type7ELi2ELb0ELb0EEvPKvS2_PKi31ggml_cuda_mm_fusion_args_devicePfj15HIP_vector_typeIjLj3EEjjjS8_jjjS8_jjjj, .Lfunc_end53-_ZL13mul_mat_vec_qIL9ggml_type7ELi2ELb0ELb0EEvPKvS2_PKi31ggml_cuda_mm_fusion_args_devicePfj15HIP_vector_typeIjLj3EEjjjS8_jjjS8_jjjj
                                        ; -- End function
	.set _ZL13mul_mat_vec_qIL9ggml_type7ELi2ELb0ELb0EEvPKvS2_PKi31ggml_cuda_mm_fusion_args_devicePfj15HIP_vector_typeIjLj3EEjjjS8_jjjS8_jjjj.num_vgpr, 42
	.set _ZL13mul_mat_vec_qIL9ggml_type7ELi2ELb0ELb0EEvPKvS2_PKi31ggml_cuda_mm_fusion_args_devicePfj15HIP_vector_typeIjLj3EEjjjS8_jjjS8_jjjj.num_agpr, 0
	.set _ZL13mul_mat_vec_qIL9ggml_type7ELi2ELb0ELb0EEvPKvS2_PKi31ggml_cuda_mm_fusion_args_devicePfj15HIP_vector_typeIjLj3EEjjjS8_jjjS8_jjjj.numbered_sgpr, 30
	.set _ZL13mul_mat_vec_qIL9ggml_type7ELi2ELb0ELb0EEvPKvS2_PKi31ggml_cuda_mm_fusion_args_devicePfj15HIP_vector_typeIjLj3EEjjjS8_jjjS8_jjjj.num_named_barrier, 0
	.set _ZL13mul_mat_vec_qIL9ggml_type7ELi2ELb0ELb0EEvPKvS2_PKi31ggml_cuda_mm_fusion_args_devicePfj15HIP_vector_typeIjLj3EEjjjS8_jjjS8_jjjj.private_seg_size, 0
	.set _ZL13mul_mat_vec_qIL9ggml_type7ELi2ELb0ELb0EEvPKvS2_PKi31ggml_cuda_mm_fusion_args_devicePfj15HIP_vector_typeIjLj3EEjjjS8_jjjS8_jjjj.uses_vcc, 1
	.set _ZL13mul_mat_vec_qIL9ggml_type7ELi2ELb0ELb0EEvPKvS2_PKi31ggml_cuda_mm_fusion_args_devicePfj15HIP_vector_typeIjLj3EEjjjS8_jjjS8_jjjj.uses_flat_scratch, 0
	.set _ZL13mul_mat_vec_qIL9ggml_type7ELi2ELb0ELb0EEvPKvS2_PKi31ggml_cuda_mm_fusion_args_devicePfj15HIP_vector_typeIjLj3EEjjjS8_jjjS8_jjjj.has_dyn_sized_stack, 0
	.set _ZL13mul_mat_vec_qIL9ggml_type7ELi2ELb0ELb0EEvPKvS2_PKi31ggml_cuda_mm_fusion_args_devicePfj15HIP_vector_typeIjLj3EEjjjS8_jjjS8_jjjj.has_recursion, 0
	.set _ZL13mul_mat_vec_qIL9ggml_type7ELi2ELb0ELb0EEvPKvS2_PKi31ggml_cuda_mm_fusion_args_devicePfj15HIP_vector_typeIjLj3EEjjjS8_jjjS8_jjjj.has_indirect_call, 0
	.section	.AMDGPU.csdata,"",@progbits
; Kernel info:
; codeLenInByte = 1424
; TotalNumSgprs: 32
; NumVgprs: 42
; ScratchSize: 0
; MemoryBound: 0
; FloatMode: 240
; IeeeMode: 1
; LDSByteSize: 0 bytes/workgroup (compile time only)
; SGPRBlocks: 0
; VGPRBlocks: 5
; NumSGPRsForWavesPerEU: 32
; NumVGPRsForWavesPerEU: 42
; Occupancy: 16
; WaveLimiterHint : 0
; COMPUTE_PGM_RSRC2:SCRATCH_EN: 0
; COMPUTE_PGM_RSRC2:USER_SGPR: 2
; COMPUTE_PGM_RSRC2:TRAP_HANDLER: 0
; COMPUTE_PGM_RSRC2:TGID_X_EN: 1
; COMPUTE_PGM_RSRC2:TGID_Y_EN: 1
; COMPUTE_PGM_RSRC2:TGID_Z_EN: 1
; COMPUTE_PGM_RSRC2:TIDIG_COMP_CNT: 1
	.section	.text._ZL13mul_mat_vec_qIL9ggml_type7ELi3ELb0ELb0EEvPKvS2_PKi31ggml_cuda_mm_fusion_args_devicePfj15HIP_vector_typeIjLj3EEjjjS8_jjjS8_jjjj,"axG",@progbits,_ZL13mul_mat_vec_qIL9ggml_type7ELi3ELb0ELb0EEvPKvS2_PKi31ggml_cuda_mm_fusion_args_devicePfj15HIP_vector_typeIjLj3EEjjjS8_jjjS8_jjjj,comdat
	.globl	_ZL13mul_mat_vec_qIL9ggml_type7ELi3ELb0ELb0EEvPKvS2_PKi31ggml_cuda_mm_fusion_args_devicePfj15HIP_vector_typeIjLj3EEjjjS8_jjjS8_jjjj ; -- Begin function _ZL13mul_mat_vec_qIL9ggml_type7ELi3ELb0ELb0EEvPKvS2_PKi31ggml_cuda_mm_fusion_args_devicePfj15HIP_vector_typeIjLj3EEjjjS8_jjjS8_jjjj
	.p2align	8
	.type	_ZL13mul_mat_vec_qIL9ggml_type7ELi3ELb0ELb0EEvPKvS2_PKi31ggml_cuda_mm_fusion_args_devicePfj15HIP_vector_typeIjLj3EEjjjS8_jjjS8_jjjj,@function
_ZL13mul_mat_vec_qIL9ggml_type7ELi3ELb0ELb0EEvPKvS2_PKi31ggml_cuda_mm_fusion_args_devicePfj15HIP_vector_typeIjLj3EEjjjS8_jjjS8_jjjj: ; @_ZL13mul_mat_vec_qIL9ggml_type7ELi3ELb0ELb0EEvPKvS2_PKi31ggml_cuda_mm_fusion_args_devicePfj15HIP_vector_typeIjLj3EEjjjS8_jjjS8_jjjj
; %bb.0:
	v_bfe_u32 v5, v0, 10, 10
	s_clause 0x5
	s_load_b32 s2, s[0:1], 0x40
	s_load_b96 s[16:18], s[0:1], 0x80
	s_load_b128 s[4:7], s[0:1], 0x50
	s_load_b32 s23, s[0:1], 0x60
	s_load_b128 s[8:11], s[0:1], 0x68
	s_load_b32 s24, s[0:1], 0x78
	v_dual_mov_b32 v3, 0 :: v_dual_and_b32 v2, 0x3ff, v0
	v_dual_mov_b32 v7, 0 :: v_dual_lshlrev_b32 v0, 5, v5
	v_mov_b32_e32 v4, 0
	s_and_b32 s19, ttmp7, 0xffff
	s_lshr_b32 s20, ttmp7, 16
	s_delay_alu instid0(VALU_DEP_2) | instskip(SKIP_1) | instid1(VALU_DEP_1)
	v_add_nc_u16 v0, v0, v2
	s_mov_b32 s21, exec_lo
	v_lshrrev_b16 v0, 1, v0
	s_delay_alu instid0(VALU_DEP_1)
	v_and_b32_e32 v6, 0xffff, v0
	s_wait_kmcnt 0x0
	s_lshr_b32 s22, s2, 5
	s_delay_alu instid0(VALU_DEP_1) | instid1(SALU_CYCLE_1)
	v_cmpx_gt_u32_e64 s22, v6
	s_cbranch_execz .LBB54_4
; %bb.1:
	s_load_b128 s[12:15], s[0:1], 0x0
	v_lshlrev_b32_e32 v1, 1, v2
	v_dual_mov_b32 v3, 0 :: v_dual_and_b32 v4, 1, v2
	s_mul_i32 s2, s17, s20
	s_mov_b32 s3, 0
	s_mul_hi_u32 s7, s7, s19
	s_mul_hi_u32 s11, s11, s20
	s_mul_u64 s[26:27], s[2:3], 36
	s_mul_i32 s2, s9, s19
	s_add_co_i32 s7, s19, s7
	v_lshlrev_b32_e32 v10, 3, v4
	v_dual_mov_b32 v4, 0 :: v_dual_and_b32 v7, 2, v1
	s_add_co_i32 s9, s20, s11
	s_mul_u64 s[28:29], s[2:3], 36
	s_lshr_b32 s2, s7, s23
	v_and_b32_e32 v0, 0xffff, v0
	s_lshr_b32 s7, s9, s24
	s_mul_i32 s2, s2, s8
	s_wait_kmcnt 0x0
	s_add_nc_u64 s[8:9], s[14:15], s[26:27]
	v_lshlrev_b32_e32 v8, 2, v7
	s_add_nc_u64 s[8:9], s[8:9], s[28:29]
	v_lshlrev_b32_e32 v11, 2, v7
	v_mov_b32_e32 v7, 0
	v_mad_co_u64_u32 v[0:1], null, v0, 36, s[8:9]
	s_mul_i32 s4, s4, ttmp9
	v_or_b32_e32 v9, 4, v8
	s_mul_i32 s7, s7, s16
	s_add_co_i32 s2, s2, s4
	s_lshl_b32 s4, s5, 1
	s_add_co_i32 s2, s7, s2
.LBB54_2:                               ; =>This Inner Loop Header: Depth=1
	s_delay_alu instid0(SALU_CYCLE_1) | instskip(SKIP_3) | instid1(VALU_DEP_4)
	v_add_nc_u32_e32 v14, s2, v6
	v_add_nc_u32_e32 v18, s5, v6
	;; [unrolled: 1-line block ×3, first 2 shown]
	v_add_co_u32 v12, vcc_lo, v0, v10
	v_mad_co_i64_i32 v[14:15], null, v14, 24, s[12:13]
	s_wait_alu 0xfffd
	v_add_co_ci_u32_e64 v13, null, 0, v1, vcc_lo
	v_mad_co_u64_u32 v[18:19], null, v18, 36, s[8:9]
	v_mad_co_u64_u32 v[20:21], null, v20, 36, s[8:9]
	s_clause 0x2
	global_load_b32 v32, v[0:1], off
	global_load_b64 v[16:17], v[12:13], off offset:4
	global_load_b64 v[12:13], v[12:13], off offset:20
	global_load_b64 v[22:23], v[14:15], off
	v_add_co_u32 v14, vcc_lo, v14, v11
	s_wait_alu 0xfffd
	v_add_co_ci_u32_e64 v15, null, 0, v15, vcc_lo
	v_add_co_u32 v24, vcc_lo, v18, v11
	s_wait_alu 0xfffd
	v_add_co_ci_u32_e64 v25, null, 0, v19, vcc_lo
	;; [unrolled: 3-line block ×3, first 2 shown]
	global_load_b64 v[14:15], v[14:15], off offset:8
	s_clause 0x5
	global_load_b64 v[28:29], v[26:27], off offset:4
	global_load_b64 v[30:31], v[24:25], off offset:4
	;; [unrolled: 1-line block ×3, first 2 shown]
	global_load_b32 v20, v[20:21], off
	global_load_b32 v21, v[18:19], off
	global_load_b64 v[18:19], v[26:27], off offset:20
	v_add_nc_u32_e32 v6, 16, v6
	v_add_co_u32 v0, vcc_lo, 0x240, v0
	s_wait_alu 0xfffd
	v_add_co_ci_u32_e64 v1, null, 0, v1, vcc_lo
	s_delay_alu instid0(VALU_DEP_3)
	v_cmp_le_u32_e32 vcc_lo, s22, v6
	s_or_b32 s3, vcc_lo, s3
	s_wait_loadcnt 0x7
	v_ashrrev_i32_e32 v26, v8, v23
	v_ashrrev_i32_e32 v23, v9, v23
	v_pk_mul_f16 v27, v22, v32
	s_delay_alu instid0(VALU_DEP_3)
	v_lshlrev_b32_e32 v33, 4, v26
	v_lshlrev_b32_e32 v34, 11, v26
	;; [unrolled: 1-line block ×4, first 2 shown]
	s_wait_loadcnt 0x6
	v_and_b32_e32 v32, 0xf0f0f0f, v14
	v_lshrrev_b32_e32 v37, 12, v26
	v_lshrrev_b32_e32 v38, 5, v26
	v_lshlrev_b32_e32 v39, 2, v26
	s_wait_loadcnt 0x2
	v_pk_mul_f16 v20, v22, v20
	s_wait_loadcnt 0x1
	v_pk_mul_f16 v21, v22, v21
	v_and_b32_e32 v22, 16, v33
	v_and_b32_e32 v33, 0x1000, v34
	v_lshrrev_b32_e32 v14, 4, v14
	v_lshlrev_b32_e32 v26, 9, v26
	v_lshlrev_b32_e32 v41, 4, v23
	;; [unrolled: 1-line block ×5, first 2 shown]
	v_lshrrev_b32_e32 v45, 12, v23
	v_lshrrev_b32_e32 v46, 5, v23
	v_lshlrev_b32_e32 v47, 2, v23
	v_lshrrev_b32_e32 v48, 16, v27
	v_and_b32_e32 v34, 0x100000, v35
	v_and_b32_e32 v35, 0x10000000, v36
	;; [unrolled: 1-line block ×5, first 2 shown]
	v_or3_b32 v22, v22, v32, v33
	v_and_b32_e32 v14, 0xf0f0f0f, v14
	v_and_b32_e32 v26, 0x10000000, v26
	;; [unrolled: 1-line block ×9, first 2 shown]
	v_cvt_f32_f16_e32 v47, v48
	v_lshrrev_b32_e32 v48, 16, v21
	v_or3_b32 v32, v37, v36, v38
	v_or3_b32 v22, v22, v34, v35
	v_lshlrev_b32_e32 v23, 9, v23
	v_or3_b32 v33, v41, v39, v42
	v_cvt_f32_f16_e32 v38, v48
	v_and_b32_e32 v40, 0xf0f0f0f, v15
	v_lshrrev_b32_e32 v15, 4, v15
	v_or3_b32 v14, v32, v26, v14
	v_dot4_i32_iu8 v16, v22, v16, 0 neg_lo:[1,1,0]
	v_dot4_i32_iu8 v26, v22, v30, 0 neg_lo:[1,1,0]
	;; [unrolled: 1-line block ×3, first 2 shown]
	v_and_b32_e32 v15, 0xf0f0f0f, v15
	v_and_b32_e32 v23, 0x10000000, v23
	v_or3_b32 v36, v45, v44, v46
	v_or3_b32 v28, v33, v43, v40
	v_dot4_i32_iu8 v12, v14, v12, v16 neg_lo:[1,1,0]
	v_dot4_i32_iu8 v16, v14, v24, v26 neg_lo:[1,1,0]
	s_wait_loadcnt 0x0
	v_dot4_i32_iu8 v14, v14, v18, v22 neg_lo:[1,1,0]
	v_lshrrev_b32_e32 v49, 16, v20
	v_or3_b32 v15, v36, v23, v15
	v_dot4_i32_iu8 v12, v28, v17, v12 neg_lo:[1,1,0]
	v_dot4_i32_iu8 v16, v28, v31, v16 neg_lo:[1,1,0]
	;; [unrolled: 1-line block ×3, first 2 shown]
	v_cvt_f32_f16_e32 v39, v49
	v_mul_f32_e32 v37, 0.5, v47
	v_dot4_i32_iu8 v12, v15, v13, v12 neg_lo:[1,1,0]
	v_dot4_i32_iu8 v13, v15, v25, v16 neg_lo:[1,1,0]
	;; [unrolled: 1-line block ×3, first 2 shown]
	v_mul_f32_e32 v17, 0.5, v38
	v_mul_f32_e32 v15, 0.5, v39
	v_cvt_f32_i32_e32 v12, v12
	v_cvt_f32_i32_e32 v13, v13
	;; [unrolled: 1-line block ×3, first 2 shown]
	s_delay_alu instid0(VALU_DEP_3) | instskip(NEXT) | instid1(VALU_DEP_3)
	v_fma_mix_f32 v12, v12, v27, v37 op_sel_hi:[0,1,0]
	v_fma_mix_f32 v13, v13, v21, v17 op_sel_hi:[0,1,0]
	s_delay_alu instid0(VALU_DEP_3) | instskip(NEXT) | instid1(VALU_DEP_2)
	v_fma_mix_f32 v14, v14, v20, v15 op_sel_hi:[0,1,0]
	v_dual_add_f32 v7, v7, v12 :: v_dual_add_f32 v4, v4, v13
	s_delay_alu instid0(VALU_DEP_2)
	v_add_f32_e32 v3, v3, v14
	s_wait_alu 0xfffe
	s_and_not1_b32 exec_lo, exec_lo, s3
	s_cbranch_execnz .LBB54_2
; %bb.3:
	s_or_b32 exec_lo, exec_lo, s3
.LBB54_4:
	s_delay_alu instid0(SALU_CYCLE_1)
	s_or_b32 exec_lo, exec_lo, s21
	s_mov_b32 s3, 0
	; wave barrier
	global_inv scope:SCOPE_SE
	s_mov_b32 s2, exec_lo
	v_cmpx_eq_u32_e32 0, v5
	s_cbranch_execz .LBB54_11
; %bb.5:
	v_mbcnt_lo_u32_b32 v8, -1, 0
	s_load_b64 s[0:1], s[0:1], 0x38
	s_mul_i32 s2, s10, s19
	s_mul_i32 s4, s18, s20
	s_wait_alu 0xfffe
	s_add_co_i32 s2, s2, ttmp9
	v_xor_b32_e32 v0, 16, v8
	v_xor_b32_e32 v1, 8, v8
	s_wait_alu 0xfffe
	s_add_co_i32 s2, s2, s4
	s_wait_alu 0xfffe
	s_lshl_b64 s[2:3], s[2:3], 2
	v_cmp_gt_i32_e32 vcc_lo, 32, v0
	s_wait_alu 0xfffd
	v_cndmask_b32_e32 v0, v8, v0, vcc_lo
	v_cmp_gt_i32_e32 vcc_lo, 32, v1
	s_wait_alu 0xfffd
	v_cndmask_b32_e32 v1, v8, v1, vcc_lo
	s_wait_kmcnt 0x0
	s_wait_alu 0xfffe
	s_add_nc_u64 s[0:1], s[0:1], s[2:3]
	s_delay_alu instid0(VALU_DEP_1)
	v_lshlrev_b32_e32 v1, 2, v1
	v_lshlrev_b32_e32 v0, 2, v0
	ds_bpermute_b32 v5, v0, v7
	s_wait_dscnt 0x0
	v_add_f32_e32 v6, v7, v5
	v_xor_b32_e32 v5, 4, v8
	ds_bpermute_b32 v7, v1, v6
	v_cmp_gt_i32_e32 vcc_lo, 32, v5
	s_wait_alu 0xfffd
	v_cndmask_b32_e32 v5, v8, v5, vcc_lo
	s_wait_dscnt 0x0
	v_add_f32_e32 v7, v6, v7
	v_xor_b32_e32 v6, 2, v8
	s_delay_alu instid0(VALU_DEP_1)
	v_cmp_gt_i32_e32 vcc_lo, 32, v6
	s_wait_alu 0xfffd
	v_dual_cndmask_b32 v6, v8, v6 :: v_dual_lshlrev_b32 v5, 2, v5
	ds_bpermute_b32 v9, v5, v7
	s_wait_dscnt 0x0
	v_dual_add_f32 v9, v7, v9 :: v_dual_lshlrev_b32 v6, 2, v6
	v_xor_b32_e32 v7, 1, v8
	ds_bpermute_b32 v10, v6, v9
	v_cmp_gt_i32_e32 vcc_lo, 32, v7
	s_wait_alu 0xfffd
	v_cndmask_b32_e32 v7, v8, v7, vcc_lo
	v_cmp_eq_u32_e32 vcc_lo, 0, v2
	s_wait_dscnt 0x0
	s_delay_alu instid0(VALU_DEP_2)
	v_dual_add_f32 v8, v9, v10 :: v_dual_lshlrev_b32 v7, 2, v7
	ds_bpermute_b32 v9, v7, v8
	s_and_saveexec_b32 s2, vcc_lo
	s_cbranch_execz .LBB54_7
; %bb.6:
	s_wait_dscnt 0x0
	v_add_f32_e32 v2, v8, v9
	v_mov_b32_e32 v8, 0
	global_store_b32 v8, v2, s[0:1]
.LBB54_7:
	s_wait_alu 0xfffe
	s_or_b32 exec_lo, exec_lo, s2
	ds_bpermute_b32 v2, v0, v4
	s_wait_dscnt 0x0
	v_add_f32_e32 v2, v4, v2
	ds_bpermute_b32 v4, v1, v2
	s_wait_dscnt 0x0
	v_add_f32_e32 v2, v2, v4
	;; [unrolled: 3-line block ×4, first 2 shown]
	ds_bpermute_b32 v4, v7, v2
	s_and_saveexec_b32 s2, vcc_lo
	s_cbranch_execz .LBB54_9
; %bb.8:
	s_mov_b32 s7, 0
	s_wait_dscnt 0x0
	v_add_f32_e32 v2, v2, v4
	v_mov_b32_e32 v4, 0
	s_lshl_b64 s[4:5], s[6:7], 2
	s_wait_alu 0xfffe
	s_add_nc_u64 s[4:5], s[0:1], s[4:5]
	global_store_b32 v4, v2, s[4:5]
.LBB54_9:
	s_wait_alu 0xfffe
	s_or_b32 exec_lo, exec_lo, s2
	ds_bpermute_b32 v0, v0, v3
	s_wait_dscnt 0x0
	v_add_f32_e32 v0, v3, v0
	ds_bpermute_b32 v1, v1, v0
	s_wait_dscnt 0x0
	v_add_f32_e32 v0, v0, v1
	ds_bpermute_b32 v1, v5, v0
	s_wait_dscnt 0x0
	v_add_f32_e32 v0, v0, v1
	ds_bpermute_b32 v1, v6, v0
	s_wait_dscnt 0x0
	v_add_f32_e32 v0, v0, v1
	ds_bpermute_b32 v1, v7, v0
	s_and_b32 exec_lo, exec_lo, vcc_lo
	s_cbranch_execz .LBB54_11
; %bb.10:
	s_lshl_b32 s2, s6, 1
	s_mov_b32 s3, 0
	s_wait_dscnt 0x0
	v_dual_add_f32 v0, v0, v1 :: v_dual_mov_b32 v1, 0
	s_wait_alu 0xfffe
	s_lshl_b64 s[2:3], s[2:3], 2
	s_wait_alu 0xfffe
	s_add_nc_u64 s[0:1], s[0:1], s[2:3]
	global_store_b32 v1, v0, s[0:1]
.LBB54_11:
	s_endpgm
	.section	.rodata,"a",@progbits
	.p2align	6, 0x0
	.amdhsa_kernel _ZL13mul_mat_vec_qIL9ggml_type7ELi3ELb0ELb0EEvPKvS2_PKi31ggml_cuda_mm_fusion_args_devicePfj15HIP_vector_typeIjLj3EEjjjS8_jjjS8_jjjj
		.amdhsa_group_segment_fixed_size 0
		.amdhsa_private_segment_fixed_size 0
		.amdhsa_kernarg_size 144
		.amdhsa_user_sgpr_count 2
		.amdhsa_user_sgpr_dispatch_ptr 0
		.amdhsa_user_sgpr_queue_ptr 0
		.amdhsa_user_sgpr_kernarg_segment_ptr 1
		.amdhsa_user_sgpr_dispatch_id 0
		.amdhsa_user_sgpr_private_segment_size 0
		.amdhsa_wavefront_size32 1
		.amdhsa_uses_dynamic_stack 0
		.amdhsa_enable_private_segment 0
		.amdhsa_system_sgpr_workgroup_id_x 1
		.amdhsa_system_sgpr_workgroup_id_y 1
		.amdhsa_system_sgpr_workgroup_id_z 1
		.amdhsa_system_sgpr_workgroup_info 0
		.amdhsa_system_vgpr_workitem_id 1
		.amdhsa_next_free_vgpr 50
		.amdhsa_next_free_sgpr 30
		.amdhsa_reserve_vcc 1
		.amdhsa_float_round_mode_32 0
		.amdhsa_float_round_mode_16_64 0
		.amdhsa_float_denorm_mode_32 3
		.amdhsa_float_denorm_mode_16_64 3
		.amdhsa_fp16_overflow 0
		.amdhsa_workgroup_processor_mode 1
		.amdhsa_memory_ordered 1
		.amdhsa_forward_progress 1
		.amdhsa_inst_pref_size 14
		.amdhsa_round_robin_scheduling 0
		.amdhsa_exception_fp_ieee_invalid_op 0
		.amdhsa_exception_fp_denorm_src 0
		.amdhsa_exception_fp_ieee_div_zero 0
		.amdhsa_exception_fp_ieee_overflow 0
		.amdhsa_exception_fp_ieee_underflow 0
		.amdhsa_exception_fp_ieee_inexact 0
		.amdhsa_exception_int_div_zero 0
	.end_amdhsa_kernel
	.section	.text._ZL13mul_mat_vec_qIL9ggml_type7ELi3ELb0ELb0EEvPKvS2_PKi31ggml_cuda_mm_fusion_args_devicePfj15HIP_vector_typeIjLj3EEjjjS8_jjjS8_jjjj,"axG",@progbits,_ZL13mul_mat_vec_qIL9ggml_type7ELi3ELb0ELb0EEvPKvS2_PKi31ggml_cuda_mm_fusion_args_devicePfj15HIP_vector_typeIjLj3EEjjjS8_jjjS8_jjjj,comdat
.Lfunc_end54:
	.size	_ZL13mul_mat_vec_qIL9ggml_type7ELi3ELb0ELb0EEvPKvS2_PKi31ggml_cuda_mm_fusion_args_devicePfj15HIP_vector_typeIjLj3EEjjjS8_jjjS8_jjjj, .Lfunc_end54-_ZL13mul_mat_vec_qIL9ggml_type7ELi3ELb0ELb0EEvPKvS2_PKi31ggml_cuda_mm_fusion_args_devicePfj15HIP_vector_typeIjLj3EEjjjS8_jjjS8_jjjj
                                        ; -- End function
	.set _ZL13mul_mat_vec_qIL9ggml_type7ELi3ELb0ELb0EEvPKvS2_PKi31ggml_cuda_mm_fusion_args_devicePfj15HIP_vector_typeIjLj3EEjjjS8_jjjS8_jjjj.num_vgpr, 50
	.set _ZL13mul_mat_vec_qIL9ggml_type7ELi3ELb0ELb0EEvPKvS2_PKi31ggml_cuda_mm_fusion_args_devicePfj15HIP_vector_typeIjLj3EEjjjS8_jjjS8_jjjj.num_agpr, 0
	.set _ZL13mul_mat_vec_qIL9ggml_type7ELi3ELb0ELb0EEvPKvS2_PKi31ggml_cuda_mm_fusion_args_devicePfj15HIP_vector_typeIjLj3EEjjjS8_jjjS8_jjjj.numbered_sgpr, 30
	.set _ZL13mul_mat_vec_qIL9ggml_type7ELi3ELb0ELb0EEvPKvS2_PKi31ggml_cuda_mm_fusion_args_devicePfj15HIP_vector_typeIjLj3EEjjjS8_jjjS8_jjjj.num_named_barrier, 0
	.set _ZL13mul_mat_vec_qIL9ggml_type7ELi3ELb0ELb0EEvPKvS2_PKi31ggml_cuda_mm_fusion_args_devicePfj15HIP_vector_typeIjLj3EEjjjS8_jjjS8_jjjj.private_seg_size, 0
	.set _ZL13mul_mat_vec_qIL9ggml_type7ELi3ELb0ELb0EEvPKvS2_PKi31ggml_cuda_mm_fusion_args_devicePfj15HIP_vector_typeIjLj3EEjjjS8_jjjS8_jjjj.uses_vcc, 1
	.set _ZL13mul_mat_vec_qIL9ggml_type7ELi3ELb0ELb0EEvPKvS2_PKi31ggml_cuda_mm_fusion_args_devicePfj15HIP_vector_typeIjLj3EEjjjS8_jjjS8_jjjj.uses_flat_scratch, 0
	.set _ZL13mul_mat_vec_qIL9ggml_type7ELi3ELb0ELb0EEvPKvS2_PKi31ggml_cuda_mm_fusion_args_devicePfj15HIP_vector_typeIjLj3EEjjjS8_jjjS8_jjjj.has_dyn_sized_stack, 0
	.set _ZL13mul_mat_vec_qIL9ggml_type7ELi3ELb0ELb0EEvPKvS2_PKi31ggml_cuda_mm_fusion_args_devicePfj15HIP_vector_typeIjLj3EEjjjS8_jjjS8_jjjj.has_recursion, 0
	.set _ZL13mul_mat_vec_qIL9ggml_type7ELi3ELb0ELb0EEvPKvS2_PKi31ggml_cuda_mm_fusion_args_devicePfj15HIP_vector_typeIjLj3EEjjjS8_jjjS8_jjjj.has_indirect_call, 0
	.section	.AMDGPU.csdata,"",@progbits
; Kernel info:
; codeLenInByte = 1728
; TotalNumSgprs: 32
; NumVgprs: 50
; ScratchSize: 0
; MemoryBound: 0
; FloatMode: 240
; IeeeMode: 1
; LDSByteSize: 0 bytes/workgroup (compile time only)
; SGPRBlocks: 0
; VGPRBlocks: 6
; NumSGPRsForWavesPerEU: 32
; NumVGPRsForWavesPerEU: 50
; Occupancy: 16
; WaveLimiterHint : 0
; COMPUTE_PGM_RSRC2:SCRATCH_EN: 0
; COMPUTE_PGM_RSRC2:USER_SGPR: 2
; COMPUTE_PGM_RSRC2:TRAP_HANDLER: 0
; COMPUTE_PGM_RSRC2:TGID_X_EN: 1
; COMPUTE_PGM_RSRC2:TGID_Y_EN: 1
; COMPUTE_PGM_RSRC2:TGID_Z_EN: 1
; COMPUTE_PGM_RSRC2:TIDIG_COMP_CNT: 1
	.section	.text._ZL13mul_mat_vec_qIL9ggml_type7ELi4ELb0ELb0EEvPKvS2_PKi31ggml_cuda_mm_fusion_args_devicePfj15HIP_vector_typeIjLj3EEjjjS8_jjjS8_jjjj,"axG",@progbits,_ZL13mul_mat_vec_qIL9ggml_type7ELi4ELb0ELb0EEvPKvS2_PKi31ggml_cuda_mm_fusion_args_devicePfj15HIP_vector_typeIjLj3EEjjjS8_jjjS8_jjjj,comdat
	.globl	_ZL13mul_mat_vec_qIL9ggml_type7ELi4ELb0ELb0EEvPKvS2_PKi31ggml_cuda_mm_fusion_args_devicePfj15HIP_vector_typeIjLj3EEjjjS8_jjjS8_jjjj ; -- Begin function _ZL13mul_mat_vec_qIL9ggml_type7ELi4ELb0ELb0EEvPKvS2_PKi31ggml_cuda_mm_fusion_args_devicePfj15HIP_vector_typeIjLj3EEjjjS8_jjjS8_jjjj
	.p2align	8
	.type	_ZL13mul_mat_vec_qIL9ggml_type7ELi4ELb0ELb0EEvPKvS2_PKi31ggml_cuda_mm_fusion_args_devicePfj15HIP_vector_typeIjLj3EEjjjS8_jjjS8_jjjj,@function
_ZL13mul_mat_vec_qIL9ggml_type7ELi4ELb0ELb0EEvPKvS2_PKi31ggml_cuda_mm_fusion_args_devicePfj15HIP_vector_typeIjLj3EEjjjS8_jjjS8_jjjj: ; @_ZL13mul_mat_vec_qIL9ggml_type7ELi4ELb0ELb0EEvPKvS2_PKi31ggml_cuda_mm_fusion_args_devicePfj15HIP_vector_typeIjLj3EEjjjS8_jjjS8_jjjj
; %bb.0:
	v_bfe_u32 v6, v0, 10, 10
	s_clause 0x5
	s_load_b32 s2, s[0:1], 0x40
	s_load_b96 s[16:18], s[0:1], 0x80
	s_load_b128 s[4:7], s[0:1], 0x50
	s_load_b32 s23, s[0:1], 0x60
	s_load_b128 s[8:11], s[0:1], 0x68
	s_load_b32 s24, s[0:1], 0x78
	v_dual_mov_b32 v2, 0 :: v_dual_and_b32 v3, 0x3ff, v0
	v_dual_mov_b32 v5, 0 :: v_dual_lshlrev_b32 v0, 5, v6
	v_mov_b32_e32 v8, 0
	s_and_b32 s19, ttmp7, 0xffff
	s_lshr_b32 s20, ttmp7, 16
	s_delay_alu instid0(VALU_DEP_2) | instskip(SKIP_2) | instid1(VALU_DEP_2)
	v_add_nc_u16 v0, v0, v3
	s_mov_b32 s21, exec_lo
	v_mov_b32_e32 v4, 0
	v_lshrrev_b16 v0, 1, v0
	s_delay_alu instid0(VALU_DEP_1)
	v_and_b32_e32 v7, 0xffff, v0
	s_wait_kmcnt 0x0
	s_lshr_b32 s22, s2, 5
	s_delay_alu instid0(VALU_DEP_1) | instid1(SALU_CYCLE_1)
	v_cmpx_gt_u32_e64 s22, v7
	s_cbranch_execz .LBB55_4
; %bb.1:
	s_load_b128 s[12:15], s[0:1], 0x0
	v_dual_mov_b32 v2, 0 :: v_dual_lshlrev_b32 v1, 1, v3
	s_mul_i32 s2, s17, s20
	s_mov_b32 s3, 0
	s_mul_hi_u32 s7, s7, s19
	s_mul_hi_u32 s11, s11, s20
	s_mul_u64 s[26:27], s[2:3], 36
	s_mul_i32 s2, s9, s19
	s_add_co_i32 s7, s19, s7
	v_and_b32_e32 v5, 2, v1
	s_add_co_i32 s9, s20, s11
	s_mul_u64 s[28:29], s[2:3], 36
	s_lshr_b32 s2, s7, s23
	v_and_b32_e32 v0, 0xffff, v0
	s_lshr_b32 s7, s9, s24
	s_mul_i32 s2, s2, s8
	v_and_b32_e32 v4, 1, v3
	v_dual_mov_b32 v8, 0 :: v_dual_lshlrev_b32 v9, 2, v5
	s_wait_kmcnt 0x0
	s_add_nc_u64 s[8:9], s[14:15], s[26:27]
	s_mul_i32 s4, s4, ttmp9
	s_add_nc_u64 s[8:9], s[8:9], s[28:29]
	v_or_b32_e32 v10, 4, v9
	v_mad_co_u64_u32 v[0:1], null, v0, 36, s[8:9]
	v_dual_mov_b32 v5, 0 :: v_dual_lshlrev_b32 v12, 2, v5
	v_dual_mov_b32 v4, 0 :: v_dual_lshlrev_b32 v11, 3, v4
	s_mul_i32 s7, s7, s16
	s_add_co_i32 s2, s2, s4
	s_lshl_b32 s4, s5, 1
	s_add_co_i32 s2, s7, s2
	s_mul_i32 s7, s5, 3
.LBB55_2:                               ; =>This Inner Loop Header: Depth=1
	v_add_nc_u32_e32 v15, s2, v7
	v_add_co_u32 v13, vcc_lo, v0, v11
	v_add_nc_u32_e32 v19, s5, v7
	s_wait_alu 0xfffd
	v_add_co_ci_u32_e64 v14, null, 0, v1, vcc_lo
	v_mad_co_i64_i32 v[15:16], null, v15, 24, s[12:13]
	v_add_nc_u32_e32 v21, s4, v7
	v_add_nc_u32_e32 v23, s7, v7
	v_mad_co_u64_u32 v[19:20], null, v19, 36, s[8:9]
	s_clause 0x2
	global_load_b32 v35, v[0:1], off
	global_load_b64 v[17:18], v[13:14], off offset:4
	global_load_b64 v[13:14], v[13:14], off offset:20
	v_mad_co_u64_u32 v[21:22], null, v21, 36, s[8:9]
	global_load_b64 v[25:26], v[15:16], off
	v_mad_co_u64_u32 v[23:24], null, v23, 36, s[8:9]
	v_add_co_u32 v15, vcc_lo, v15, v12
	s_wait_alu 0xfffd
	v_add_co_ci_u32_e64 v16, null, 0, v16, vcc_lo
	v_add_co_u32 v27, vcc_lo, v19, v12
	s_wait_alu 0xfffd
	v_add_co_ci_u32_e64 v28, null, 0, v20, vcc_lo
	;; [unrolled: 3-line block ×4, first 2 shown]
	global_load_b64 v[15:16], v[15:16], off offset:8
	s_clause 0x8
	global_load_b64 v[33:34], v[27:28], off offset:4
	global_load_b64 v[27:28], v[27:28], off offset:20
	global_load_b32 v36, v[21:22], off
	global_load_b32 v37, v[19:20], off
	global_load_b64 v[19:20], v[29:30], off offset:4
	global_load_b64 v[21:22], v[31:32], off offset:4
	global_load_b32 v38, v[23:24], off
	global_load_b64 v[23:24], v[29:30], off offset:20
	global_load_b64 v[29:30], v[31:32], off offset:20
	v_add_nc_u32_e32 v7, 16, v7
	v_add_co_u32 v0, vcc_lo, 0x240, v0
	s_wait_alu 0xfffd
	v_add_co_ci_u32_e64 v1, null, 0, v1, vcc_lo
	s_delay_alu instid0(VALU_DEP_3)
	v_cmp_le_u32_e32 vcc_lo, s22, v7
	s_or_b32 s3, vcc_lo, s3
	s_wait_loadcnt 0xa
	v_ashrrev_i32_e32 v31, v9, v26
	v_ashrrev_i32_e32 v26, v10, v26
	v_pk_mul_f16 v32, v25, v35
	s_delay_alu instid0(VALU_DEP_3)
	v_lshlrev_b32_e32 v39, 4, v31
	v_lshlrev_b32_e32 v40, 11, v31
	;; [unrolled: 1-line block ×4, first 2 shown]
	v_lshrrev_b32_e32 v43, 12, v31
	s_wait_loadcnt 0x9
	v_and_b32_e32 v35, 0xf0f0f0f, v15
	v_lshrrev_b32_e32 v44, 5, v31
	v_lshlrev_b32_e32 v45, 2, v31
	s_wait_loadcnt 0x6
	v_pk_mul_f16 v36, v25, v36
	s_wait_loadcnt 0x5
	v_pk_mul_f16 v37, v25, v37
	v_lshrrev_b32_e32 v15, 4, v15
	v_lshlrev_b32_e32 v31, 9, v31
	s_wait_loadcnt 0x2
	v_pk_mul_f16 v25, v25, v38
	v_and_b32_e32 v38, 16, v39
	v_and_b32_e32 v39, 0x1000, v40
	v_lshlrev_b32_e32 v47, 4, v26
	v_lshlrev_b32_e32 v48, 11, v26
	v_lshlrev_b32_e32 v49, 18, v26
	v_and_b32_e32 v40, 0x100000, v41
	v_and_b32_e32 v41, 0x10000000, v42
	;; [unrolled: 1-line block ×5, first 2 shown]
	v_or3_b32 v35, v38, v35, v39
	v_lshlrev_b32_e32 v50, 25, v26
	v_lshrrev_b32_e32 v51, 12, v26
	v_lshrrev_b32_e32 v52, 5, v26
	v_lshlrev_b32_e32 v53, 2, v26
	v_and_b32_e32 v15, 0xf0f0f0f, v15
	v_and_b32_e32 v31, 0x10000000, v31
	v_and_b32_e32 v45, 16, v47
	v_and_b32_e32 v47, 0x1000, v48
	v_and_b32_e32 v48, 0x100000, v49
	v_lshrrev_b32_e32 v56, 16, v25
	v_or3_b32 v38, v43, v42, v44
	v_or3_b32 v35, v35, v40, v41
	v_lshlrev_b32_e32 v26, 9, v26
	v_and_b32_e32 v49, 0x10000000, v50
	v_and_b32_e32 v50, 16, v51
	;; [unrolled: 1-line block ×4, first 2 shown]
	v_or3_b32 v39, v47, v45, v48
	v_cvt_f32_f16_e32 v47, v56
	v_and_b32_e32 v46, 0xf0f0f0f, v16
	v_lshrrev_b32_e32 v16, 4, v16
	v_or3_b32 v15, v38, v31, v15
	v_dot4_i32_iu8 v17, v35, v17, 0 neg_lo:[1,1,0]
	v_dot4_i32_iu8 v33, v35, v33, 0 neg_lo:[1,1,0]
	;; [unrolled: 1-line block ×4, first 2 shown]
	v_lshrrev_b32_e32 v54, 16, v32
	v_and_b32_e32 v16, 0xf0f0f0f, v16
	v_and_b32_e32 v26, 0x10000000, v26
	v_or3_b32 v42, v51, v50, v52
	v_or3_b32 v31, v39, v49, v46
	v_dot4_i32_iu8 v13, v15, v13, v17 neg_lo:[1,1,0]
	v_dot4_i32_iu8 v17, v15, v27, v33 neg_lo:[1,1,0]
	s_wait_loadcnt 0x1
	v_dot4_i32_iu8 v19, v15, v23, v19 neg_lo:[1,1,0]
	s_wait_loadcnt 0x0
	v_dot4_i32_iu8 v15, v15, v29, v21 neg_lo:[1,1,0]
	v_cvt_f32_f16_e32 v53, v54
	v_lshrrev_b32_e32 v54, 16, v37
	v_lshrrev_b32_e32 v55, 16, v36
	v_or3_b32 v16, v42, v26, v16
	v_dot4_i32_iu8 v13, v31, v18, v13 neg_lo:[1,1,0]
	v_dot4_i32_iu8 v17, v31, v34, v17 neg_lo:[1,1,0]
	;; [unrolled: 1-line block ×4, first 2 shown]
	v_cvt_f32_f16_e32 v44, v54
	v_cvt_f32_f16_e32 v45, v55
	v_dot4_i32_iu8 v13, v16, v14, v13 neg_lo:[1,1,0]
	v_dot4_i32_iu8 v14, v16, v28, v17 neg_lo:[1,1,0]
	;; [unrolled: 1-line block ×4, first 2 shown]
	v_dual_mul_f32 v43, 0.5, v53 :: v_dual_mul_f32 v26, 0.5, v44
	v_dual_mul_f32 v38, 0.5, v45 :: v_dual_mul_f32 v39, 0.5, v47
	v_cvt_f32_i32_e32 v13, v13
	v_cvt_f32_i32_e32 v14, v14
	;; [unrolled: 1-line block ×4, first 2 shown]
	s_delay_alu instid0(VALU_DEP_4) | instskip(NEXT) | instid1(VALU_DEP_4)
	v_fma_mix_f32 v13, v13, v32, v43 op_sel_hi:[0,1,0]
	v_fma_mix_f32 v14, v14, v37, v26 op_sel_hi:[0,1,0]
	s_delay_alu instid0(VALU_DEP_4) | instskip(NEXT) | instid1(VALU_DEP_4)
	v_fma_mix_f32 v16, v16, v36, v38 op_sel_hi:[0,1,0]
	v_fma_mix_f32 v15, v15, v25, v39 op_sel_hi:[0,1,0]
	s_delay_alu instid0(VALU_DEP_3) | instskip(NEXT) | instid1(VALU_DEP_3)
	v_dual_add_f32 v8, v8, v13 :: v_dual_add_f32 v5, v5, v14
	v_add_f32_e32 v4, v4, v16
	s_delay_alu instid0(VALU_DEP_3)
	v_add_f32_e32 v2, v2, v15
	s_wait_alu 0xfffe
	s_and_not1_b32 exec_lo, exec_lo, s3
	s_cbranch_execnz .LBB55_2
; %bb.3:
	s_or_b32 exec_lo, exec_lo, s3
.LBB55_4:
	s_delay_alu instid0(SALU_CYCLE_1)
	s_or_b32 exec_lo, exec_lo, s21
	s_mov_b32 s3, 0
	; wave barrier
	global_inv scope:SCOPE_SE
	s_mov_b32 s2, exec_lo
	v_cmpx_eq_u32_e32 0, v6
	s_cbranch_execz .LBB55_13
; %bb.5:
	v_mbcnt_lo_u32_b32 v9, -1, 0
	s_load_b64 s[0:1], s[0:1], 0x38
	s_mul_i32 s2, s10, s19
	s_mul_i32 s4, s18, s20
	s_wait_alu 0xfffe
	s_add_co_i32 s2, s2, ttmp9
	v_xor_b32_e32 v0, 16, v9
	v_xor_b32_e32 v1, 8, v9
	s_wait_alu 0xfffe
	s_add_co_i32 s2, s2, s4
	s_wait_alu 0xfffe
	s_lshl_b64 s[2:3], s[2:3], 2
	v_cmp_gt_i32_e32 vcc_lo, 32, v0
	s_wait_alu 0xfffd
	v_cndmask_b32_e32 v0, v9, v0, vcc_lo
	v_cmp_gt_i32_e32 vcc_lo, 32, v1
	s_wait_alu 0xfffd
	v_cndmask_b32_e32 v1, v9, v1, vcc_lo
	s_wait_kmcnt 0x0
	s_wait_alu 0xfffe
	s_add_nc_u64 s[0:1], s[0:1], s[2:3]
	s_delay_alu instid0(VALU_DEP_1)
	v_lshlrev_b32_e32 v1, 2, v1
	v_lshlrev_b32_e32 v0, 2, v0
	ds_bpermute_b32 v6, v0, v8
	s_wait_dscnt 0x0
	v_add_f32_e32 v7, v8, v6
	v_xor_b32_e32 v6, 4, v9
	ds_bpermute_b32 v8, v1, v7
	v_cmp_gt_i32_e32 vcc_lo, 32, v6
	s_wait_alu 0xfffd
	v_cndmask_b32_e32 v6, v9, v6, vcc_lo
	s_wait_dscnt 0x0
	v_add_f32_e32 v8, v7, v8
	v_xor_b32_e32 v7, 2, v9
	s_delay_alu instid0(VALU_DEP_1) | instskip(SKIP_2) | instid1(VALU_DEP_1)
	v_cmp_gt_i32_e32 vcc_lo, 32, v7
	s_wait_alu 0xfffd
	v_cndmask_b32_e32 v7, v9, v7, vcc_lo
	v_lshlrev_b32_e32 v7, 2, v7
	v_lshlrev_b32_e32 v6, 2, v6
	ds_bpermute_b32 v10, v6, v8
	s_wait_dscnt 0x0
	v_add_f32_e32 v10, v8, v10
	v_xor_b32_e32 v8, 1, v9
	ds_bpermute_b32 v11, v7, v10
	v_cmp_gt_i32_e32 vcc_lo, 32, v8
	s_wait_alu 0xfffd
	v_cndmask_b32_e32 v8, v9, v8, vcc_lo
	v_cmp_eq_u32_e32 vcc_lo, 0, v3
	s_wait_dscnt 0x0
	s_delay_alu instid0(VALU_DEP_2)
	v_dual_add_f32 v9, v10, v11 :: v_dual_lshlrev_b32 v8, 2, v8
	ds_bpermute_b32 v10, v8, v9
	s_and_saveexec_b32 s2, vcc_lo
	s_cbranch_execz .LBB55_7
; %bb.6:
	s_wait_dscnt 0x0
	v_add_f32_e32 v3, v9, v10
	v_mov_b32_e32 v9, 0
	global_store_b32 v9, v3, s[0:1]
.LBB55_7:
	s_wait_alu 0xfffe
	s_or_b32 exec_lo, exec_lo, s2
	ds_bpermute_b32 v3, v0, v5
	s_wait_dscnt 0x0
	v_add_f32_e32 v3, v5, v3
	ds_bpermute_b32 v5, v1, v3
	s_wait_dscnt 0x0
	v_add_f32_e32 v3, v3, v5
	;; [unrolled: 3-line block ×4, first 2 shown]
	ds_bpermute_b32 v5, v8, v3
	s_and_saveexec_b32 s2, vcc_lo
	s_cbranch_execz .LBB55_9
; %bb.8:
	s_mov_b32 s7, 0
	s_wait_dscnt 0x0
	v_add_f32_e32 v3, v3, v5
	v_mov_b32_e32 v5, 0
	s_wait_alu 0xfffe
	s_lshl_b64 s[4:5], s[6:7], 2
	s_wait_alu 0xfffe
	s_add_nc_u64 s[4:5], s[0:1], s[4:5]
	global_store_b32 v5, v3, s[4:5]
.LBB55_9:
	s_wait_alu 0xfffe
	s_or_b32 exec_lo, exec_lo, s2
	ds_bpermute_b32 v3, v0, v4
	s_wait_dscnt 0x0
	v_add_f32_e32 v3, v4, v3
	ds_bpermute_b32 v4, v1, v3
	s_wait_dscnt 0x0
	v_add_f32_e32 v3, v3, v4
	;; [unrolled: 3-line block ×4, first 2 shown]
	ds_bpermute_b32 v4, v8, v3
	s_and_saveexec_b32 s2, vcc_lo
	s_cbranch_execz .LBB55_11
; %bb.10:
	s_lshl_b32 s4, s6, 1
	s_mov_b32 s5, 0
	s_wait_dscnt 0x0
	v_dual_add_f32 v3, v3, v4 :: v_dual_mov_b32 v4, 0
	s_wait_alu 0xfffe
	s_lshl_b64 s[4:5], s[4:5], 2
	s_wait_alu 0xfffe
	s_add_nc_u64 s[4:5], s[0:1], s[4:5]
	global_store_b32 v4, v3, s[4:5]
.LBB55_11:
	s_wait_alu 0xfffe
	s_or_b32 exec_lo, exec_lo, s2
	ds_bpermute_b32 v0, v0, v2
	s_wait_dscnt 0x0
	v_add_f32_e32 v0, v2, v0
	ds_bpermute_b32 v1, v1, v0
	s_wait_dscnt 0x0
	v_add_f32_e32 v0, v0, v1
	;; [unrolled: 3-line block ×4, first 2 shown]
	ds_bpermute_b32 v1, v8, v0
	s_and_b32 exec_lo, exec_lo, vcc_lo
	s_cbranch_execz .LBB55_13
; %bb.12:
	s_mul_i32 s2, s6, 3
	s_mov_b32 s3, 0
	s_wait_dscnt 0x0
	v_dual_add_f32 v0, v0, v1 :: v_dual_mov_b32 v1, 0
	s_wait_alu 0xfffe
	s_lshl_b64 s[2:3], s[2:3], 2
	s_wait_alu 0xfffe
	s_add_nc_u64 s[0:1], s[0:1], s[2:3]
	global_store_b32 v1, v0, s[0:1]
.LBB55_13:
	s_endpgm
	.section	.rodata,"a",@progbits
	.p2align	6, 0x0
	.amdhsa_kernel _ZL13mul_mat_vec_qIL9ggml_type7ELi4ELb0ELb0EEvPKvS2_PKi31ggml_cuda_mm_fusion_args_devicePfj15HIP_vector_typeIjLj3EEjjjS8_jjjS8_jjjj
		.amdhsa_group_segment_fixed_size 0
		.amdhsa_private_segment_fixed_size 0
		.amdhsa_kernarg_size 144
		.amdhsa_user_sgpr_count 2
		.amdhsa_user_sgpr_dispatch_ptr 0
		.amdhsa_user_sgpr_queue_ptr 0
		.amdhsa_user_sgpr_kernarg_segment_ptr 1
		.amdhsa_user_sgpr_dispatch_id 0
		.amdhsa_user_sgpr_private_segment_size 0
		.amdhsa_wavefront_size32 1
		.amdhsa_uses_dynamic_stack 0
		.amdhsa_enable_private_segment 0
		.amdhsa_system_sgpr_workgroup_id_x 1
		.amdhsa_system_sgpr_workgroup_id_y 1
		.amdhsa_system_sgpr_workgroup_id_z 1
		.amdhsa_system_sgpr_workgroup_info 0
		.amdhsa_system_vgpr_workitem_id 1
		.amdhsa_next_free_vgpr 57
		.amdhsa_next_free_sgpr 30
		.amdhsa_reserve_vcc 1
		.amdhsa_float_round_mode_32 0
		.amdhsa_float_round_mode_16_64 0
		.amdhsa_float_denorm_mode_32 3
		.amdhsa_float_denorm_mode_16_64 3
		.amdhsa_fp16_overflow 0
		.amdhsa_workgroup_processor_mode 1
		.amdhsa_memory_ordered 1
		.amdhsa_forward_progress 1
		.amdhsa_inst_pref_size 16
		.amdhsa_round_robin_scheduling 0
		.amdhsa_exception_fp_ieee_invalid_op 0
		.amdhsa_exception_fp_denorm_src 0
		.amdhsa_exception_fp_ieee_div_zero 0
		.amdhsa_exception_fp_ieee_overflow 0
		.amdhsa_exception_fp_ieee_underflow 0
		.amdhsa_exception_fp_ieee_inexact 0
		.amdhsa_exception_int_div_zero 0
	.end_amdhsa_kernel
	.section	.text._ZL13mul_mat_vec_qIL9ggml_type7ELi4ELb0ELb0EEvPKvS2_PKi31ggml_cuda_mm_fusion_args_devicePfj15HIP_vector_typeIjLj3EEjjjS8_jjjS8_jjjj,"axG",@progbits,_ZL13mul_mat_vec_qIL9ggml_type7ELi4ELb0ELb0EEvPKvS2_PKi31ggml_cuda_mm_fusion_args_devicePfj15HIP_vector_typeIjLj3EEjjjS8_jjjS8_jjjj,comdat
.Lfunc_end55:
	.size	_ZL13mul_mat_vec_qIL9ggml_type7ELi4ELb0ELb0EEvPKvS2_PKi31ggml_cuda_mm_fusion_args_devicePfj15HIP_vector_typeIjLj3EEjjjS8_jjjS8_jjjj, .Lfunc_end55-_ZL13mul_mat_vec_qIL9ggml_type7ELi4ELb0ELb0EEvPKvS2_PKi31ggml_cuda_mm_fusion_args_devicePfj15HIP_vector_typeIjLj3EEjjjS8_jjjS8_jjjj
                                        ; -- End function
	.set _ZL13mul_mat_vec_qIL9ggml_type7ELi4ELb0ELb0EEvPKvS2_PKi31ggml_cuda_mm_fusion_args_devicePfj15HIP_vector_typeIjLj3EEjjjS8_jjjS8_jjjj.num_vgpr, 57
	.set _ZL13mul_mat_vec_qIL9ggml_type7ELi4ELb0ELb0EEvPKvS2_PKi31ggml_cuda_mm_fusion_args_devicePfj15HIP_vector_typeIjLj3EEjjjS8_jjjS8_jjjj.num_agpr, 0
	.set _ZL13mul_mat_vec_qIL9ggml_type7ELi4ELb0ELb0EEvPKvS2_PKi31ggml_cuda_mm_fusion_args_devicePfj15HIP_vector_typeIjLj3EEjjjS8_jjjS8_jjjj.numbered_sgpr, 30
	.set _ZL13mul_mat_vec_qIL9ggml_type7ELi4ELb0ELb0EEvPKvS2_PKi31ggml_cuda_mm_fusion_args_devicePfj15HIP_vector_typeIjLj3EEjjjS8_jjjS8_jjjj.num_named_barrier, 0
	.set _ZL13mul_mat_vec_qIL9ggml_type7ELi4ELb0ELb0EEvPKvS2_PKi31ggml_cuda_mm_fusion_args_devicePfj15HIP_vector_typeIjLj3EEjjjS8_jjjS8_jjjj.private_seg_size, 0
	.set _ZL13mul_mat_vec_qIL9ggml_type7ELi4ELb0ELb0EEvPKvS2_PKi31ggml_cuda_mm_fusion_args_devicePfj15HIP_vector_typeIjLj3EEjjjS8_jjjS8_jjjj.uses_vcc, 1
	.set _ZL13mul_mat_vec_qIL9ggml_type7ELi4ELb0ELb0EEvPKvS2_PKi31ggml_cuda_mm_fusion_args_devicePfj15HIP_vector_typeIjLj3EEjjjS8_jjjS8_jjjj.uses_flat_scratch, 0
	.set _ZL13mul_mat_vec_qIL9ggml_type7ELi4ELb0ELb0EEvPKvS2_PKi31ggml_cuda_mm_fusion_args_devicePfj15HIP_vector_typeIjLj3EEjjjS8_jjjS8_jjjj.has_dyn_sized_stack, 0
	.set _ZL13mul_mat_vec_qIL9ggml_type7ELi4ELb0ELb0EEvPKvS2_PKi31ggml_cuda_mm_fusion_args_devicePfj15HIP_vector_typeIjLj3EEjjjS8_jjjS8_jjjj.has_recursion, 0
	.set _ZL13mul_mat_vec_qIL9ggml_type7ELi4ELb0ELb0EEvPKvS2_PKi31ggml_cuda_mm_fusion_args_devicePfj15HIP_vector_typeIjLj3EEjjjS8_jjjS8_jjjj.has_indirect_call, 0
	.section	.AMDGPU.csdata,"",@progbits
; Kernel info:
; codeLenInByte = 2024
; TotalNumSgprs: 32
; NumVgprs: 57
; ScratchSize: 0
; MemoryBound: 0
; FloatMode: 240
; IeeeMode: 1
; LDSByteSize: 0 bytes/workgroup (compile time only)
; SGPRBlocks: 0
; VGPRBlocks: 7
; NumSGPRsForWavesPerEU: 32
; NumVGPRsForWavesPerEU: 57
; Occupancy: 16
; WaveLimiterHint : 0
; COMPUTE_PGM_RSRC2:SCRATCH_EN: 0
; COMPUTE_PGM_RSRC2:USER_SGPR: 2
; COMPUTE_PGM_RSRC2:TRAP_HANDLER: 0
; COMPUTE_PGM_RSRC2:TGID_X_EN: 1
; COMPUTE_PGM_RSRC2:TGID_Y_EN: 1
; COMPUTE_PGM_RSRC2:TGID_Z_EN: 1
; COMPUTE_PGM_RSRC2:TIDIG_COMP_CNT: 1
	.section	.text._ZL13mul_mat_vec_qIL9ggml_type7ELi5ELb0ELb0EEvPKvS2_PKi31ggml_cuda_mm_fusion_args_devicePfj15HIP_vector_typeIjLj3EEjjjS8_jjjS8_jjjj,"axG",@progbits,_ZL13mul_mat_vec_qIL9ggml_type7ELi5ELb0ELb0EEvPKvS2_PKi31ggml_cuda_mm_fusion_args_devicePfj15HIP_vector_typeIjLj3EEjjjS8_jjjS8_jjjj,comdat
	.globl	_ZL13mul_mat_vec_qIL9ggml_type7ELi5ELb0ELb0EEvPKvS2_PKi31ggml_cuda_mm_fusion_args_devicePfj15HIP_vector_typeIjLj3EEjjjS8_jjjS8_jjjj ; -- Begin function _ZL13mul_mat_vec_qIL9ggml_type7ELi5ELb0ELb0EEvPKvS2_PKi31ggml_cuda_mm_fusion_args_devicePfj15HIP_vector_typeIjLj3EEjjjS8_jjjS8_jjjj
	.p2align	8
	.type	_ZL13mul_mat_vec_qIL9ggml_type7ELi5ELb0ELb0EEvPKvS2_PKi31ggml_cuda_mm_fusion_args_devicePfj15HIP_vector_typeIjLj3EEjjjS8_jjjS8_jjjj,@function
_ZL13mul_mat_vec_qIL9ggml_type7ELi5ELb0ELb0EEvPKvS2_PKi31ggml_cuda_mm_fusion_args_devicePfj15HIP_vector_typeIjLj3EEjjjS8_jjjS8_jjjj: ; @_ZL13mul_mat_vec_qIL9ggml_type7ELi5ELb0ELb0EEvPKvS2_PKi31ggml_cuda_mm_fusion_args_devicePfj15HIP_vector_typeIjLj3EEjjjS8_jjjS8_jjjj
; %bb.0:
	v_bfe_u32 v6, v0, 10, 10
	s_clause 0x5
	s_load_b32 s2, s[0:1], 0x40
	s_load_b96 s[16:18], s[0:1], 0x80
	s_load_b128 s[4:7], s[0:1], 0x50
	s_load_b32 s23, s[0:1], 0x60
	s_load_b128 s[8:11], s[0:1], 0x68
	s_load_b32 s24, s[0:1], 0x78
	v_dual_mov_b32 v2, 0 :: v_dual_and_b32 v3, 0x3ff, v0
	v_dual_mov_b32 v5, 0 :: v_dual_lshlrev_b32 v0, 5, v6
	v_dual_mov_b32 v4, 0 :: v_dual_mov_b32 v9, 0
	s_and_b32 s19, ttmp7, 0xffff
	s_delay_alu instid0(VALU_DEP_2) | instskip(SKIP_3) | instid1(VALU_DEP_2)
	v_add_nc_u16 v0, v0, v3
	s_lshr_b32 s20, ttmp7, 16
	s_mov_b32 s21, exec_lo
	v_mov_b32_e32 v7, 0
	v_lshrrev_b16 v0, 1, v0
	s_delay_alu instid0(VALU_DEP_1)
	v_and_b32_e32 v8, 0xffff, v0
	s_wait_kmcnt 0x0
	s_lshr_b32 s22, s2, 5
	s_delay_alu instid0(VALU_DEP_1) | instid1(SALU_CYCLE_1)
	v_cmpx_gt_u32_e64 s22, v8
	s_cbranch_execz .LBB56_4
; %bb.1:
	s_load_b128 s[12:15], s[0:1], 0x0
	v_dual_mov_b32 v2, 0 :: v_dual_lshlrev_b32 v1, 1, v3
	s_mul_i32 s2, s17, s20
	s_mov_b32 s3, 0
	s_mul_hi_u32 s7, s7, s19
	s_mul_hi_u32 s11, s11, s20
	s_mul_u64 s[26:27], s[2:3], 36
	s_mul_i32 s2, s9, s19
	s_add_co_i32 s7, s19, s7
	v_and_b32_e32 v5, 2, v1
	s_add_co_i32 s9, s20, s11
	s_mul_u64 s[28:29], s[2:3], 36
	s_lshr_b32 s2, s7, s23
	v_dual_mov_b32 v9, 0 :: v_dual_and_b32 v0, 0xffff, v0
	s_lshr_b32 s7, s9, s24
	s_mul_i32 s2, s2, s8
	v_and_b32_e32 v4, 1, v3
	v_dual_mov_b32 v7, 0 :: v_dual_lshlrev_b32 v10, 2, v5
	s_wait_kmcnt 0x0
	s_add_nc_u64 s[8:9], s[14:15], s[26:27]
	s_mul_i32 s4, s4, ttmp9
	s_add_nc_u64 s[8:9], s[8:9], s[28:29]
	v_or_b32_e32 v11, 4, v10
	v_mad_co_u64_u32 v[0:1], null, v0, 36, s[8:9]
	v_lshlrev_b32_e32 v13, 2, v5
	v_dual_mov_b32 v5, 0 :: v_dual_lshlrev_b32 v12, 3, v4
	v_mov_b32_e32 v4, 0
	s_mul_i32 s7, s7, s16
	s_add_co_i32 s2, s2, s4
	s_lshl_b32 s4, s5, 1
	s_add_co_i32 s2, s7, s2
	s_mul_i32 s7, s5, 3
	s_lshl_b32 s11, s5, 2
.LBB56_2:                               ; =>This Inner Loop Header: Depth=1
	v_add_nc_u32_e32 v16, s2, v8
	v_add_nc_u32_e32 v20, s5, v8
	;; [unrolled: 1-line block ×3, first 2 shown]
	v_add_co_u32 v14, vcc_lo, v0, v12
	s_delay_alu instid0(VALU_DEP_4)
	v_mad_co_i64_i32 v[16:17], null, v16, 24, s[12:13]
	v_add_nc_u32_e32 v24, s7, v8
	s_wait_alu 0xfffd
	v_add_co_ci_u32_e64 v15, null, 0, v1, vcc_lo
	v_mad_co_u64_u32 v[20:21], null, v20, 36, s[8:9]
	v_add_nc_u32_e32 v26, s11, v8
	v_mad_co_u64_u32 v[22:23], null, v22, 36, s[8:9]
	v_mad_co_u64_u32 v[24:25], null, v24, 36, s[8:9]
	s_clause 0x2
	global_load_b32 v40, v[0:1], off
	global_load_b64 v[18:19], v[14:15], off offset:4
	global_load_b64 v[14:15], v[14:15], off offset:20
	global_load_b64 v[28:29], v[16:17], off
	v_mad_co_u64_u32 v[26:27], null, v26, 36, s[8:9]
	v_add_co_u32 v16, vcc_lo, v16, v13
	s_wait_alu 0xfffd
	v_add_co_ci_u32_e64 v17, null, 0, v17, vcc_lo
	v_add_co_u32 v30, vcc_lo, v20, v13
	s_wait_alu 0xfffd
	v_add_co_ci_u32_e64 v31, null, 0, v21, vcc_lo
	;; [unrolled: 3-line block ×5, first 2 shown]
	global_load_b64 v[16:17], v[16:17], off offset:8
	s_clause 0xb
	global_load_b64 v[38:39], v[30:31], off offset:4
	global_load_b64 v[30:31], v[30:31], off offset:20
	global_load_b32 v41, v[22:23], off
	global_load_b32 v42, v[20:21], off
	global_load_b64 v[20:21], v[32:33], off offset:4
	global_load_b64 v[22:23], v[34:35], off offset:4
	global_load_b32 v43, v[24:25], off
	global_load_b64 v[24:25], v[36:37], off offset:4
	global_load_b64 v[36:37], v[36:37], off offset:20
	;; [unrolled: 3-line block ×3, first 2 shown]
	v_add_co_u32 v0, vcc_lo, 0x240, v0
	s_wait_alu 0xfffd
	v_add_co_ci_u32_e64 v1, null, 0, v1, vcc_lo
	s_wait_loadcnt 0xd
	v_ashrrev_i32_e32 v34, v10, v29
	v_ashrrev_i32_e32 v29, v11, v29
	v_pk_mul_f16 v35, v28, v40
	s_delay_alu instid0(VALU_DEP_3)
	v_lshlrev_b32_e32 v45, 4, v34
	v_lshlrev_b32_e32 v46, 11, v34
	;; [unrolled: 1-line block ×4, first 2 shown]
	v_lshrrev_b32_e32 v49, 12, v34
	v_lshrrev_b32_e32 v50, 5, v34
	s_wait_loadcnt 0xc
	v_and_b32_e32 v40, 0xf0f0f0f, v16
	v_lshlrev_b32_e32 v51, 2, v34
	v_lshrrev_b32_e32 v16, 4, v16
	s_wait_loadcnt 0x9
	v_pk_mul_f16 v41, v28, v41
	s_wait_loadcnt 0x8
	v_pk_mul_f16 v42, v28, v42
	v_lshlrev_b32_e32 v34, 9, v34
	v_lshlrev_b32_e32 v53, 4, v29
	s_wait_loadcnt 0x5
	v_pk_mul_f16 v43, v28, v43
	v_lshlrev_b32_e32 v54, 11, v29
	v_lshlrev_b32_e32 v55, 18, v29
	s_wait_loadcnt 0x2
	v_pk_mul_f16 v28, v28, v44
	v_and_b32_e32 v44, 16, v45
	v_and_b32_e32 v45, 0x1000, v46
	;; [unrolled: 1-line block ×7, first 2 shown]
	v_or3_b32 v40, v44, v40, v45
	v_lshlrev_b32_e32 v56, 25, v29
	v_lshrrev_b32_e32 v57, 12, v29
	v_lshrrev_b32_e32 v58, 5, v29
	v_lshlrev_b32_e32 v59, 2, v29
	v_and_b32_e32 v16, 0xf0f0f0f, v16
	v_and_b32_e32 v34, 0x10000000, v34
	;; [unrolled: 1-line block ×5, first 2 shown]
	v_or3_b32 v44, v49, v48, v50
	v_or3_b32 v40, v40, v46, v47
	v_and_b32_e32 v52, 0xf0f0f0f, v17
	v_lshrrev_b32_e32 v17, 4, v17
	v_lshlrev_b32_e32 v29, 9, v29
	v_and_b32_e32 v55, 0x10000000, v56
	v_and_b32_e32 v56, 16, v57
	;; [unrolled: 1-line block ×4, first 2 shown]
	v_or3_b32 v45, v53, v51, v54
	v_or3_b32 v16, v44, v34, v16
	v_dot4_i32_iu8 v18, v40, v18, 0 neg_lo:[1,1,0]
	v_dot4_i32_iu8 v38, v40, v38, 0 neg_lo:[1,1,0]
	;; [unrolled: 1-line block ×5, first 2 shown]
	v_and_b32_e32 v17, 0xf0f0f0f, v17
	v_and_b32_e32 v29, 0x10000000, v29
	v_or3_b32 v48, v57, v56, v58
	v_or3_b32 v34, v45, v55, v52
	v_dot4_i32_iu8 v14, v16, v14, v18 neg_lo:[1,1,0]
	v_dot4_i32_iu8 v18, v16, v30, v38 neg_lo:[1,1,0]
	s_wait_loadcnt 0x1
	v_dot4_i32_iu8 v20, v16, v26, v20 neg_lo:[1,1,0]
	v_lshrrev_b32_e32 v60, 16, v35
	s_wait_loadcnt 0x0
	v_dot4_i32_iu8 v22, v16, v32, v22 neg_lo:[1,1,0]
	v_dot4_i32_iu8 v16, v16, v36, v24 neg_lo:[1,1,0]
	v_lshrrev_b32_e32 v61, 16, v41
	v_or3_b32 v17, v48, v29, v17
	v_dot4_i32_iu8 v14, v34, v19, v14 neg_lo:[1,1,0]
	v_dot4_i32_iu8 v18, v34, v39, v18 neg_lo:[1,1,0]
	;; [unrolled: 1-line block ×3, first 2 shown]
	v_cvt_f32_f16_e32 v59, v60
	v_lshrrev_b32_e32 v60, 16, v42
	v_lshrrev_b32_e32 v62, 16, v43
	;; [unrolled: 1-line block ×3, first 2 shown]
	v_dot4_i32_iu8 v20, v34, v23, v22 neg_lo:[1,1,0]
	v_dot4_i32_iu8 v16, v34, v25, v16 neg_lo:[1,1,0]
	v_cvt_f32_f16_e32 v51, v61
	v_dot4_i32_iu8 v14, v17, v15, v14 neg_lo:[1,1,0]
	v_dot4_i32_iu8 v15, v17, v31, v18 neg_lo:[1,1,0]
	;; [unrolled: 1-line block ×3, first 2 shown]
	v_cvt_f32_f16_e32 v50, v60
	v_cvt_f32_f16_e32 v53, v62
	;; [unrolled: 1-line block ×3, first 2 shown]
	v_dot4_i32_iu8 v19, v17, v33, v20 neg_lo:[1,1,0]
	v_dot4_i32_iu8 v16, v17, v37, v16 neg_lo:[1,1,0]
	v_mul_f32_e32 v44, 0.5, v51
	v_cvt_f32_i32_e32 v17, v18
	v_mul_f32_e32 v49, 0.5, v59
	v_mul_f32_e32 v29, 0.5, v50
	v_dual_mul_f32 v45, 0.5, v53 :: v_dual_mul_f32 v46, 0.5, v54
	v_cvt_f32_i32_e32 v14, v14
	v_cvt_f32_i32_e32 v15, v15
	;; [unrolled: 1-line block ×4, first 2 shown]
	v_fma_mix_f32 v17, v17, v41, v44 op_sel_hi:[0,1,0]
	v_add_nc_u32_e32 v8, 16, v8
	v_fma_mix_f32 v14, v14, v35, v49 op_sel_hi:[0,1,0]
	v_fma_mix_f32 v15, v15, v42, v29 op_sel_hi:[0,1,0]
	;; [unrolled: 1-line block ×4, first 2 shown]
	v_add_f32_e32 v5, v5, v17
	v_cmp_le_u32_e32 vcc_lo, s22, v8
	v_add_f32_e32 v9, v9, v14
	v_dual_add_f32 v7, v7, v15 :: v_dual_add_f32 v4, v4, v18
	v_add_f32_e32 v2, v2, v16
	s_or_b32 s3, vcc_lo, s3
	s_wait_alu 0xfffe
	s_and_not1_b32 exec_lo, exec_lo, s3
	s_cbranch_execnz .LBB56_2
; %bb.3:
	s_or_b32 exec_lo, exec_lo, s3
.LBB56_4:
	s_delay_alu instid0(SALU_CYCLE_1)
	s_or_b32 exec_lo, exec_lo, s21
	s_mov_b32 s3, 0
	; wave barrier
	global_inv scope:SCOPE_SE
	s_mov_b32 s2, exec_lo
	v_cmpx_eq_u32_e32 0, v6
	s_cbranch_execz .LBB56_15
; %bb.5:
	v_mbcnt_lo_u32_b32 v10, -1, 0
	s_load_b64 s[0:1], s[0:1], 0x38
	s_mul_i32 s2, s10, s19
	s_mul_i32 s4, s18, s20
	s_wait_alu 0xfffe
	s_add_co_i32 s2, s2, ttmp9
	v_xor_b32_e32 v0, 16, v10
	v_xor_b32_e32 v1, 8, v10
	s_wait_alu 0xfffe
	s_add_co_i32 s2, s2, s4
	s_wait_alu 0xfffe
	s_lshl_b64 s[2:3], s[2:3], 2
	v_cmp_gt_i32_e32 vcc_lo, 32, v0
	s_wait_alu 0xfffd
	v_cndmask_b32_e32 v0, v10, v0, vcc_lo
	v_cmp_gt_i32_e32 vcc_lo, 32, v1
	s_wait_alu 0xfffd
	v_cndmask_b32_e32 v1, v10, v1, vcc_lo
	s_wait_kmcnt 0x0
	s_wait_alu 0xfffe
	s_add_nc_u64 s[0:1], s[0:1], s[2:3]
	s_delay_alu instid0(VALU_DEP_1)
	v_lshlrev_b32_e32 v1, 2, v1
	v_lshlrev_b32_e32 v0, 2, v0
	ds_bpermute_b32 v6, v0, v9
	s_wait_dscnt 0x0
	v_add_f32_e32 v8, v9, v6
	v_xor_b32_e32 v6, 4, v10
	ds_bpermute_b32 v9, v1, v8
	v_cmp_gt_i32_e32 vcc_lo, 32, v6
	s_wait_dscnt 0x0
	s_wait_alu 0xfffd
	v_dual_add_f32 v9, v8, v9 :: v_dual_cndmask_b32 v6, v10, v6
	v_xor_b32_e32 v8, 2, v10
	s_delay_alu instid0(VALU_DEP_2) | instskip(NEXT) | instid1(VALU_DEP_2)
	v_lshlrev_b32_e32 v6, 2, v6
	v_cmp_gt_i32_e32 vcc_lo, 32, v8
	ds_bpermute_b32 v11, v6, v9
	s_wait_dscnt 0x0
	s_wait_alu 0xfffd
	v_dual_cndmask_b32 v8, v10, v8 :: v_dual_add_f32 v11, v9, v11
	v_xor_b32_e32 v9, 1, v10
	s_delay_alu instid0(VALU_DEP_1) | instskip(SKIP_3) | instid1(VALU_DEP_2)
	v_cmp_gt_i32_e32 vcc_lo, 32, v9
	s_wait_alu 0xfffd
	v_cndmask_b32_e32 v9, v10, v9, vcc_lo
	v_cmp_eq_u32_e32 vcc_lo, 0, v3
	v_lshlrev_b32_e32 v9, 2, v9
	v_lshlrev_b32_e32 v8, 2, v8
	ds_bpermute_b32 v12, v8, v11
	s_wait_dscnt 0x0
	v_add_f32_e32 v10, v11, v12
	ds_bpermute_b32 v11, v9, v10
	s_and_saveexec_b32 s2, vcc_lo
	s_cbranch_execz .LBB56_7
; %bb.6:
	s_wait_dscnt 0x0
	v_dual_add_f32 v3, v10, v11 :: v_dual_mov_b32 v10, 0
	global_store_b32 v10, v3, s[0:1]
.LBB56_7:
	s_wait_alu 0xfffe
	s_or_b32 exec_lo, exec_lo, s2
	ds_bpermute_b32 v3, v0, v7
	s_wait_dscnt 0x0
	v_add_f32_e32 v3, v7, v3
	ds_bpermute_b32 v7, v1, v3
	s_wait_dscnt 0x0
	v_add_f32_e32 v3, v3, v7
	;; [unrolled: 3-line block ×4, first 2 shown]
	ds_bpermute_b32 v7, v9, v3
	s_and_saveexec_b32 s2, vcc_lo
	s_cbranch_execz .LBB56_9
; %bb.8:
	s_mov_b32 s7, 0
	s_wait_dscnt 0x0
	v_add_f32_e32 v3, v3, v7
	v_mov_b32_e32 v7, 0
	s_wait_alu 0xfffe
	s_lshl_b64 s[4:5], s[6:7], 2
	s_wait_alu 0xfffe
	s_add_nc_u64 s[4:5], s[0:1], s[4:5]
	global_store_b32 v7, v3, s[4:5]
.LBB56_9:
	s_wait_alu 0xfffe
	s_or_b32 exec_lo, exec_lo, s2
	ds_bpermute_b32 v3, v0, v5
	s_wait_dscnt 0x0
	v_add_f32_e32 v3, v5, v3
	ds_bpermute_b32 v5, v1, v3
	s_wait_dscnt 0x0
	v_add_f32_e32 v3, v3, v5
	;; [unrolled: 3-line block ×4, first 2 shown]
	ds_bpermute_b32 v5, v9, v3
	s_and_saveexec_b32 s2, vcc_lo
	s_cbranch_execz .LBB56_11
; %bb.10:
	s_lshl_b32 s4, s6, 1
	s_mov_b32 s5, 0
	s_wait_dscnt 0x0
	v_add_f32_e32 v3, v3, v5
	v_mov_b32_e32 v5, 0
	s_wait_alu 0xfffe
	s_lshl_b64 s[4:5], s[4:5], 2
	s_wait_alu 0xfffe
	s_add_nc_u64 s[4:5], s[0:1], s[4:5]
	global_store_b32 v5, v3, s[4:5]
.LBB56_11:
	s_wait_alu 0xfffe
	s_or_b32 exec_lo, exec_lo, s2
	ds_bpermute_b32 v3, v0, v4
	s_wait_dscnt 0x0
	v_add_f32_e32 v3, v4, v3
	ds_bpermute_b32 v4, v1, v3
	s_wait_dscnt 0x0
	v_add_f32_e32 v3, v3, v4
	;; [unrolled: 3-line block ×4, first 2 shown]
	ds_bpermute_b32 v4, v9, v3
	s_and_saveexec_b32 s2, vcc_lo
	s_cbranch_execz .LBB56_13
; %bb.12:
	s_mul_i32 s4, s6, 3
	s_mov_b32 s5, 0
	s_wait_dscnt 0x0
	v_dual_add_f32 v3, v3, v4 :: v_dual_mov_b32 v4, 0
	s_wait_alu 0xfffe
	s_lshl_b64 s[4:5], s[4:5], 2
	s_wait_alu 0xfffe
	s_add_nc_u64 s[4:5], s[0:1], s[4:5]
	global_store_b32 v4, v3, s[4:5]
.LBB56_13:
	s_wait_alu 0xfffe
	s_or_b32 exec_lo, exec_lo, s2
	ds_bpermute_b32 v0, v0, v2
	s_wait_dscnt 0x0
	v_add_f32_e32 v0, v2, v0
	ds_bpermute_b32 v1, v1, v0
	s_wait_dscnt 0x0
	v_add_f32_e32 v0, v0, v1
	;; [unrolled: 3-line block ×4, first 2 shown]
	ds_bpermute_b32 v1, v9, v0
	s_and_b32 exec_lo, exec_lo, vcc_lo
	s_cbranch_execz .LBB56_15
; %bb.14:
	s_lshl_b32 s2, s6, 2
	s_mov_b32 s3, 0
	s_wait_dscnt 0x0
	v_dual_add_f32 v0, v0, v1 :: v_dual_mov_b32 v1, 0
	s_wait_alu 0xfffe
	s_lshl_b64 s[2:3], s[2:3], 2
	s_wait_alu 0xfffe
	s_add_nc_u64 s[0:1], s[0:1], s[2:3]
	global_store_b32 v1, v0, s[0:1]
.LBB56_15:
	s_endpgm
	.section	.rodata,"a",@progbits
	.p2align	6, 0x0
	.amdhsa_kernel _ZL13mul_mat_vec_qIL9ggml_type7ELi5ELb0ELb0EEvPKvS2_PKi31ggml_cuda_mm_fusion_args_devicePfj15HIP_vector_typeIjLj3EEjjjS8_jjjS8_jjjj
		.amdhsa_group_segment_fixed_size 0
		.amdhsa_private_segment_fixed_size 0
		.amdhsa_kernarg_size 144
		.amdhsa_user_sgpr_count 2
		.amdhsa_user_sgpr_dispatch_ptr 0
		.amdhsa_user_sgpr_queue_ptr 0
		.amdhsa_user_sgpr_kernarg_segment_ptr 1
		.amdhsa_user_sgpr_dispatch_id 0
		.amdhsa_user_sgpr_private_segment_size 0
		.amdhsa_wavefront_size32 1
		.amdhsa_uses_dynamic_stack 0
		.amdhsa_enable_private_segment 0
		.amdhsa_system_sgpr_workgroup_id_x 1
		.amdhsa_system_sgpr_workgroup_id_y 1
		.amdhsa_system_sgpr_workgroup_id_z 1
		.amdhsa_system_sgpr_workgroup_info 0
		.amdhsa_system_vgpr_workitem_id 1
		.amdhsa_next_free_vgpr 64
		.amdhsa_next_free_sgpr 30
		.amdhsa_reserve_vcc 1
		.amdhsa_float_round_mode_32 0
		.amdhsa_float_round_mode_16_64 0
		.amdhsa_float_denorm_mode_32 3
		.amdhsa_float_denorm_mode_16_64 3
		.amdhsa_fp16_overflow 0
		.amdhsa_workgroup_processor_mode 1
		.amdhsa_memory_ordered 1
		.amdhsa_forward_progress 1
		.amdhsa_inst_pref_size 18
		.amdhsa_round_robin_scheduling 0
		.amdhsa_exception_fp_ieee_invalid_op 0
		.amdhsa_exception_fp_denorm_src 0
		.amdhsa_exception_fp_ieee_div_zero 0
		.amdhsa_exception_fp_ieee_overflow 0
		.amdhsa_exception_fp_ieee_underflow 0
		.amdhsa_exception_fp_ieee_inexact 0
		.amdhsa_exception_int_div_zero 0
	.end_amdhsa_kernel
	.section	.text._ZL13mul_mat_vec_qIL9ggml_type7ELi5ELb0ELb0EEvPKvS2_PKi31ggml_cuda_mm_fusion_args_devicePfj15HIP_vector_typeIjLj3EEjjjS8_jjjS8_jjjj,"axG",@progbits,_ZL13mul_mat_vec_qIL9ggml_type7ELi5ELb0ELb0EEvPKvS2_PKi31ggml_cuda_mm_fusion_args_devicePfj15HIP_vector_typeIjLj3EEjjjS8_jjjS8_jjjj,comdat
.Lfunc_end56:
	.size	_ZL13mul_mat_vec_qIL9ggml_type7ELi5ELb0ELb0EEvPKvS2_PKi31ggml_cuda_mm_fusion_args_devicePfj15HIP_vector_typeIjLj3EEjjjS8_jjjS8_jjjj, .Lfunc_end56-_ZL13mul_mat_vec_qIL9ggml_type7ELi5ELb0ELb0EEvPKvS2_PKi31ggml_cuda_mm_fusion_args_devicePfj15HIP_vector_typeIjLj3EEjjjS8_jjjS8_jjjj
                                        ; -- End function
	.set _ZL13mul_mat_vec_qIL9ggml_type7ELi5ELb0ELb0EEvPKvS2_PKi31ggml_cuda_mm_fusion_args_devicePfj15HIP_vector_typeIjLj3EEjjjS8_jjjS8_jjjj.num_vgpr, 64
	.set _ZL13mul_mat_vec_qIL9ggml_type7ELi5ELb0ELb0EEvPKvS2_PKi31ggml_cuda_mm_fusion_args_devicePfj15HIP_vector_typeIjLj3EEjjjS8_jjjS8_jjjj.num_agpr, 0
	.set _ZL13mul_mat_vec_qIL9ggml_type7ELi5ELb0ELb0EEvPKvS2_PKi31ggml_cuda_mm_fusion_args_devicePfj15HIP_vector_typeIjLj3EEjjjS8_jjjS8_jjjj.numbered_sgpr, 30
	.set _ZL13mul_mat_vec_qIL9ggml_type7ELi5ELb0ELb0EEvPKvS2_PKi31ggml_cuda_mm_fusion_args_devicePfj15HIP_vector_typeIjLj3EEjjjS8_jjjS8_jjjj.num_named_barrier, 0
	.set _ZL13mul_mat_vec_qIL9ggml_type7ELi5ELb0ELb0EEvPKvS2_PKi31ggml_cuda_mm_fusion_args_devicePfj15HIP_vector_typeIjLj3EEjjjS8_jjjS8_jjjj.private_seg_size, 0
	.set _ZL13mul_mat_vec_qIL9ggml_type7ELi5ELb0ELb0EEvPKvS2_PKi31ggml_cuda_mm_fusion_args_devicePfj15HIP_vector_typeIjLj3EEjjjS8_jjjS8_jjjj.uses_vcc, 1
	.set _ZL13mul_mat_vec_qIL9ggml_type7ELi5ELb0ELb0EEvPKvS2_PKi31ggml_cuda_mm_fusion_args_devicePfj15HIP_vector_typeIjLj3EEjjjS8_jjjS8_jjjj.uses_flat_scratch, 0
	.set _ZL13mul_mat_vec_qIL9ggml_type7ELi5ELb0ELb0EEvPKvS2_PKi31ggml_cuda_mm_fusion_args_devicePfj15HIP_vector_typeIjLj3EEjjjS8_jjjS8_jjjj.has_dyn_sized_stack, 0
	.set _ZL13mul_mat_vec_qIL9ggml_type7ELi5ELb0ELb0EEvPKvS2_PKi31ggml_cuda_mm_fusion_args_devicePfj15HIP_vector_typeIjLj3EEjjjS8_jjjS8_jjjj.has_recursion, 0
	.set _ZL13mul_mat_vec_qIL9ggml_type7ELi5ELb0ELb0EEvPKvS2_PKi31ggml_cuda_mm_fusion_args_devicePfj15HIP_vector_typeIjLj3EEjjjS8_jjjS8_jjjj.has_indirect_call, 0
	.section	.AMDGPU.csdata,"",@progbits
; Kernel info:
; codeLenInByte = 2296
; TotalNumSgprs: 32
; NumVgprs: 64
; ScratchSize: 0
; MemoryBound: 0
; FloatMode: 240
; IeeeMode: 1
; LDSByteSize: 0 bytes/workgroup (compile time only)
; SGPRBlocks: 0
; VGPRBlocks: 7
; NumSGPRsForWavesPerEU: 32
; NumVGPRsForWavesPerEU: 64
; Occupancy: 16
; WaveLimiterHint : 0
; COMPUTE_PGM_RSRC2:SCRATCH_EN: 0
; COMPUTE_PGM_RSRC2:USER_SGPR: 2
; COMPUTE_PGM_RSRC2:TRAP_HANDLER: 0
; COMPUTE_PGM_RSRC2:TGID_X_EN: 1
; COMPUTE_PGM_RSRC2:TGID_Y_EN: 1
; COMPUTE_PGM_RSRC2:TGID_Z_EN: 1
; COMPUTE_PGM_RSRC2:TIDIG_COMP_CNT: 1
	.section	.text._ZL13mul_mat_vec_qIL9ggml_type7ELi6ELb0ELb0EEvPKvS2_PKi31ggml_cuda_mm_fusion_args_devicePfj15HIP_vector_typeIjLj3EEjjjS8_jjjS8_jjjj,"axG",@progbits,_ZL13mul_mat_vec_qIL9ggml_type7ELi6ELb0ELb0EEvPKvS2_PKi31ggml_cuda_mm_fusion_args_devicePfj15HIP_vector_typeIjLj3EEjjjS8_jjjS8_jjjj,comdat
	.globl	_ZL13mul_mat_vec_qIL9ggml_type7ELi6ELb0ELb0EEvPKvS2_PKi31ggml_cuda_mm_fusion_args_devicePfj15HIP_vector_typeIjLj3EEjjjS8_jjjS8_jjjj ; -- Begin function _ZL13mul_mat_vec_qIL9ggml_type7ELi6ELb0ELb0EEvPKvS2_PKi31ggml_cuda_mm_fusion_args_devicePfj15HIP_vector_typeIjLj3EEjjjS8_jjjS8_jjjj
	.p2align	8
	.type	_ZL13mul_mat_vec_qIL9ggml_type7ELi6ELb0ELb0EEvPKvS2_PKi31ggml_cuda_mm_fusion_args_devicePfj15HIP_vector_typeIjLj3EEjjjS8_jjjS8_jjjj,@function
_ZL13mul_mat_vec_qIL9ggml_type7ELi6ELb0ELb0EEvPKvS2_PKi31ggml_cuda_mm_fusion_args_devicePfj15HIP_vector_typeIjLj3EEjjjS8_jjjS8_jjjj: ; @_ZL13mul_mat_vec_qIL9ggml_type7ELi6ELb0ELb0EEvPKvS2_PKi31ggml_cuda_mm_fusion_args_devicePfj15HIP_vector_typeIjLj3EEjjjS8_jjjS8_jjjj
; %bb.0:
	v_bfe_u32 v7, v0, 10, 10
	s_clause 0x5
	s_load_b32 s2, s[0:1], 0x40
	s_load_b96 s[16:18], s[0:1], 0x80
	s_load_b128 s[4:7], s[0:1], 0x50
	s_load_b32 s23, s[0:1], 0x60
	s_load_b128 s[8:11], s[0:1], 0x68
	s_load_b32 s24, s[0:1], 0x78
	v_dual_mov_b32 v3, 0 :: v_dual_and_b32 v4, 0x3ff, v0
	v_dual_mov_b32 v5, 0 :: v_dual_lshlrev_b32 v0, 5, v7
	v_mov_b32_e32 v6, 0
	v_mov_b32_e32 v8, 0
	;; [unrolled: 1-line block ×3, first 2 shown]
	s_delay_alu instid0(VALU_DEP_4) | instskip(SKIP_3) | instid1(VALU_DEP_1)
	v_add_nc_u16 v0, v0, v4
	s_and_b32 s19, ttmp7, 0xffff
	s_lshr_b32 s20, ttmp7, 16
	s_mov_b32 s21, exec_lo
	v_lshrrev_b16 v0, 1, v0
	s_delay_alu instid0(VALU_DEP_1)
	v_dual_mov_b32 v2, 0 :: v_dual_and_b32 v9, 0xffff, v0
	s_wait_kmcnt 0x0
	s_lshr_b32 s22, s2, 5
	s_delay_alu instid0(VALU_DEP_1) | instid1(SALU_CYCLE_1)
	v_cmpx_gt_u32_e64 s22, v9
	s_cbranch_execz .LBB57_4
; %bb.1:
	s_load_b128 s[12:15], s[0:1], 0x0
	v_dual_mov_b32 v2, 0 :: v_dual_lshlrev_b32 v1, 1, v4
	s_mul_i32 s2, s17, s20
	s_mov_b32 s3, 0
	s_mul_hi_u32 s7, s7, s19
	s_mul_hi_u32 s11, s11, s20
	s_mul_u64 s[26:27], s[2:3], 36
	s_mul_i32 s2, s9, s19
	s_add_co_i32 s7, s19, s7
	v_dual_mov_b32 v8, 0 :: v_dual_and_b32 v5, 2, v1
	s_add_co_i32 s9, s20, s11
	s_mul_u64 s[28:29], s[2:3], 36
	s_lshr_b32 s2, s7, s23
	v_dual_mov_b32 v6, 0 :: v_dual_and_b32 v3, 1, v4
	v_and_b32_e32 v0, 0xffff, v0
	s_lshr_b32 s7, s9, s24
	s_mul_i32 s2, s2, s8
	s_wait_kmcnt 0x0
	s_add_nc_u64 s[8:9], s[14:15], s[26:27]
	v_dual_mov_b32 v10, 0 :: v_dual_lshlrev_b32 v11, 2, v5
	s_add_nc_u64 s[8:9], s[8:9], s[28:29]
	v_lshlrev_b32_e32 v13, 3, v3
	v_mov_b32_e32 v3, 0
	v_mad_co_u64_u32 v[0:1], null, v0, 36, s[8:9]
	s_mul_i32 s4, s4, ttmp9
	v_or_b32_e32 v12, 4, v11
	v_dual_mov_b32 v5, 0 :: v_dual_lshlrev_b32 v14, 2, v5
	s_mul_i32 s7, s7, s16
	s_add_co_i32 s2, s2, s4
	s_lshl_b32 s4, s5, 1
	s_add_co_i32 s2, s7, s2
	s_mul_i32 s7, s5, 3
	s_lshl_b32 s11, s5, 2
	s_mul_i32 s14, s5, 5
.LBB57_2:                               ; =>This Inner Loop Header: Depth=1
	v_add_nc_u32_e32 v17, s2, v9
	v_add_co_u32 v15, vcc_lo, v0, v13
	v_add_nc_u32_e32 v21, s5, v9
	s_wait_alu 0xfffd
	v_add_co_ci_u32_e64 v16, null, 0, v1, vcc_lo
	v_mad_co_i64_i32 v[17:18], null, v17, 24, s[12:13]
	v_add_nc_u32_e32 v23, s4, v9
	v_add_nc_u32_e32 v25, s7, v9
	v_mad_co_u64_u32 v[21:22], null, v21, 36, s[8:9]
	global_load_b32 v45, v[0:1], off
	v_add_nc_u32_e32 v27, s11, v9
	s_clause 0x1
	global_load_b64 v[19:20], v[15:16], off offset:4
	global_load_b64 v[15:16], v[15:16], off offset:20
	global_load_b64 v[31:32], v[17:18], off
	v_mad_co_u64_u32 v[23:24], null, v23, 36, s[8:9]
	v_add_nc_u32_e32 v29, s14, v9
	v_mad_co_u64_u32 v[25:26], null, v25, 36, s[8:9]
	v_mad_co_u64_u32 v[27:28], null, v27, 36, s[8:9]
	v_add_co_u32 v17, vcc_lo, v17, v14
	s_delay_alu instid0(VALU_DEP_4)
	v_mad_co_u64_u32 v[29:30], null, v29, 36, s[8:9]
	s_wait_alu 0xfffd
	v_add_co_ci_u32_e64 v18, null, 0, v18, vcc_lo
	v_add_co_u32 v33, vcc_lo, v21, v14
	s_wait_alu 0xfffd
	v_add_co_ci_u32_e64 v34, null, 0, v22, vcc_lo
	v_add_co_u32 v35, vcc_lo, v23, v14
	s_wait_alu 0xfffd
	v_add_co_ci_u32_e64 v36, null, 0, v24, vcc_lo
	v_add_co_u32 v37, vcc_lo, v25, v14
	s_wait_alu 0xfffd
	v_add_co_ci_u32_e64 v38, null, 0, v26, vcc_lo
	v_add_co_u32 v39, vcc_lo, v27, v14
	s_wait_alu 0xfffd
	v_add_co_ci_u32_e64 v40, null, 0, v28, vcc_lo
	v_add_co_u32 v41, vcc_lo, v29, v14
	s_wait_alu 0xfffd
	v_add_co_ci_u32_e64 v42, null, 0, v30, vcc_lo
	global_load_b64 v[17:18], v[17:18], off offset:8
	s_clause 0xe
	global_load_b64 v[43:44], v[33:34], off offset:20
	global_load_b32 v46, v[23:24], off
	global_load_b32 v47, v[21:22], off
	global_load_b32 v48, v[25:26], off
	global_load_b64 v[21:22], v[39:40], off offset:20
	global_load_b32 v49, v[27:28], off
	global_load_b64 v[23:24], v[41:42], off offset:20
	global_load_b32 v50, v[29:30], off
	global_load_b64 v[25:26], v[33:34], off offset:4
	global_load_b64 v[27:28], v[35:36], off offset:4
	;; [unrolled: 1-line block ×7, first 2 shown]
	v_add_nc_u32_e32 v9, 16, v9
	v_add_co_u32 v0, vcc_lo, 0x240, v0
	s_wait_alu 0xfffd
	v_add_co_ci_u32_e64 v1, null, 0, v1, vcc_lo
	s_delay_alu instid0(VALU_DEP_3)
	v_cmp_le_u32_e32 vcc_lo, s22, v9
	s_or_b32 s3, vcc_lo, s3
	s_wait_loadcnt 0x10
	v_ashrrev_i32_e32 v41, v11, v32
	v_ashrrev_i32_e32 v32, v12, v32
	v_pk_mul_f16 v42, v31, v45
	s_delay_alu instid0(VALU_DEP_3)
	v_lshlrev_b32_e32 v51, 4, v41
	v_lshlrev_b32_e32 v52, 11, v41
	;; [unrolled: 1-line block ×4, first 2 shown]
	v_lshrrev_b32_e32 v55, 12, v41
	v_lshrrev_b32_e32 v56, 5, v41
	v_lshlrev_b32_e32 v57, 2, v41
	v_lshlrev_b32_e32 v41, 9, v41
	;; [unrolled: 1-line block ×6, first 2 shown]
	v_lshrrev_b32_e32 v63, 12, v32
	v_lshrrev_b32_e32 v64, 5, v32
	s_wait_loadcnt 0xf
	v_and_b32_e32 v45, 0xf0f0f0f, v17
	v_lshrrev_b32_e32 v17, 4, v17
	s_wait_loadcnt 0xd
	v_pk_mul_f16 v46, v31, v46
	s_wait_loadcnt 0xc
	v_pk_mul_f16 v47, v31, v47
	;; [unrolled: 2-line block ×3, first 2 shown]
	v_lshlrev_b32_e32 v65, 2, v32
	s_wait_loadcnt 0x9
	v_pk_mul_f16 v49, v31, v49
	v_lshrrev_b32_e32 v66, 16, v42
	s_wait_loadcnt 0x7
	v_pk_mul_f16 v31, v31, v50
	v_and_b32_e32 v50, 16, v51
	v_and_b32_e32 v51, 0x1000, v52
	;; [unrolled: 1-line block ×7, first 2 shown]
	v_or3_b32 v45, v50, v45, v51
	v_and_b32_e32 v17, 0xf0f0f0f, v17
	v_and_b32_e32 v41, 0x10000000, v41
	;; [unrolled: 1-line block ×5, first 2 shown]
	v_or3_b32 v50, v55, v54, v56
	v_or3_b32 v45, v45, v52, v53
	v_lshlrev_b32_e32 v32, 9, v32
	v_and_b32_e32 v61, 0x10000000, v62
	v_and_b32_e32 v62, 16, v63
	;; [unrolled: 1-line block ×4, first 2 shown]
	v_cvt_f32_f16_e32 v65, v66
	v_and_b32_e32 v58, 0xf0f0f0f, v18
	v_lshrrev_b32_e32 v18, 4, v18
	v_or3_b32 v51, v59, v57, v60
	v_or3_b32 v17, v50, v41, v17
	v_dot4_i32_iu8 v19, v45, v19, 0 neg_lo:[1,1,0]
	s_wait_loadcnt 0x6
	v_dot4_i32_iu8 v25, v45, v25, 0 neg_lo:[1,1,0]
	s_wait_loadcnt 0x5
	;; [unrolled: 2-line block ×5, first 2 shown]
	v_dot4_i32_iu8 v39, v45, v39, 0 neg_lo:[1,1,0]
	v_and_b32_e32 v18, 0xf0f0f0f, v18
	v_and_b32_e32 v32, 0x10000000, v32
	v_or3_b32 v54, v63, v62, v64
	v_mul_f32_e32 v55, 0.5, v65
	v_or3_b32 v41, v51, v61, v58
	v_dot4_i32_iu8 v15, v17, v15, v19 neg_lo:[1,1,0]
	v_dot4_i32_iu8 v19, v17, v43, v25 neg_lo:[1,1,0]
	s_wait_loadcnt 0x1
	v_dot4_i32_iu8 v25, v17, v35, v27 neg_lo:[1,1,0]
	s_wait_loadcnt 0x0
	v_dot4_i32_iu8 v27, v17, v37, v29 neg_lo:[1,1,0]
	v_dot4_i32_iu8 v21, v17, v21, v33 neg_lo:[1,1,0]
	;; [unrolled: 1-line block ×3, first 2 shown]
	v_lshrrev_b32_e32 v66, 16, v47
	v_lshrrev_b32_e32 v67, 16, v46
	;; [unrolled: 1-line block ×5, first 2 shown]
	v_or3_b32 v18, v54, v32, v18
	v_dot4_i32_iu8 v15, v41, v20, v15 neg_lo:[1,1,0]
	v_dot4_i32_iu8 v19, v41, v26, v19 neg_lo:[1,1,0]
	;; [unrolled: 1-line block ×6, first 2 shown]
	v_cvt_f32_f16_e32 v56, v66
	v_cvt_f32_f16_e32 v57, v67
	;; [unrolled: 1-line block ×5, first 2 shown]
	v_dot4_i32_iu8 v15, v18, v16, v15 neg_lo:[1,1,0]
	v_dot4_i32_iu8 v16, v18, v44, v19 neg_lo:[1,1,0]
	;; [unrolled: 1-line block ×6, first 2 shown]
	v_mul_f32_e32 v32, 0.5, v56
	v_dual_mul_f32 v50, 0.5, v57 :: v_dual_mul_f32 v51, 0.5, v59
	v_dual_mul_f32 v52, 0.5, v60 :: v_dual_mul_f32 v53, 0.5, v62
	v_cvt_f32_i32_e32 v15, v15
	v_cvt_f32_i32_e32 v16, v16
	v_cvt_f32_i32_e32 v18, v19
	v_cvt_f32_i32_e32 v19, v20
	v_cvt_f32_i32_e32 v20, v21
	v_cvt_f32_i32_e32 v17, v17
	v_fma_mix_f32 v15, v15, v42, v55 op_sel_hi:[0,1,0]
	v_fma_mix_f32 v16, v16, v47, v32 op_sel_hi:[0,1,0]
	;; [unrolled: 1-line block ×6, first 2 shown]
	v_add_f32_e32 v10, v10, v15
	v_add_f32_e32 v8, v8, v16
	v_dual_add_f32 v6, v6, v18 :: v_dual_add_f32 v5, v5, v19
	s_delay_alu instid0(VALU_DEP_4)
	v_dual_add_f32 v3, v3, v20 :: v_dual_add_f32 v2, v2, v17
	s_wait_alu 0xfffe
	s_and_not1_b32 exec_lo, exec_lo, s3
	s_cbranch_execnz .LBB57_2
; %bb.3:
	s_or_b32 exec_lo, exec_lo, s3
.LBB57_4:
	s_delay_alu instid0(SALU_CYCLE_1)
	s_or_b32 exec_lo, exec_lo, s21
	s_mov_b32 s3, 0
	; wave barrier
	global_inv scope:SCOPE_SE
	s_mov_b32 s2, exec_lo
	v_cmpx_eq_u32_e32 0, v7
	s_cbranch_execz .LBB57_17
; %bb.5:
	v_mbcnt_lo_u32_b32 v11, -1, 0
	s_load_b64 s[0:1], s[0:1], 0x38
	s_mul_i32 s2, s10, s19
	s_mul_i32 s4, s18, s20
	s_wait_alu 0xfffe
	s_add_co_i32 s2, s2, ttmp9
	v_xor_b32_e32 v0, 16, v11
	v_xor_b32_e32 v1, 8, v11
	s_wait_alu 0xfffe
	s_add_co_i32 s2, s2, s4
	s_wait_alu 0xfffe
	s_lshl_b64 s[2:3], s[2:3], 2
	v_cmp_gt_i32_e32 vcc_lo, 32, v0
	s_wait_alu 0xfffd
	v_cndmask_b32_e32 v0, v11, v0, vcc_lo
	v_cmp_gt_i32_e32 vcc_lo, 32, v1
	s_wait_alu 0xfffd
	v_cndmask_b32_e32 v1, v11, v1, vcc_lo
	s_wait_kmcnt 0x0
	s_wait_alu 0xfffe
	s_add_nc_u64 s[0:1], s[0:1], s[2:3]
	s_delay_alu instid0(VALU_DEP_1)
	v_lshlrev_b32_e32 v1, 2, v1
	v_lshlrev_b32_e32 v0, 2, v0
	ds_bpermute_b32 v7, v0, v10
	s_wait_dscnt 0x0
	v_add_f32_e32 v9, v10, v7
	v_xor_b32_e32 v7, 4, v11
	ds_bpermute_b32 v10, v1, v9
	v_cmp_gt_i32_e32 vcc_lo, 32, v7
	s_wait_dscnt 0x0
	s_wait_alu 0xfffd
	v_dual_add_f32 v10, v9, v10 :: v_dual_cndmask_b32 v7, v11, v7
	v_xor_b32_e32 v9, 2, v11
	s_delay_alu instid0(VALU_DEP_2) | instskip(NEXT) | instid1(VALU_DEP_2)
	v_lshlrev_b32_e32 v7, 2, v7
	v_cmp_gt_i32_e32 vcc_lo, 32, v9
	ds_bpermute_b32 v12, v7, v10
	s_wait_dscnt 0x0
	s_wait_alu 0xfffd
	v_dual_cndmask_b32 v9, v11, v9 :: v_dual_add_f32 v12, v10, v12
	v_xor_b32_e32 v10, 1, v11
	s_delay_alu instid0(VALU_DEP_1) | instskip(SKIP_3) | instid1(VALU_DEP_2)
	v_cmp_gt_i32_e32 vcc_lo, 32, v10
	s_wait_alu 0xfffd
	v_cndmask_b32_e32 v10, v11, v10, vcc_lo
	v_cmp_eq_u32_e32 vcc_lo, 0, v4
	v_lshlrev_b32_e32 v10, 2, v10
	v_lshlrev_b32_e32 v9, 2, v9
	ds_bpermute_b32 v13, v9, v12
	s_wait_dscnt 0x0
	v_add_f32_e32 v11, v12, v13
	ds_bpermute_b32 v12, v10, v11
	s_and_saveexec_b32 s2, vcc_lo
	s_cbranch_execz .LBB57_7
; %bb.6:
	s_wait_dscnt 0x0
	v_dual_add_f32 v4, v11, v12 :: v_dual_mov_b32 v11, 0
	global_store_b32 v11, v4, s[0:1]
.LBB57_7:
	s_wait_alu 0xfffe
	s_or_b32 exec_lo, exec_lo, s2
	ds_bpermute_b32 v4, v0, v8
	s_wait_dscnt 0x0
	v_add_f32_e32 v4, v8, v4
	ds_bpermute_b32 v8, v1, v4
	s_wait_dscnt 0x0
	v_add_f32_e32 v4, v4, v8
	;; [unrolled: 3-line block ×4, first 2 shown]
	ds_bpermute_b32 v8, v10, v4
	s_and_saveexec_b32 s2, vcc_lo
	s_cbranch_execz .LBB57_9
; %bb.8:
	s_mov_b32 s7, 0
	s_wait_dscnt 0x0
	v_add_f32_e32 v4, v4, v8
	v_mov_b32_e32 v8, 0
	s_wait_alu 0xfffe
	s_lshl_b64 s[4:5], s[6:7], 2
	s_wait_alu 0xfffe
	s_add_nc_u64 s[4:5], s[0:1], s[4:5]
	global_store_b32 v8, v4, s[4:5]
.LBB57_9:
	s_wait_alu 0xfffe
	s_or_b32 exec_lo, exec_lo, s2
	ds_bpermute_b32 v4, v0, v6
	s_wait_dscnt 0x0
	v_add_f32_e32 v4, v6, v4
	ds_bpermute_b32 v6, v1, v4
	s_wait_dscnt 0x0
	v_add_f32_e32 v4, v4, v6
	;; [unrolled: 3-line block ×4, first 2 shown]
	ds_bpermute_b32 v6, v10, v4
	s_and_saveexec_b32 s2, vcc_lo
	s_cbranch_execz .LBB57_11
; %bb.10:
	s_lshl_b32 s4, s6, 1
	s_mov_b32 s5, 0
	s_wait_dscnt 0x0
	v_add_f32_e32 v4, v4, v6
	v_mov_b32_e32 v6, 0
	s_wait_alu 0xfffe
	s_lshl_b64 s[4:5], s[4:5], 2
	s_wait_alu 0xfffe
	s_add_nc_u64 s[4:5], s[0:1], s[4:5]
	global_store_b32 v6, v4, s[4:5]
.LBB57_11:
	s_wait_alu 0xfffe
	s_or_b32 exec_lo, exec_lo, s2
	ds_bpermute_b32 v4, v0, v5
	s_wait_dscnt 0x0
	v_add_f32_e32 v4, v5, v4
	ds_bpermute_b32 v5, v1, v4
	s_wait_dscnt 0x0
	v_add_f32_e32 v4, v4, v5
	;; [unrolled: 3-line block ×4, first 2 shown]
	ds_bpermute_b32 v5, v10, v4
	s_and_saveexec_b32 s2, vcc_lo
	s_cbranch_execz .LBB57_13
; %bb.12:
	s_mul_i32 s4, s6, 3
	s_mov_b32 s5, 0
	s_wait_dscnt 0x0
	v_dual_add_f32 v4, v4, v5 :: v_dual_mov_b32 v5, 0
	s_wait_alu 0xfffe
	s_lshl_b64 s[4:5], s[4:5], 2
	s_wait_alu 0xfffe
	s_add_nc_u64 s[4:5], s[0:1], s[4:5]
	global_store_b32 v5, v4, s[4:5]
.LBB57_13:
	s_wait_alu 0xfffe
	s_or_b32 exec_lo, exec_lo, s2
	ds_bpermute_b32 v4, v0, v3
	s_wait_dscnt 0x0
	v_add_f32_e32 v3, v3, v4
	ds_bpermute_b32 v4, v1, v3
	s_wait_dscnt 0x0
	v_add_f32_e32 v3, v3, v4
	;; [unrolled: 3-line block ×4, first 2 shown]
	ds_bpermute_b32 v4, v10, v3
	s_and_saveexec_b32 s2, vcc_lo
	s_cbranch_execz .LBB57_15
; %bb.14:
	s_lshl_b32 s4, s6, 2
	s_mov_b32 s5, 0
	s_wait_dscnt 0x0
	v_dual_add_f32 v3, v3, v4 :: v_dual_mov_b32 v4, 0
	s_wait_alu 0xfffe
	s_lshl_b64 s[4:5], s[4:5], 2
	s_wait_alu 0xfffe
	s_add_nc_u64 s[4:5], s[0:1], s[4:5]
	global_store_b32 v4, v3, s[4:5]
.LBB57_15:
	s_wait_alu 0xfffe
	s_or_b32 exec_lo, exec_lo, s2
	ds_bpermute_b32 v0, v0, v2
	s_wait_dscnt 0x0
	v_add_f32_e32 v0, v2, v0
	ds_bpermute_b32 v1, v1, v0
	s_wait_dscnt 0x0
	v_add_f32_e32 v0, v0, v1
	;; [unrolled: 3-line block ×4, first 2 shown]
	ds_bpermute_b32 v1, v10, v0
	s_and_b32 exec_lo, exec_lo, vcc_lo
	s_cbranch_execz .LBB57_17
; %bb.16:
	s_mul_i32 s2, s6, 5
	s_mov_b32 s3, 0
	s_wait_dscnt 0x0
	v_dual_add_f32 v0, v0, v1 :: v_dual_mov_b32 v1, 0
	s_wait_alu 0xfffe
	s_lshl_b64 s[2:3], s[2:3], 2
	s_wait_alu 0xfffe
	s_add_nc_u64 s[0:1], s[0:1], s[2:3]
	global_store_b32 v1, v0, s[0:1]
.LBB57_17:
	s_endpgm
	.section	.rodata,"a",@progbits
	.p2align	6, 0x0
	.amdhsa_kernel _ZL13mul_mat_vec_qIL9ggml_type7ELi6ELb0ELb0EEvPKvS2_PKi31ggml_cuda_mm_fusion_args_devicePfj15HIP_vector_typeIjLj3EEjjjS8_jjjS8_jjjj
		.amdhsa_group_segment_fixed_size 0
		.amdhsa_private_segment_fixed_size 0
		.amdhsa_kernarg_size 144
		.amdhsa_user_sgpr_count 2
		.amdhsa_user_sgpr_dispatch_ptr 0
		.amdhsa_user_sgpr_queue_ptr 0
		.amdhsa_user_sgpr_kernarg_segment_ptr 1
		.amdhsa_user_sgpr_dispatch_id 0
		.amdhsa_user_sgpr_private_segment_size 0
		.amdhsa_wavefront_size32 1
		.amdhsa_uses_dynamic_stack 0
		.amdhsa_enable_private_segment 0
		.amdhsa_system_sgpr_workgroup_id_x 1
		.amdhsa_system_sgpr_workgroup_id_y 1
		.amdhsa_system_sgpr_workgroup_id_z 1
		.amdhsa_system_sgpr_workgroup_info 0
		.amdhsa_system_vgpr_workitem_id 1
		.amdhsa_next_free_vgpr 71
		.amdhsa_next_free_sgpr 30
		.amdhsa_reserve_vcc 1
		.amdhsa_float_round_mode_32 0
		.amdhsa_float_round_mode_16_64 0
		.amdhsa_float_denorm_mode_32 3
		.amdhsa_float_denorm_mode_16_64 3
		.amdhsa_fp16_overflow 0
		.amdhsa_workgroup_processor_mode 1
		.amdhsa_memory_ordered 1
		.amdhsa_forward_progress 1
		.amdhsa_inst_pref_size 21
		.amdhsa_round_robin_scheduling 0
		.amdhsa_exception_fp_ieee_invalid_op 0
		.amdhsa_exception_fp_denorm_src 0
		.amdhsa_exception_fp_ieee_div_zero 0
		.amdhsa_exception_fp_ieee_overflow 0
		.amdhsa_exception_fp_ieee_underflow 0
		.amdhsa_exception_fp_ieee_inexact 0
		.amdhsa_exception_int_div_zero 0
	.end_amdhsa_kernel
	.section	.text._ZL13mul_mat_vec_qIL9ggml_type7ELi6ELb0ELb0EEvPKvS2_PKi31ggml_cuda_mm_fusion_args_devicePfj15HIP_vector_typeIjLj3EEjjjS8_jjjS8_jjjj,"axG",@progbits,_ZL13mul_mat_vec_qIL9ggml_type7ELi6ELb0ELb0EEvPKvS2_PKi31ggml_cuda_mm_fusion_args_devicePfj15HIP_vector_typeIjLj3EEjjjS8_jjjS8_jjjj,comdat
.Lfunc_end57:
	.size	_ZL13mul_mat_vec_qIL9ggml_type7ELi6ELb0ELb0EEvPKvS2_PKi31ggml_cuda_mm_fusion_args_devicePfj15HIP_vector_typeIjLj3EEjjjS8_jjjS8_jjjj, .Lfunc_end57-_ZL13mul_mat_vec_qIL9ggml_type7ELi6ELb0ELb0EEvPKvS2_PKi31ggml_cuda_mm_fusion_args_devicePfj15HIP_vector_typeIjLj3EEjjjS8_jjjS8_jjjj
                                        ; -- End function
	.set _ZL13mul_mat_vec_qIL9ggml_type7ELi6ELb0ELb0EEvPKvS2_PKi31ggml_cuda_mm_fusion_args_devicePfj15HIP_vector_typeIjLj3EEjjjS8_jjjS8_jjjj.num_vgpr, 71
	.set _ZL13mul_mat_vec_qIL9ggml_type7ELi6ELb0ELb0EEvPKvS2_PKi31ggml_cuda_mm_fusion_args_devicePfj15HIP_vector_typeIjLj3EEjjjS8_jjjS8_jjjj.num_agpr, 0
	.set _ZL13mul_mat_vec_qIL9ggml_type7ELi6ELb0ELb0EEvPKvS2_PKi31ggml_cuda_mm_fusion_args_devicePfj15HIP_vector_typeIjLj3EEjjjS8_jjjS8_jjjj.numbered_sgpr, 30
	.set _ZL13mul_mat_vec_qIL9ggml_type7ELi6ELb0ELb0EEvPKvS2_PKi31ggml_cuda_mm_fusion_args_devicePfj15HIP_vector_typeIjLj3EEjjjS8_jjjS8_jjjj.num_named_barrier, 0
	.set _ZL13mul_mat_vec_qIL9ggml_type7ELi6ELb0ELb0EEvPKvS2_PKi31ggml_cuda_mm_fusion_args_devicePfj15HIP_vector_typeIjLj3EEjjjS8_jjjS8_jjjj.private_seg_size, 0
	.set _ZL13mul_mat_vec_qIL9ggml_type7ELi6ELb0ELb0EEvPKvS2_PKi31ggml_cuda_mm_fusion_args_devicePfj15HIP_vector_typeIjLj3EEjjjS8_jjjS8_jjjj.uses_vcc, 1
	.set _ZL13mul_mat_vec_qIL9ggml_type7ELi6ELb0ELb0EEvPKvS2_PKi31ggml_cuda_mm_fusion_args_devicePfj15HIP_vector_typeIjLj3EEjjjS8_jjjS8_jjjj.uses_flat_scratch, 0
	.set _ZL13mul_mat_vec_qIL9ggml_type7ELi6ELb0ELb0EEvPKvS2_PKi31ggml_cuda_mm_fusion_args_devicePfj15HIP_vector_typeIjLj3EEjjjS8_jjjS8_jjjj.has_dyn_sized_stack, 0
	.set _ZL13mul_mat_vec_qIL9ggml_type7ELi6ELb0ELb0EEvPKvS2_PKi31ggml_cuda_mm_fusion_args_devicePfj15HIP_vector_typeIjLj3EEjjjS8_jjjS8_jjjj.has_recursion, 0
	.set _ZL13mul_mat_vec_qIL9ggml_type7ELi6ELb0ELb0EEvPKvS2_PKi31ggml_cuda_mm_fusion_args_devicePfj15HIP_vector_typeIjLj3EEjjjS8_jjjS8_jjjj.has_indirect_call, 0
	.section	.AMDGPU.csdata,"",@progbits
; Kernel info:
; codeLenInByte = 2612
; TotalNumSgprs: 32
; NumVgprs: 71
; ScratchSize: 0
; MemoryBound: 0
; FloatMode: 240
; IeeeMode: 1
; LDSByteSize: 0 bytes/workgroup (compile time only)
; SGPRBlocks: 0
; VGPRBlocks: 8
; NumSGPRsForWavesPerEU: 32
; NumVGPRsForWavesPerEU: 71
; Occupancy: 16
; WaveLimiterHint : 0
; COMPUTE_PGM_RSRC2:SCRATCH_EN: 0
; COMPUTE_PGM_RSRC2:USER_SGPR: 2
; COMPUTE_PGM_RSRC2:TRAP_HANDLER: 0
; COMPUTE_PGM_RSRC2:TGID_X_EN: 1
; COMPUTE_PGM_RSRC2:TGID_Y_EN: 1
; COMPUTE_PGM_RSRC2:TGID_Z_EN: 1
; COMPUTE_PGM_RSRC2:TIDIG_COMP_CNT: 1
	.section	.text._ZL13mul_mat_vec_qIL9ggml_type7ELi7ELb0ELb0EEvPKvS2_PKi31ggml_cuda_mm_fusion_args_devicePfj15HIP_vector_typeIjLj3EEjjjS8_jjjS8_jjjj,"axG",@progbits,_ZL13mul_mat_vec_qIL9ggml_type7ELi7ELb0ELb0EEvPKvS2_PKi31ggml_cuda_mm_fusion_args_devicePfj15HIP_vector_typeIjLj3EEjjjS8_jjjS8_jjjj,comdat
	.globl	_ZL13mul_mat_vec_qIL9ggml_type7ELi7ELb0ELb0EEvPKvS2_PKi31ggml_cuda_mm_fusion_args_devicePfj15HIP_vector_typeIjLj3EEjjjS8_jjjS8_jjjj ; -- Begin function _ZL13mul_mat_vec_qIL9ggml_type7ELi7ELb0ELb0EEvPKvS2_PKi31ggml_cuda_mm_fusion_args_devicePfj15HIP_vector_typeIjLj3EEjjjS8_jjjS8_jjjj
	.p2align	8
	.type	_ZL13mul_mat_vec_qIL9ggml_type7ELi7ELb0ELb0EEvPKvS2_PKi31ggml_cuda_mm_fusion_args_devicePfj15HIP_vector_typeIjLj3EEjjjS8_jjjS8_jjjj,@function
_ZL13mul_mat_vec_qIL9ggml_type7ELi7ELb0ELb0EEvPKvS2_PKi31ggml_cuda_mm_fusion_args_devicePfj15HIP_vector_typeIjLj3EEjjjS8_jjjS8_jjjj: ; @_ZL13mul_mat_vec_qIL9ggml_type7ELi7ELb0ELb0EEvPKvS2_PKi31ggml_cuda_mm_fusion_args_devicePfj15HIP_vector_typeIjLj3EEjjjS8_jjjS8_jjjj
; %bb.0:
	v_bfe_u32 v8, v0, 10, 10
	s_clause 0x5
	s_load_b32 s2, s[0:1], 0x40
	s_load_b96 s[16:18], s[0:1], 0x80
	s_load_b128 s[4:7], s[0:1], 0x50
	s_load_b32 s23, s[0:1], 0x60
	s_load_b128 s[8:11], s[0:1], 0x68
	s_load_b32 s24, s[0:1], 0x78
	v_dual_mov_b32 v2, 0 :: v_dual_and_b32 v5, 0x3ff, v0
	v_dual_mov_b32 v3, 0 :: v_dual_lshlrev_b32 v0, 5, v8
	v_dual_mov_b32 v4, 0 :: v_dual_mov_b32 v7, 0
	v_dual_mov_b32 v6, 0 :: v_dual_mov_b32 v11, 0
	s_delay_alu instid0(VALU_DEP_3)
	v_add_nc_u16 v0, v0, v5
	s_and_b32 s19, ttmp7, 0xffff
	s_lshr_b32 s20, ttmp7, 16
	s_mov_b32 s21, exec_lo
	v_mov_b32_e32 v9, 0
	v_lshrrev_b16 v0, 1, v0
	s_wait_kmcnt 0x0
	s_lshr_b32 s22, s2, 5
	s_delay_alu instid0(VALU_DEP_1) | instskip(NEXT) | instid1(VALU_DEP_1)
	v_and_b32_e32 v10, 0xffff, v0
	v_cmpx_gt_u32_e64 s22, v10
	s_cbranch_execz .LBB58_4
; %bb.1:
	s_load_b128 s[12:15], s[0:1], 0x0
	v_dual_mov_b32 v2, 0 :: v_dual_lshlrev_b32 v1, 1, v5
	s_mul_i32 s2, s17, s20
	s_mov_b32 s3, 0
	s_mul_hi_u32 s7, s7, s19
	s_mul_hi_u32 s11, s11, s20
	s_mul_u64 s[26:27], s[2:3], 36
	s_mul_i32 s2, s9, s19
	s_add_co_i32 s7, s19, s7
	v_and_b32_e32 v4, 2, v1
	s_add_co_i32 s9, s20, s11
	s_mul_u64 s[28:29], s[2:3], 36
	s_lshr_b32 s2, s7, s23
	v_dual_mov_b32 v9, 0 :: v_dual_and_b32 v0, 0xffff, v0
	s_lshr_b32 s7, s9, s24
	s_mul_i32 s2, s2, s8
	v_and_b32_e32 v3, 1, v5
	v_dual_mov_b32 v7, 0 :: v_dual_lshlrev_b32 v12, 2, v4
	s_wait_kmcnt 0x0
	s_add_nc_u64 s[8:9], s[14:15], s[26:27]
	s_mul_i32 s4, s4, ttmp9
	s_add_nc_u64 s[8:9], s[8:9], s[28:29]
	v_or_b32_e32 v13, 4, v12
	v_mad_co_u64_u32 v[0:1], null, v0, 36, s[8:9]
	v_dual_mov_b32 v6, 0 :: v_dual_lshlrev_b32 v15, 2, v4
	v_mov_b32_e32 v4, 0
	v_dual_mov_b32 v11, 0 :: v_dual_lshlrev_b32 v14, 3, v3
	v_mov_b32_e32 v3, 0
	s_mul_i32 s7, s7, s16
	s_add_co_i32 s2, s2, s4
	s_lshl_b32 s4, s5, 1
	s_add_co_i32 s2, s7, s2
	s_mul_i32 s7, s5, 3
	s_lshl_b32 s11, s5, 2
	s_mul_i32 s14, s5, 5
	s_mul_i32 s15, s5, 6
.LBB58_2:                               ; =>This Inner Loop Header: Depth=1
	v_add_nc_u32_e32 v18, s2, v10
	v_add_co_u32 v16, vcc_lo, v0, v14
	v_add_nc_u32_e32 v22, s5, v10
	s_wait_alu 0xfffd
	v_add_co_ci_u32_e64 v17, null, 0, v1, vcc_lo
	v_mad_co_i64_i32 v[18:19], null, v18, 24, s[12:13]
	v_add_nc_u32_e32 v24, s4, v10
	v_add_nc_u32_e32 v26, s7, v10
	v_mad_co_u64_u32 v[22:23], null, v22, 36, s[8:9]
	global_load_b32 v50, v[0:1], off
	v_add_nc_u32_e32 v28, s11, v10
	s_clause 0x1
	global_load_b64 v[20:21], v[16:17], off offset:4
	global_load_b64 v[16:17], v[16:17], off offset:20
	global_load_b64 v[34:35], v[18:19], off
	v_mad_co_u64_u32 v[24:25], null, v24, 36, s[8:9]
	v_add_nc_u32_e32 v30, s14, v10
	v_mad_co_u64_u32 v[26:27], null, v26, 36, s[8:9]
	v_add_nc_u32_e32 v32, s15, v10
	v_mad_co_u64_u32 v[28:29], null, v28, 36, s[8:9]
	v_add_co_u32 v18, vcc_lo, v18, v15
	v_mad_co_u64_u32 v[30:31], null, v30, 36, s[8:9]
	s_wait_alu 0xfffd
	v_add_co_ci_u32_e64 v19, null, 0, v19, vcc_lo
	v_add_co_u32 v36, vcc_lo, v22, v15
	v_mad_co_u64_u32 v[32:33], null, v32, 36, s[8:9]
	s_wait_alu 0xfffd
	v_add_co_ci_u32_e64 v37, null, 0, v23, vcc_lo
	v_add_co_u32 v38, vcc_lo, v24, v15
	s_wait_alu 0xfffd
	v_add_co_ci_u32_e64 v39, null, 0, v25, vcc_lo
	v_add_co_u32 v40, vcc_lo, v26, v15
	;; [unrolled: 3-line block ×5, first 2 shown]
	s_wait_alu 0xfffd
	v_add_co_ci_u32_e64 v47, null, 0, v33, vcc_lo
	global_load_b64 v[18:19], v[18:19], off offset:8
	s_clause 0x11
	global_load_b64 v[48:49], v[36:37], off offset:20
	global_load_b32 v51, v[24:25], off
	global_load_b32 v52, v[22:23], off
	;; [unrolled: 1-line block ×3, first 2 shown]
	global_load_b64 v[22:23], v[42:43], off offset:20
	global_load_b32 v54, v[28:29], off
	global_load_b64 v[24:25], v[44:45], off offset:20
	global_load_b32 v55, v[32:33], off
	global_load_b32 v56, v[30:31], off
	global_load_b64 v[26:27], v[36:37], off offset:4
	global_load_b64 v[28:29], v[38:39], off offset:4
	;; [unrolled: 1-line block ×9, first 2 shown]
	v_add_nc_u32_e32 v10, 16, v10
	v_add_co_u32 v0, vcc_lo, 0x240, v0
	s_wait_alu 0xfffd
	v_add_co_ci_u32_e64 v1, null, 0, v1, vcc_lo
	s_delay_alu instid0(VALU_DEP_3)
	v_cmp_le_u32_e32 vcc_lo, s22, v10
	s_or_b32 s3, vcc_lo, s3
	s_wait_loadcnt 0x13
	v_ashrrev_i32_e32 v46, v12, v35
	v_ashrrev_i32_e32 v35, v13, v35
	v_pk_mul_f16 v47, v34, v50
	s_delay_alu instid0(VALU_DEP_3)
	v_lshlrev_b32_e32 v57, 4, v46
	v_lshlrev_b32_e32 v58, 11, v46
	v_lshlrev_b32_e32 v59, 18, v46
	v_lshlrev_b32_e32 v60, 25, v46
	v_lshrrev_b32_e32 v61, 12, v46
	v_lshrrev_b32_e32 v62, 5, v46
	v_lshlrev_b32_e32 v63, 2, v46
	v_lshlrev_b32_e32 v65, 4, v35
	v_lshlrev_b32_e32 v66, 11, v35
	v_lshlrev_b32_e32 v67, 18, v35
	v_lshlrev_b32_e32 v68, 25, v35
	v_lshrrev_b32_e32 v69, 12, v35
	v_lshrrev_b32_e32 v70, 5, v35
	v_lshlrev_b32_e32 v71, 2, v35
	v_lshrrev_b32_e32 v72, 16, v47
	v_lshlrev_b32_e32 v46, 9, v46
	v_lshlrev_b32_e32 v35, 9, v35
	s_wait_loadcnt 0x12
	v_and_b32_e32 v50, 0xf0f0f0f, v18
	v_lshrrev_b32_e32 v18, 4, v18
	s_wait_loadcnt 0x10
	v_pk_mul_f16 v51, v34, v51
	s_wait_loadcnt 0xf
	v_pk_mul_f16 v52, v34, v52
	;; [unrolled: 2-line block ×3, first 2 shown]
	v_and_b32_e32 v46, 0x10000000, v46
	s_wait_loadcnt 0xc
	v_pk_mul_f16 v54, v34, v54
	v_and_b32_e32 v18, 0xf0f0f0f, v18
	v_and_b32_e32 v35, 0x10000000, v35
	s_wait_loadcnt 0x9
	v_pk_mul_f16 v56, v34, v56
	v_pk_mul_f16 v34, v34, v55
	v_and_b32_e32 v55, 16, v57
	v_and_b32_e32 v57, 0x1000, v58
	;; [unrolled: 1-line block ×14, first 2 shown]
	v_cvt_f32_f16_e32 v71, v72
	v_lshrrev_b32_e32 v72, 16, v52
	v_or3_b32 v50, v55, v50, v57
	v_or3_b32 v55, v61, v60, v62
	;; [unrolled: 1-line block ×4, first 2 shown]
	v_cvt_f32_f16_e32 v62, v72
	v_and_b32_e32 v64, 0xf0f0f0f, v19
	v_lshrrev_b32_e32 v19, 4, v19
	v_or3_b32 v50, v50, v58, v59
	v_or3_b32 v18, v55, v46, v18
	v_lshrrev_b32_e32 v73, 16, v51
	v_lshrrev_b32_e32 v74, 16, v53
	v_and_b32_e32 v19, 0xf0f0f0f, v19
	v_dot4_i32_iu8 v20, v50, v20, 0 neg_lo:[1,1,0]
	s_wait_loadcnt 0x8
	v_dot4_i32_iu8 v26, v50, v26, 0 neg_lo:[1,1,0]
	s_wait_loadcnt 0x7
	;; [unrolled: 2-line block ×6, first 2 shown]
	v_dot4_i32_iu8 v42, v50, v42, 0 neg_lo:[1,1,0]
	v_or3_b32 v19, v60, v35, v19
	v_mul_f32_e32 v35, 0.5, v62
	v_or3_b32 v46, v57, v67, v64
	v_dot4_i32_iu8 v16, v18, v16, v20 neg_lo:[1,1,0]
	v_dot4_i32_iu8 v20, v18, v48, v26 neg_lo:[1,1,0]
	s_wait_loadcnt 0x2
	v_dot4_i32_iu8 v26, v18, v38, v28 neg_lo:[1,1,0]
	s_wait_loadcnt 0x1
	v_dot4_i32_iu8 v28, v18, v40, v30 neg_lo:[1,1,0]
	v_dot4_i32_iu8 v22, v18, v22, v32 neg_lo:[1,1,0]
	;; [unrolled: 1-line block ×3, first 2 shown]
	s_wait_loadcnt 0x0
	v_dot4_i32_iu8 v18, v18, v44, v42 neg_lo:[1,1,0]
	v_lshrrev_b32_e32 v75, 16, v54
	v_lshrrev_b32_e32 v76, 16, v56
	;; [unrolled: 1-line block ×3, first 2 shown]
	v_dot4_i32_iu8 v16, v46, v21, v16 neg_lo:[1,1,0]
	v_dot4_i32_iu8 v20, v46, v27, v20 neg_lo:[1,1,0]
	;; [unrolled: 1-line block ×7, first 2 shown]
	v_cvt_f32_f16_e32 v63, v73
	v_cvt_f32_f16_e32 v65, v74
	;; [unrolled: 1-line block ×5, first 2 shown]
	v_dot4_i32_iu8 v16, v19, v17, v16 neg_lo:[1,1,0]
	v_dot4_i32_iu8 v17, v19, v49, v20 neg_lo:[1,1,0]
	;; [unrolled: 1-line block ×7, first 2 shown]
	v_mul_f32_e32 v61, 0.5, v71
	v_mul_f32_e32 v55, 0.5, v63
	v_dual_mul_f32 v57, 0.5, v65 :: v_dual_mul_f32 v58, 0.5, v66
	v_dual_mul_f32 v59, 0.5, v68 :: v_dual_mul_f32 v60, 0.5, v69
	v_cvt_f32_i32_e32 v16, v16
	v_cvt_f32_i32_e32 v17, v17
	;; [unrolled: 1-line block ×7, first 2 shown]
	v_fma_mix_f32 v16, v16, v47, v61 op_sel_hi:[0,1,0]
	v_fma_mix_f32 v17, v17, v52, v35 op_sel_hi:[0,1,0]
	;; [unrolled: 1-line block ×7, first 2 shown]
	v_add_f32_e32 v11, v11, v16
	v_add_f32_e32 v9, v9, v17
	v_dual_add_f32 v7, v7, v19 :: v_dual_add_f32 v6, v6, v20
	v_dual_add_f32 v4, v4, v21 :: v_dual_add_f32 v3, v3, v22
	v_add_f32_e32 v2, v2, v18
	s_wait_alu 0xfffe
	s_and_not1_b32 exec_lo, exec_lo, s3
	s_cbranch_execnz .LBB58_2
; %bb.3:
	s_or_b32 exec_lo, exec_lo, s3
.LBB58_4:
	s_delay_alu instid0(SALU_CYCLE_1)
	s_or_b32 exec_lo, exec_lo, s21
	s_mov_b32 s3, 0
	; wave barrier
	global_inv scope:SCOPE_SE
	s_mov_b32 s2, exec_lo
	v_cmpx_eq_u32_e32 0, v8
	s_cbranch_execz .LBB58_19
; %bb.5:
	v_mbcnt_lo_u32_b32 v12, -1, 0
	s_load_b64 s[0:1], s[0:1], 0x38
	s_mul_i32 s2, s10, s19
	s_mul_i32 s4, s18, s20
	s_wait_alu 0xfffe
	s_add_co_i32 s2, s2, ttmp9
	v_xor_b32_e32 v0, 16, v12
	v_xor_b32_e32 v1, 8, v12
	s_wait_alu 0xfffe
	s_add_co_i32 s2, s2, s4
	s_wait_alu 0xfffe
	s_lshl_b64 s[2:3], s[2:3], 2
	v_cmp_gt_i32_e32 vcc_lo, 32, v0
	s_wait_alu 0xfffd
	v_cndmask_b32_e32 v0, v12, v0, vcc_lo
	v_cmp_gt_i32_e32 vcc_lo, 32, v1
	s_wait_alu 0xfffd
	v_cndmask_b32_e32 v1, v12, v1, vcc_lo
	s_wait_kmcnt 0x0
	s_wait_alu 0xfffe
	s_add_nc_u64 s[0:1], s[0:1], s[2:3]
	s_delay_alu instid0(VALU_DEP_1)
	v_lshlrev_b32_e32 v1, 2, v1
	v_lshlrev_b32_e32 v0, 2, v0
	ds_bpermute_b32 v8, v0, v11
	s_wait_dscnt 0x0
	v_add_f32_e32 v10, v11, v8
	v_xor_b32_e32 v8, 4, v12
	ds_bpermute_b32 v11, v1, v10
	v_cmp_gt_i32_e32 vcc_lo, 32, v8
	s_wait_dscnt 0x0
	s_wait_alu 0xfffd
	v_dual_add_f32 v11, v10, v11 :: v_dual_cndmask_b32 v8, v12, v8
	v_xor_b32_e32 v10, 2, v12
	s_delay_alu instid0(VALU_DEP_2) | instskip(NEXT) | instid1(VALU_DEP_2)
	v_lshlrev_b32_e32 v8, 2, v8
	v_cmp_gt_i32_e32 vcc_lo, 32, v10
	ds_bpermute_b32 v13, v8, v11
	s_wait_dscnt 0x0
	s_wait_alu 0xfffd
	v_dual_cndmask_b32 v10, v12, v10 :: v_dual_add_f32 v13, v11, v13
	v_xor_b32_e32 v11, 1, v12
	s_delay_alu instid0(VALU_DEP_1) | instskip(SKIP_3) | instid1(VALU_DEP_2)
	v_cmp_gt_i32_e32 vcc_lo, 32, v11
	s_wait_alu 0xfffd
	v_cndmask_b32_e32 v11, v12, v11, vcc_lo
	v_cmp_eq_u32_e32 vcc_lo, 0, v5
	v_lshlrev_b32_e32 v11, 2, v11
	v_lshlrev_b32_e32 v10, 2, v10
	ds_bpermute_b32 v14, v10, v13
	s_wait_dscnt 0x0
	v_add_f32_e32 v12, v13, v14
	ds_bpermute_b32 v13, v11, v12
	s_and_saveexec_b32 s2, vcc_lo
	s_cbranch_execz .LBB58_7
; %bb.6:
	s_wait_dscnt 0x0
	v_dual_add_f32 v5, v12, v13 :: v_dual_mov_b32 v12, 0
	global_store_b32 v12, v5, s[0:1]
.LBB58_7:
	s_wait_alu 0xfffe
	s_or_b32 exec_lo, exec_lo, s2
	ds_bpermute_b32 v5, v0, v9
	s_wait_dscnt 0x0
	v_add_f32_e32 v5, v9, v5
	ds_bpermute_b32 v9, v1, v5
	s_wait_dscnt 0x0
	v_add_f32_e32 v5, v5, v9
	;; [unrolled: 3-line block ×4, first 2 shown]
	ds_bpermute_b32 v9, v11, v5
	s_and_saveexec_b32 s2, vcc_lo
	s_cbranch_execz .LBB58_9
; %bb.8:
	s_mov_b32 s7, 0
	s_wait_dscnt 0x0
	v_add_f32_e32 v5, v5, v9
	v_mov_b32_e32 v9, 0
	s_wait_alu 0xfffe
	s_lshl_b64 s[4:5], s[6:7], 2
	s_wait_alu 0xfffe
	s_add_nc_u64 s[4:5], s[0:1], s[4:5]
	global_store_b32 v9, v5, s[4:5]
.LBB58_9:
	s_wait_alu 0xfffe
	s_or_b32 exec_lo, exec_lo, s2
	ds_bpermute_b32 v5, v0, v7
	s_wait_dscnt 0x0
	v_add_f32_e32 v5, v7, v5
	ds_bpermute_b32 v7, v1, v5
	s_wait_dscnt 0x0
	v_add_f32_e32 v5, v5, v7
	;; [unrolled: 3-line block ×4, first 2 shown]
	ds_bpermute_b32 v7, v11, v5
	s_and_saveexec_b32 s2, vcc_lo
	s_cbranch_execz .LBB58_11
; %bb.10:
	s_lshl_b32 s4, s6, 1
	s_mov_b32 s5, 0
	s_wait_dscnt 0x0
	v_add_f32_e32 v5, v5, v7
	v_mov_b32_e32 v7, 0
	s_wait_alu 0xfffe
	s_lshl_b64 s[4:5], s[4:5], 2
	s_wait_alu 0xfffe
	s_add_nc_u64 s[4:5], s[0:1], s[4:5]
	global_store_b32 v7, v5, s[4:5]
.LBB58_11:
	s_wait_alu 0xfffe
	s_or_b32 exec_lo, exec_lo, s2
	ds_bpermute_b32 v5, v0, v6
	s_wait_dscnt 0x0
	v_add_f32_e32 v5, v6, v5
	ds_bpermute_b32 v6, v1, v5
	s_wait_dscnt 0x0
	v_add_f32_e32 v5, v5, v6
	;; [unrolled: 3-line block ×4, first 2 shown]
	ds_bpermute_b32 v6, v11, v5
	s_and_saveexec_b32 s2, vcc_lo
	s_cbranch_execz .LBB58_13
; %bb.12:
	s_mul_i32 s4, s6, 3
	s_mov_b32 s5, 0
	s_wait_dscnt 0x0
	v_dual_add_f32 v5, v5, v6 :: v_dual_mov_b32 v6, 0
	s_wait_alu 0xfffe
	s_lshl_b64 s[4:5], s[4:5], 2
	s_wait_alu 0xfffe
	s_add_nc_u64 s[4:5], s[0:1], s[4:5]
	global_store_b32 v6, v5, s[4:5]
.LBB58_13:
	s_wait_alu 0xfffe
	s_or_b32 exec_lo, exec_lo, s2
	ds_bpermute_b32 v5, v0, v4
	s_wait_dscnt 0x0
	v_add_f32_e32 v4, v4, v5
	ds_bpermute_b32 v5, v1, v4
	s_wait_dscnt 0x0
	v_add_f32_e32 v4, v4, v5
	;; [unrolled: 3-line block ×4, first 2 shown]
	ds_bpermute_b32 v5, v11, v4
	s_and_saveexec_b32 s2, vcc_lo
	s_cbranch_execz .LBB58_15
; %bb.14:
	s_lshl_b32 s4, s6, 2
	s_mov_b32 s5, 0
	s_wait_dscnt 0x0
	v_dual_add_f32 v4, v4, v5 :: v_dual_mov_b32 v5, 0
	s_wait_alu 0xfffe
	s_lshl_b64 s[4:5], s[4:5], 2
	s_wait_alu 0xfffe
	s_add_nc_u64 s[4:5], s[0:1], s[4:5]
	global_store_b32 v5, v4, s[4:5]
.LBB58_15:
	s_wait_alu 0xfffe
	s_or_b32 exec_lo, exec_lo, s2
	ds_bpermute_b32 v4, v0, v3
	s_wait_dscnt 0x0
	v_add_f32_e32 v3, v3, v4
	ds_bpermute_b32 v4, v1, v3
	s_wait_dscnt 0x0
	v_add_f32_e32 v3, v3, v4
	;; [unrolled: 3-line block ×4, first 2 shown]
	ds_bpermute_b32 v4, v11, v3
	s_and_saveexec_b32 s2, vcc_lo
	s_cbranch_execz .LBB58_17
; %bb.16:
	s_mul_i32 s4, s6, 5
	s_mov_b32 s5, 0
	s_wait_dscnt 0x0
	v_dual_add_f32 v3, v3, v4 :: v_dual_mov_b32 v4, 0
	s_wait_alu 0xfffe
	s_lshl_b64 s[4:5], s[4:5], 2
	s_wait_alu 0xfffe
	s_add_nc_u64 s[4:5], s[0:1], s[4:5]
	global_store_b32 v4, v3, s[4:5]
.LBB58_17:
	s_wait_alu 0xfffe
	s_or_b32 exec_lo, exec_lo, s2
	ds_bpermute_b32 v0, v0, v2
	s_wait_dscnt 0x0
	v_add_f32_e32 v0, v2, v0
	ds_bpermute_b32 v1, v1, v0
	s_wait_dscnt 0x0
	v_add_f32_e32 v0, v0, v1
	;; [unrolled: 3-line block ×4, first 2 shown]
	ds_bpermute_b32 v1, v11, v0
	s_and_b32 exec_lo, exec_lo, vcc_lo
	s_cbranch_execz .LBB58_19
; %bb.18:
	s_mul_i32 s2, s6, 6
	s_mov_b32 s3, 0
	s_wait_dscnt 0x0
	v_dual_add_f32 v0, v0, v1 :: v_dual_mov_b32 v1, 0
	s_wait_alu 0xfffe
	s_lshl_b64 s[2:3], s[2:3], 2
	s_wait_alu 0xfffe
	s_add_nc_u64 s[0:1], s[0:1], s[2:3]
	global_store_b32 v1, v0, s[0:1]
.LBB58_19:
	s_endpgm
	.section	.rodata,"a",@progbits
	.p2align	6, 0x0
	.amdhsa_kernel _ZL13mul_mat_vec_qIL9ggml_type7ELi7ELb0ELb0EEvPKvS2_PKi31ggml_cuda_mm_fusion_args_devicePfj15HIP_vector_typeIjLj3EEjjjS8_jjjS8_jjjj
		.amdhsa_group_segment_fixed_size 0
		.amdhsa_private_segment_fixed_size 0
		.amdhsa_kernarg_size 144
		.amdhsa_user_sgpr_count 2
		.amdhsa_user_sgpr_dispatch_ptr 0
		.amdhsa_user_sgpr_queue_ptr 0
		.amdhsa_user_sgpr_kernarg_segment_ptr 1
		.amdhsa_user_sgpr_dispatch_id 0
		.amdhsa_user_sgpr_private_segment_size 0
		.amdhsa_wavefront_size32 1
		.amdhsa_uses_dynamic_stack 0
		.amdhsa_enable_private_segment 0
		.amdhsa_system_sgpr_workgroup_id_x 1
		.amdhsa_system_sgpr_workgroup_id_y 1
		.amdhsa_system_sgpr_workgroup_id_z 1
		.amdhsa_system_sgpr_workgroup_info 0
		.amdhsa_system_vgpr_workitem_id 1
		.amdhsa_next_free_vgpr 78
		.amdhsa_next_free_sgpr 30
		.amdhsa_reserve_vcc 1
		.amdhsa_float_round_mode_32 0
		.amdhsa_float_round_mode_16_64 0
		.amdhsa_float_denorm_mode_32 3
		.amdhsa_float_denorm_mode_16_64 3
		.amdhsa_fp16_overflow 0
		.amdhsa_workgroup_processor_mode 1
		.amdhsa_memory_ordered 1
		.amdhsa_forward_progress 1
		.amdhsa_inst_pref_size 23
		.amdhsa_round_robin_scheduling 0
		.amdhsa_exception_fp_ieee_invalid_op 0
		.amdhsa_exception_fp_denorm_src 0
		.amdhsa_exception_fp_ieee_div_zero 0
		.amdhsa_exception_fp_ieee_overflow 0
		.amdhsa_exception_fp_ieee_underflow 0
		.amdhsa_exception_fp_ieee_inexact 0
		.amdhsa_exception_int_div_zero 0
	.end_amdhsa_kernel
	.section	.text._ZL13mul_mat_vec_qIL9ggml_type7ELi7ELb0ELb0EEvPKvS2_PKi31ggml_cuda_mm_fusion_args_devicePfj15HIP_vector_typeIjLj3EEjjjS8_jjjS8_jjjj,"axG",@progbits,_ZL13mul_mat_vec_qIL9ggml_type7ELi7ELb0ELb0EEvPKvS2_PKi31ggml_cuda_mm_fusion_args_devicePfj15HIP_vector_typeIjLj3EEjjjS8_jjjS8_jjjj,comdat
.Lfunc_end58:
	.size	_ZL13mul_mat_vec_qIL9ggml_type7ELi7ELb0ELb0EEvPKvS2_PKi31ggml_cuda_mm_fusion_args_devicePfj15HIP_vector_typeIjLj3EEjjjS8_jjjS8_jjjj, .Lfunc_end58-_ZL13mul_mat_vec_qIL9ggml_type7ELi7ELb0ELb0EEvPKvS2_PKi31ggml_cuda_mm_fusion_args_devicePfj15HIP_vector_typeIjLj3EEjjjS8_jjjS8_jjjj
                                        ; -- End function
	.set _ZL13mul_mat_vec_qIL9ggml_type7ELi7ELb0ELb0EEvPKvS2_PKi31ggml_cuda_mm_fusion_args_devicePfj15HIP_vector_typeIjLj3EEjjjS8_jjjS8_jjjj.num_vgpr, 78
	.set _ZL13mul_mat_vec_qIL9ggml_type7ELi7ELb0ELb0EEvPKvS2_PKi31ggml_cuda_mm_fusion_args_devicePfj15HIP_vector_typeIjLj3EEjjjS8_jjjS8_jjjj.num_agpr, 0
	.set _ZL13mul_mat_vec_qIL9ggml_type7ELi7ELb0ELb0EEvPKvS2_PKi31ggml_cuda_mm_fusion_args_devicePfj15HIP_vector_typeIjLj3EEjjjS8_jjjS8_jjjj.numbered_sgpr, 30
	.set _ZL13mul_mat_vec_qIL9ggml_type7ELi7ELb0ELb0EEvPKvS2_PKi31ggml_cuda_mm_fusion_args_devicePfj15HIP_vector_typeIjLj3EEjjjS8_jjjS8_jjjj.num_named_barrier, 0
	.set _ZL13mul_mat_vec_qIL9ggml_type7ELi7ELb0ELb0EEvPKvS2_PKi31ggml_cuda_mm_fusion_args_devicePfj15HIP_vector_typeIjLj3EEjjjS8_jjjS8_jjjj.private_seg_size, 0
	.set _ZL13mul_mat_vec_qIL9ggml_type7ELi7ELb0ELb0EEvPKvS2_PKi31ggml_cuda_mm_fusion_args_devicePfj15HIP_vector_typeIjLj3EEjjjS8_jjjS8_jjjj.uses_vcc, 1
	.set _ZL13mul_mat_vec_qIL9ggml_type7ELi7ELb0ELb0EEvPKvS2_PKi31ggml_cuda_mm_fusion_args_devicePfj15HIP_vector_typeIjLj3EEjjjS8_jjjS8_jjjj.uses_flat_scratch, 0
	.set _ZL13mul_mat_vec_qIL9ggml_type7ELi7ELb0ELb0EEvPKvS2_PKi31ggml_cuda_mm_fusion_args_devicePfj15HIP_vector_typeIjLj3EEjjjS8_jjjS8_jjjj.has_dyn_sized_stack, 0
	.set _ZL13mul_mat_vec_qIL9ggml_type7ELi7ELb0ELb0EEvPKvS2_PKi31ggml_cuda_mm_fusion_args_devicePfj15HIP_vector_typeIjLj3EEjjjS8_jjjS8_jjjj.has_recursion, 0
	.set _ZL13mul_mat_vec_qIL9ggml_type7ELi7ELb0ELb0EEvPKvS2_PKi31ggml_cuda_mm_fusion_args_devicePfj15HIP_vector_typeIjLj3EEjjjS8_jjjS8_jjjj.has_indirect_call, 0
	.section	.AMDGPU.csdata,"",@progbits
; Kernel info:
; codeLenInByte = 2892
; TotalNumSgprs: 32
; NumVgprs: 78
; ScratchSize: 0
; MemoryBound: 0
; FloatMode: 240
; IeeeMode: 1
; LDSByteSize: 0 bytes/workgroup (compile time only)
; SGPRBlocks: 0
; VGPRBlocks: 9
; NumSGPRsForWavesPerEU: 32
; NumVGPRsForWavesPerEU: 78
; Occupancy: 16
; WaveLimiterHint : 0
; COMPUTE_PGM_RSRC2:SCRATCH_EN: 0
; COMPUTE_PGM_RSRC2:USER_SGPR: 2
; COMPUTE_PGM_RSRC2:TRAP_HANDLER: 0
; COMPUTE_PGM_RSRC2:TGID_X_EN: 1
; COMPUTE_PGM_RSRC2:TGID_Y_EN: 1
; COMPUTE_PGM_RSRC2:TGID_Z_EN: 1
; COMPUTE_PGM_RSRC2:TIDIG_COMP_CNT: 1
	.section	.text._ZL13mul_mat_vec_qIL9ggml_type7ELi8ELb0ELb0EEvPKvS2_PKi31ggml_cuda_mm_fusion_args_devicePfj15HIP_vector_typeIjLj3EEjjjS8_jjjS8_jjjj,"axG",@progbits,_ZL13mul_mat_vec_qIL9ggml_type7ELi8ELb0ELb0EEvPKvS2_PKi31ggml_cuda_mm_fusion_args_devicePfj15HIP_vector_typeIjLj3EEjjjS8_jjjS8_jjjj,comdat
	.globl	_ZL13mul_mat_vec_qIL9ggml_type7ELi8ELb0ELb0EEvPKvS2_PKi31ggml_cuda_mm_fusion_args_devicePfj15HIP_vector_typeIjLj3EEjjjS8_jjjS8_jjjj ; -- Begin function _ZL13mul_mat_vec_qIL9ggml_type7ELi8ELb0ELb0EEvPKvS2_PKi31ggml_cuda_mm_fusion_args_devicePfj15HIP_vector_typeIjLj3EEjjjS8_jjjS8_jjjj
	.p2align	8
	.type	_ZL13mul_mat_vec_qIL9ggml_type7ELi8ELb0ELb0EEvPKvS2_PKi31ggml_cuda_mm_fusion_args_devicePfj15HIP_vector_typeIjLj3EEjjjS8_jjjS8_jjjj,@function
_ZL13mul_mat_vec_qIL9ggml_type7ELi8ELb0ELb0EEvPKvS2_PKi31ggml_cuda_mm_fusion_args_devicePfj15HIP_vector_typeIjLj3EEjjjS8_jjjS8_jjjj: ; @_ZL13mul_mat_vec_qIL9ggml_type7ELi8ELb0ELb0EEvPKvS2_PKi31ggml_cuda_mm_fusion_args_devicePfj15HIP_vector_typeIjLj3EEjjjS8_jjjS8_jjjj
; %bb.0:
	v_bfe_u32 v9, v0, 10, 10
	s_clause 0x5
	s_load_b32 s2, s[0:1], 0x40
	s_load_b96 s[16:18], s[0:1], 0x80
	s_load_b128 s[4:7], s[0:1], 0x50
	s_load_b32 s23, s[0:1], 0x60
	s_load_b128 s[8:11], s[0:1], 0x68
	s_load_b32 s24, s[0:1], 0x78
	v_dual_mov_b32 v3, 0 :: v_dual_and_b32 v6, 0x3ff, v0
	v_dual_mov_b32 v5, 0 :: v_dual_lshlrev_b32 v0, 5, v9
	v_dual_mov_b32 v4, 0 :: v_dual_mov_b32 v7, 0
	v_mov_b32_e32 v8, 0
	s_delay_alu instid0(VALU_DEP_3)
	v_add_nc_u16 v0, v0, v6
	v_mov_b32_e32 v10, 0
	v_mov_b32_e32 v12, 0
	s_and_b32 s19, ttmp7, 0xffff
	s_lshr_b32 s20, ttmp7, 16
	v_lshrrev_b16 v0, 1, v0
	v_mov_b32_e32 v2, 0
	s_mov_b32 s21, exec_lo
	s_delay_alu instid0(VALU_DEP_2)
	v_and_b32_e32 v11, 0xffff, v0
	s_wait_kmcnt 0x0
	s_lshr_b32 s22, s2, 5
	s_delay_alu instid0(VALU_DEP_1) | instid1(SALU_CYCLE_1)
	v_cmpx_gt_u32_e64 s22, v11
	s_cbranch_execz .LBB59_4
; %bb.1:
	s_load_b128 s[12:15], s[0:1], 0x0
	v_dual_mov_b32 v2, 0 :: v_dual_lshlrev_b32 v1, 1, v6
	s_mul_i32 s2, s17, s20
	s_mov_b32 s3, 0
	s_mul_hi_u32 s7, s7, s19
	s_mul_hi_u32 s11, s11, s20
	s_mul_u64 s[26:27], s[2:3], 36
	s_mul_i32 s2, s9, s19
	s_add_co_i32 s7, s19, s7
	v_and_b32_e32 v4, 2, v1
	s_add_co_i32 s9, s20, s11
	s_mul_u64 s[28:29], s[2:3], 36
	s_lshr_b32 s2, s7, s23
	v_dual_mov_b32 v5, 0 :: v_dual_and_b32 v0, 0xffff, v0
	s_lshr_b32 s7, s9, s24
	s_mul_i32 s2, s2, s8
	v_and_b32_e32 v3, 1, v6
	v_dual_mov_b32 v8, 0 :: v_dual_lshlrev_b32 v13, 2, v4
	s_wait_kmcnt 0x0
	s_add_nc_u64 s[8:9], s[14:15], s[26:27]
	s_mul_i32 s4, s4, ttmp9
	s_add_nc_u64 s[8:9], s[8:9], s[28:29]
	v_or_b32_e32 v14, 4, v13
	v_mad_co_u64_u32 v[0:1], null, v0, 36, s[8:9]
	v_dual_mov_b32 v7, 0 :: v_dual_lshlrev_b32 v16, 2, v4
	v_dual_mov_b32 v4, 0 :: v_dual_lshlrev_b32 v15, 3, v3
	v_dual_mov_b32 v10, 0 :: v_dual_mov_b32 v3, 0
	v_mov_b32_e32 v12, 0
	s_mul_i32 s7, s7, s16
	s_add_co_i32 s2, s2, s4
	s_lshl_b32 s4, s5, 1
	s_add_co_i32 s2, s7, s2
	s_mul_i32 s7, s5, 3
	s_lshl_b32 s11, s5, 2
	s_mul_i32 s14, s5, 5
	s_mul_i32 s15, s5, 6
	;; [unrolled: 1-line block ×3, first 2 shown]
.LBB59_2:                               ; =>This Inner Loop Header: Depth=1
	v_add_nc_u32_e32 v19, s2, v11
	v_add_co_u32 v17, vcc_lo, v0, v15
	v_add_nc_u32_e32 v23, s5, v11
	s_wait_alu 0xfffd
	v_add_co_ci_u32_e64 v18, null, 0, v1, vcc_lo
	v_mad_co_i64_i32 v[19:20], null, v19, 24, s[12:13]
	v_add_nc_u32_e32 v25, s4, v11
	v_add_nc_u32_e32 v27, s7, v11
	v_mad_co_u64_u32 v[23:24], null, v23, 36, s[8:9]
	global_load_b32 v55, v[0:1], off
	v_add_nc_u32_e32 v29, s11, v11
	s_clause 0x1
	global_load_b64 v[21:22], v[17:18], off offset:4
	global_load_b64 v[17:18], v[17:18], off offset:20
	global_load_b64 v[37:38], v[19:20], off
	v_mad_co_u64_u32 v[25:26], null, v25, 36, s[8:9]
	v_add_nc_u32_e32 v31, s14, v11
	v_mad_co_u64_u32 v[27:28], null, v27, 36, s[8:9]
	v_add_nc_u32_e32 v33, s15, v11
	v_mad_co_u64_u32 v[29:30], null, v29, 36, s[8:9]
	v_add_co_u32 v19, vcc_lo, v19, v16
	v_add_nc_u32_e32 v35, s16, v11
	v_mad_co_u64_u32 v[31:32], null, v31, 36, s[8:9]
	s_wait_alu 0xfffd
	v_add_co_ci_u32_e64 v20, null, 0, v20, vcc_lo
	v_add_co_u32 v39, vcc_lo, v23, v16
	v_mad_co_u64_u32 v[33:34], null, v33, 36, s[8:9]
	s_wait_alu 0xfffd
	v_add_co_ci_u32_e64 v40, null, 0, v24, vcc_lo
	v_add_co_u32 v41, vcc_lo, v25, v16
	;; [unrolled: 4-line block ×3, first 2 shown]
	s_wait_alu 0xfffd
	v_add_co_ci_u32_e64 v44, null, 0, v28, vcc_lo
	v_add_co_u32 v45, vcc_lo, v29, v16
	s_wait_alu 0xfffd
	v_add_co_ci_u32_e64 v46, null, 0, v30, vcc_lo
	v_add_co_u32 v47, vcc_lo, v31, v16
	;; [unrolled: 3-line block ×4, first 2 shown]
	s_wait_alu 0xfffd
	v_add_co_ci_u32_e64 v52, null, 0, v36, vcc_lo
	global_load_b64 v[19:20], v[19:20], off offset:8
	s_clause 0x14
	global_load_b64 v[53:54], v[39:40], off offset:20
	global_load_b32 v56, v[25:26], off
	global_load_b32 v57, v[23:24], off
	;; [unrolled: 1-line block ×3, first 2 shown]
	global_load_b64 v[23:24], v[45:46], off offset:20
	global_load_b32 v59, v[29:30], off
	global_load_b64 v[25:26], v[47:48], off offset:20
	global_load_b32 v60, v[33:34], off
	global_load_b32 v61, v[31:32], off
	;; [unrolled: 1-line block ×3, first 2 shown]
	global_load_b64 v[27:28], v[39:40], off offset:4
	global_load_b64 v[29:30], v[41:42], off offset:4
	;; [unrolled: 1-line block ×11, first 2 shown]
	v_add_nc_u32_e32 v11, 16, v11
	v_add_co_u32 v0, vcc_lo, 0x240, v0
	s_wait_alu 0xfffd
	v_add_co_ci_u32_e64 v1, null, 0, v1, vcc_lo
	s_delay_alu instid0(VALU_DEP_3)
	v_cmp_le_u32_e32 vcc_lo, s22, v11
	s_or_b32 s3, vcc_lo, s3
	s_wait_loadcnt 0x16
	v_ashrrev_i32_e32 v51, v13, v38
	v_ashrrev_i32_e32 v38, v14, v38
	v_pk_mul_f16 v52, v37, v55
	s_delay_alu instid0(VALU_DEP_3)
	v_lshlrev_b32_e32 v63, 4, v51
	v_lshlrev_b32_e32 v64, 11, v51
	;; [unrolled: 1-line block ×4, first 2 shown]
	v_lshrrev_b32_e32 v67, 12, v51
	v_lshrrev_b32_e32 v68, 5, v51
	v_lshlrev_b32_e32 v69, 2, v51
	v_lshlrev_b32_e32 v51, 9, v51
	;; [unrolled: 1-line block ×6, first 2 shown]
	v_lshrrev_b32_e32 v75, 12, v38
	v_lshrrev_b32_e32 v76, 5, v38
	v_lshlrev_b32_e32 v77, 2, v38
	v_and_b32_e32 v51, 0x10000000, v51
	v_lshlrev_b32_e32 v38, 9, v38
	v_lshrrev_b32_e32 v78, 16, v52
	s_delay_alu instid0(VALU_DEP_2)
	v_and_b32_e32 v38, 0x10000000, v38
	s_wait_loadcnt 0x15
	v_and_b32_e32 v55, 0xf0f0f0f, v19
	v_lshrrev_b32_e32 v19, 4, v19
	s_wait_loadcnt 0x13
	v_pk_mul_f16 v56, v37, v56
	s_wait_loadcnt 0x12
	v_pk_mul_f16 v57, v37, v57
	;; [unrolled: 2-line block ×4, first 2 shown]
	v_and_b32_e32 v19, 0xf0f0f0f, v19
	s_wait_loadcnt 0xd
	v_pk_mul_f16 v60, v37, v60
	s_wait_loadcnt 0xc
	v_pk_mul_f16 v61, v37, v61
	s_wait_loadcnt 0xb
	v_pk_mul_f16 v37, v37, v62
	v_and_b32_e32 v62, 16, v63
	v_and_b32_e32 v63, 0x1000, v64
	;; [unrolled: 1-line block ×7, first 2 shown]
	v_or3_b32 v55, v62, v55, v63
	v_and_b32_e32 v69, 16, v71
	v_and_b32_e32 v71, 0x1000, v72
	;; [unrolled: 1-line block ×3, first 2 shown]
	v_lshrrev_b32_e32 v80, 16, v58
	v_or3_b32 v62, v67, v66, v68
	v_or3_b32 v55, v55, v64, v65
	v_and_b32_e32 v73, 0x10000000, v74
	v_and_b32_e32 v74, 16, v75
	;; [unrolled: 1-line block ×4, first 2 shown]
	v_or3_b32 v63, v71, v69, v72
	v_cvt_f32_f16_e32 v71, v80
	v_and_b32_e32 v70, 0xf0f0f0f, v20
	v_lshrrev_b32_e32 v20, 4, v20
	v_or3_b32 v19, v62, v51, v19
	v_dot4_i32_iu8 v21, v55, v21, 0 neg_lo:[1,1,0]
	s_wait_loadcnt 0xa
	v_dot4_i32_iu8 v27, v55, v27, 0 neg_lo:[1,1,0]
	s_wait_loadcnt 0x9
	;; [unrolled: 2-line block ×7, first 2 shown]
	v_dot4_i32_iu8 v45, v55, v45, 0 neg_lo:[1,1,0]
	v_and_b32_e32 v20, 0xf0f0f0f, v20
	v_or3_b32 v66, v75, v74, v76
	v_or3_b32 v51, v63, v73, v70
	v_dot4_i32_iu8 v17, v19, v17, v21 neg_lo:[1,1,0]
	v_dot4_i32_iu8 v21, v19, v53, v27 neg_lo:[1,1,0]
	s_wait_loadcnt 0x3
	v_dot4_i32_iu8 v27, v19, v41, v29 neg_lo:[1,1,0]
	s_wait_loadcnt 0x2
	v_dot4_i32_iu8 v29, v19, v43, v31 neg_lo:[1,1,0]
	v_dot4_i32_iu8 v23, v19, v23, v33 neg_lo:[1,1,0]
	v_dot4_i32_iu8 v25, v19, v25, v35 neg_lo:[1,1,0]
	s_wait_loadcnt 0x1
	v_dot4_i32_iu8 v31, v19, v47, v39 neg_lo:[1,1,0]
	s_wait_loadcnt 0x0
	v_dot4_i32_iu8 v19, v19, v49, v45 neg_lo:[1,1,0]
	v_cvt_f32_f16_e32 v77, v78
	v_lshrrev_b32_e32 v78, 16, v57
	v_lshrrev_b32_e32 v79, 16, v56
	;; [unrolled: 1-line block ×6, first 2 shown]
	v_or3_b32 v20, v66, v38, v20
	v_dot4_i32_iu8 v17, v51, v22, v17 neg_lo:[1,1,0]
	v_dot4_i32_iu8 v21, v51, v28, v21 neg_lo:[1,1,0]
	;; [unrolled: 1-line block ×8, first 2 shown]
	v_cvt_f32_f16_e32 v68, v78
	v_cvt_f32_f16_e32 v69, v79
	;; [unrolled: 1-line block ×6, first 2 shown]
	v_dot4_i32_iu8 v17, v20, v18, v17 neg_lo:[1,1,0]
	v_dot4_i32_iu8 v18, v20, v54, v21 neg_lo:[1,1,0]
	;; [unrolled: 1-line block ×8, first 2 shown]
	v_dual_mul_f32 v67, 0.5, v77 :: v_dual_mul_f32 v38, 0.5, v68
	v_dual_mul_f32 v62, 0.5, v69 :: v_dual_mul_f32 v63, 0.5, v71
	;; [unrolled: 1-line block ×3, first 2 shown]
	v_mul_f32_e32 v66, 0.5, v75
	v_mul_f32_e32 v68, 0.5, v76
	v_cvt_f32_i32_e32 v17, v17
	v_cvt_f32_i32_e32 v18, v18
	;; [unrolled: 1-line block ×8, first 2 shown]
	v_fma_mix_f32 v17, v17, v52, v67 op_sel_hi:[0,1,0]
	v_fma_mix_f32 v18, v18, v57, v38 op_sel_hi:[0,1,0]
	;; [unrolled: 1-line block ×8, first 2 shown]
	v_add_f32_e32 v12, v12, v17
	v_add_f32_e32 v10, v10, v18
	v_dual_add_f32 v8, v8, v20 :: v_dual_add_f32 v7, v7, v21
	v_dual_add_f32 v5, v5, v22 :: v_dual_add_f32 v4, v4, v23
	;; [unrolled: 1-line block ×3, first 2 shown]
	s_wait_alu 0xfffe
	s_and_not1_b32 exec_lo, exec_lo, s3
	s_cbranch_execnz .LBB59_2
; %bb.3:
	s_or_b32 exec_lo, exec_lo, s3
.LBB59_4:
	s_delay_alu instid0(SALU_CYCLE_1)
	s_or_b32 exec_lo, exec_lo, s21
	s_mov_b32 s3, 0
	; wave barrier
	global_inv scope:SCOPE_SE
	s_mov_b32 s2, exec_lo
	v_cmpx_eq_u32_e32 0, v9
	s_cbranch_execz .LBB59_21
; %bb.5:
	v_mbcnt_lo_u32_b32 v13, -1, 0
	s_load_b64 s[0:1], s[0:1], 0x38
	s_mul_i32 s2, s10, s19
	s_mul_i32 s4, s18, s20
	s_wait_alu 0xfffe
	s_add_co_i32 s2, s2, ttmp9
	v_xor_b32_e32 v0, 16, v13
	v_xor_b32_e32 v1, 8, v13
	s_wait_alu 0xfffe
	s_add_co_i32 s2, s2, s4
	s_wait_alu 0xfffe
	s_lshl_b64 s[2:3], s[2:3], 2
	v_cmp_gt_i32_e32 vcc_lo, 32, v0
	s_wait_alu 0xfffd
	v_cndmask_b32_e32 v0, v13, v0, vcc_lo
	v_cmp_gt_i32_e32 vcc_lo, 32, v1
	s_wait_alu 0xfffd
	v_cndmask_b32_e32 v1, v13, v1, vcc_lo
	s_wait_kmcnt 0x0
	s_wait_alu 0xfffe
	s_add_nc_u64 s[0:1], s[0:1], s[2:3]
	s_delay_alu instid0(VALU_DEP_1)
	v_lshlrev_b32_e32 v1, 2, v1
	v_lshlrev_b32_e32 v0, 2, v0
	ds_bpermute_b32 v9, v0, v12
	s_wait_dscnt 0x0
	v_add_f32_e32 v11, v12, v9
	v_xor_b32_e32 v9, 4, v13
	ds_bpermute_b32 v12, v1, v11
	v_cmp_gt_i32_e32 vcc_lo, 32, v9
	s_wait_dscnt 0x0
	s_wait_alu 0xfffd
	v_dual_add_f32 v12, v11, v12 :: v_dual_cndmask_b32 v9, v13, v9
	v_xor_b32_e32 v11, 2, v13
	s_delay_alu instid0(VALU_DEP_2) | instskip(NEXT) | instid1(VALU_DEP_2)
	v_lshlrev_b32_e32 v9, 2, v9
	v_cmp_gt_i32_e32 vcc_lo, 32, v11
	ds_bpermute_b32 v14, v9, v12
	s_wait_dscnt 0x0
	s_wait_alu 0xfffd
	v_dual_cndmask_b32 v11, v13, v11 :: v_dual_add_f32 v14, v12, v14
	v_xor_b32_e32 v12, 1, v13
	s_delay_alu instid0(VALU_DEP_1) | instskip(SKIP_3) | instid1(VALU_DEP_2)
	v_cmp_gt_i32_e32 vcc_lo, 32, v12
	s_wait_alu 0xfffd
	v_cndmask_b32_e32 v12, v13, v12, vcc_lo
	v_cmp_eq_u32_e32 vcc_lo, 0, v6
	v_lshlrev_b32_e32 v12, 2, v12
	v_lshlrev_b32_e32 v11, 2, v11
	ds_bpermute_b32 v15, v11, v14
	s_wait_dscnt 0x0
	v_add_f32_e32 v13, v14, v15
	ds_bpermute_b32 v14, v12, v13
	s_and_saveexec_b32 s2, vcc_lo
	s_cbranch_execz .LBB59_7
; %bb.6:
	s_wait_dscnt 0x0
	v_dual_add_f32 v6, v13, v14 :: v_dual_mov_b32 v13, 0
	global_store_b32 v13, v6, s[0:1]
.LBB59_7:
	s_wait_alu 0xfffe
	s_or_b32 exec_lo, exec_lo, s2
	ds_bpermute_b32 v6, v0, v10
	s_wait_dscnt 0x0
	v_add_f32_e32 v6, v10, v6
	ds_bpermute_b32 v10, v1, v6
	s_wait_dscnt 0x0
	v_add_f32_e32 v6, v6, v10
	;; [unrolled: 3-line block ×4, first 2 shown]
	ds_bpermute_b32 v10, v12, v6
	s_and_saveexec_b32 s2, vcc_lo
	s_cbranch_execz .LBB59_9
; %bb.8:
	s_mov_b32 s7, 0
	s_wait_dscnt 0x0
	v_add_f32_e32 v6, v6, v10
	v_mov_b32_e32 v10, 0
	s_wait_alu 0xfffe
	s_lshl_b64 s[4:5], s[6:7], 2
	s_wait_alu 0xfffe
	s_add_nc_u64 s[4:5], s[0:1], s[4:5]
	global_store_b32 v10, v6, s[4:5]
.LBB59_9:
	s_wait_alu 0xfffe
	s_or_b32 exec_lo, exec_lo, s2
	ds_bpermute_b32 v6, v0, v8
	s_wait_dscnt 0x0
	v_add_f32_e32 v6, v8, v6
	ds_bpermute_b32 v8, v1, v6
	s_wait_dscnt 0x0
	v_add_f32_e32 v6, v6, v8
	ds_bpermute_b32 v8, v9, v6
	s_wait_dscnt 0x0
	v_add_f32_e32 v6, v6, v8
	ds_bpermute_b32 v8, v11, v6
	s_wait_dscnt 0x0
	v_add_f32_e32 v6, v6, v8
	ds_bpermute_b32 v8, v12, v6
	s_and_saveexec_b32 s2, vcc_lo
	s_cbranch_execz .LBB59_11
; %bb.10:
	s_lshl_b32 s4, s6, 1
	s_mov_b32 s5, 0
	s_wait_dscnt 0x0
	v_add_f32_e32 v6, v6, v8
	v_mov_b32_e32 v8, 0
	s_wait_alu 0xfffe
	s_lshl_b64 s[4:5], s[4:5], 2
	s_wait_alu 0xfffe
	s_add_nc_u64 s[4:5], s[0:1], s[4:5]
	global_store_b32 v8, v6, s[4:5]
.LBB59_11:
	s_wait_alu 0xfffe
	s_or_b32 exec_lo, exec_lo, s2
	ds_bpermute_b32 v6, v0, v7
	s_wait_dscnt 0x0
	v_add_f32_e32 v6, v7, v6
	ds_bpermute_b32 v7, v1, v6
	s_wait_dscnt 0x0
	v_add_f32_e32 v6, v6, v7
	;; [unrolled: 3-line block ×4, first 2 shown]
	ds_bpermute_b32 v7, v12, v6
	s_and_saveexec_b32 s2, vcc_lo
	s_cbranch_execz .LBB59_13
; %bb.12:
	s_mul_i32 s4, s6, 3
	s_mov_b32 s5, 0
	s_wait_dscnt 0x0
	v_dual_add_f32 v6, v6, v7 :: v_dual_mov_b32 v7, 0
	s_wait_alu 0xfffe
	s_lshl_b64 s[4:5], s[4:5], 2
	s_wait_alu 0xfffe
	s_add_nc_u64 s[4:5], s[0:1], s[4:5]
	global_store_b32 v7, v6, s[4:5]
.LBB59_13:
	s_wait_alu 0xfffe
	s_or_b32 exec_lo, exec_lo, s2
	ds_bpermute_b32 v6, v0, v5
	s_wait_dscnt 0x0
	v_add_f32_e32 v5, v5, v6
	ds_bpermute_b32 v6, v1, v5
	s_wait_dscnt 0x0
	v_add_f32_e32 v5, v5, v6
	;; [unrolled: 3-line block ×4, first 2 shown]
	ds_bpermute_b32 v6, v12, v5
	s_and_saveexec_b32 s2, vcc_lo
	s_cbranch_execz .LBB59_15
; %bb.14:
	s_lshl_b32 s4, s6, 2
	s_mov_b32 s5, 0
	s_wait_dscnt 0x0
	v_dual_add_f32 v5, v5, v6 :: v_dual_mov_b32 v6, 0
	s_wait_alu 0xfffe
	s_lshl_b64 s[4:5], s[4:5], 2
	s_wait_alu 0xfffe
	s_add_nc_u64 s[4:5], s[0:1], s[4:5]
	global_store_b32 v6, v5, s[4:5]
.LBB59_15:
	s_wait_alu 0xfffe
	s_or_b32 exec_lo, exec_lo, s2
	ds_bpermute_b32 v5, v0, v4
	s_wait_dscnt 0x0
	v_add_f32_e32 v4, v4, v5
	ds_bpermute_b32 v5, v1, v4
	s_wait_dscnt 0x0
	v_add_f32_e32 v4, v4, v5
	ds_bpermute_b32 v5, v9, v4
	s_wait_dscnt 0x0
	v_add_f32_e32 v4, v4, v5
	ds_bpermute_b32 v5, v11, v4
	s_wait_dscnt 0x0
	v_add_f32_e32 v4, v4, v5
	ds_bpermute_b32 v5, v12, v4
	s_and_saveexec_b32 s2, vcc_lo
	s_cbranch_execz .LBB59_17
; %bb.16:
	s_mul_i32 s4, s6, 5
	s_mov_b32 s5, 0
	s_wait_dscnt 0x0
	v_dual_add_f32 v4, v4, v5 :: v_dual_mov_b32 v5, 0
	s_wait_alu 0xfffe
	s_lshl_b64 s[4:5], s[4:5], 2
	s_wait_alu 0xfffe
	s_add_nc_u64 s[4:5], s[0:1], s[4:5]
	global_store_b32 v5, v4, s[4:5]
.LBB59_17:
	s_wait_alu 0xfffe
	s_or_b32 exec_lo, exec_lo, s2
	ds_bpermute_b32 v4, v0, v3
	s_wait_dscnt 0x0
	v_add_f32_e32 v3, v3, v4
	ds_bpermute_b32 v4, v1, v3
	s_wait_dscnt 0x0
	v_add_f32_e32 v3, v3, v4
	;; [unrolled: 3-line block ×4, first 2 shown]
	ds_bpermute_b32 v4, v12, v3
	s_and_saveexec_b32 s2, vcc_lo
	s_cbranch_execz .LBB59_19
; %bb.18:
	s_mul_i32 s4, s6, 6
	s_mov_b32 s5, 0
	s_wait_dscnt 0x0
	v_dual_add_f32 v3, v3, v4 :: v_dual_mov_b32 v4, 0
	s_wait_alu 0xfffe
	s_lshl_b64 s[4:5], s[4:5], 2
	s_wait_alu 0xfffe
	s_add_nc_u64 s[4:5], s[0:1], s[4:5]
	global_store_b32 v4, v3, s[4:5]
.LBB59_19:
	s_wait_alu 0xfffe
	s_or_b32 exec_lo, exec_lo, s2
	ds_bpermute_b32 v0, v0, v2
	s_wait_dscnt 0x0
	v_add_f32_e32 v0, v2, v0
	ds_bpermute_b32 v1, v1, v0
	s_wait_dscnt 0x0
	v_add_f32_e32 v0, v0, v1
	;; [unrolled: 3-line block ×4, first 2 shown]
	ds_bpermute_b32 v1, v12, v0
	s_and_b32 exec_lo, exec_lo, vcc_lo
	s_cbranch_execz .LBB59_21
; %bb.20:
	s_mul_i32 s2, s6, 7
	s_mov_b32 s3, 0
	s_wait_dscnt 0x0
	v_dual_add_f32 v0, v0, v1 :: v_dual_mov_b32 v1, 0
	s_wait_alu 0xfffe
	s_lshl_b64 s[2:3], s[2:3], 2
	s_wait_alu 0xfffe
	s_add_nc_u64 s[0:1], s[0:1], s[2:3]
	global_store_b32 v1, v0, s[0:1]
.LBB59_21:
	s_endpgm
	.section	.rodata,"a",@progbits
	.p2align	6, 0x0
	.amdhsa_kernel _ZL13mul_mat_vec_qIL9ggml_type7ELi8ELb0ELb0EEvPKvS2_PKi31ggml_cuda_mm_fusion_args_devicePfj15HIP_vector_typeIjLj3EEjjjS8_jjjS8_jjjj
		.amdhsa_group_segment_fixed_size 0
		.amdhsa_private_segment_fixed_size 0
		.amdhsa_kernarg_size 144
		.amdhsa_user_sgpr_count 2
		.amdhsa_user_sgpr_dispatch_ptr 0
		.amdhsa_user_sgpr_queue_ptr 0
		.amdhsa_user_sgpr_kernarg_segment_ptr 1
		.amdhsa_user_sgpr_dispatch_id 0
		.amdhsa_user_sgpr_private_segment_size 0
		.amdhsa_wavefront_size32 1
		.amdhsa_uses_dynamic_stack 0
		.amdhsa_enable_private_segment 0
		.amdhsa_system_sgpr_workgroup_id_x 1
		.amdhsa_system_sgpr_workgroup_id_y 1
		.amdhsa_system_sgpr_workgroup_id_z 1
		.amdhsa_system_sgpr_workgroup_info 0
		.amdhsa_system_vgpr_workitem_id 1
		.amdhsa_next_free_vgpr 85
		.amdhsa_next_free_sgpr 30
		.amdhsa_reserve_vcc 1
		.amdhsa_float_round_mode_32 0
		.amdhsa_float_round_mode_16_64 0
		.amdhsa_float_denorm_mode_32 3
		.amdhsa_float_denorm_mode_16_64 3
		.amdhsa_fp16_overflow 0
		.amdhsa_workgroup_processor_mode 1
		.amdhsa_memory_ordered 1
		.amdhsa_forward_progress 1
		.amdhsa_inst_pref_size 25
		.amdhsa_round_robin_scheduling 0
		.amdhsa_exception_fp_ieee_invalid_op 0
		.amdhsa_exception_fp_denorm_src 0
		.amdhsa_exception_fp_ieee_div_zero 0
		.amdhsa_exception_fp_ieee_overflow 0
		.amdhsa_exception_fp_ieee_underflow 0
		.amdhsa_exception_fp_ieee_inexact 0
		.amdhsa_exception_int_div_zero 0
	.end_amdhsa_kernel
	.section	.text._ZL13mul_mat_vec_qIL9ggml_type7ELi8ELb0ELb0EEvPKvS2_PKi31ggml_cuda_mm_fusion_args_devicePfj15HIP_vector_typeIjLj3EEjjjS8_jjjS8_jjjj,"axG",@progbits,_ZL13mul_mat_vec_qIL9ggml_type7ELi8ELb0ELb0EEvPKvS2_PKi31ggml_cuda_mm_fusion_args_devicePfj15HIP_vector_typeIjLj3EEjjjS8_jjjS8_jjjj,comdat
.Lfunc_end59:
	.size	_ZL13mul_mat_vec_qIL9ggml_type7ELi8ELb0ELb0EEvPKvS2_PKi31ggml_cuda_mm_fusion_args_devicePfj15HIP_vector_typeIjLj3EEjjjS8_jjjS8_jjjj, .Lfunc_end59-_ZL13mul_mat_vec_qIL9ggml_type7ELi8ELb0ELb0EEvPKvS2_PKi31ggml_cuda_mm_fusion_args_devicePfj15HIP_vector_typeIjLj3EEjjjS8_jjjS8_jjjj
                                        ; -- End function
	.set _ZL13mul_mat_vec_qIL9ggml_type7ELi8ELb0ELb0EEvPKvS2_PKi31ggml_cuda_mm_fusion_args_devicePfj15HIP_vector_typeIjLj3EEjjjS8_jjjS8_jjjj.num_vgpr, 85
	.set _ZL13mul_mat_vec_qIL9ggml_type7ELi8ELb0ELb0EEvPKvS2_PKi31ggml_cuda_mm_fusion_args_devicePfj15HIP_vector_typeIjLj3EEjjjS8_jjjS8_jjjj.num_agpr, 0
	.set _ZL13mul_mat_vec_qIL9ggml_type7ELi8ELb0ELb0EEvPKvS2_PKi31ggml_cuda_mm_fusion_args_devicePfj15HIP_vector_typeIjLj3EEjjjS8_jjjS8_jjjj.numbered_sgpr, 30
	.set _ZL13mul_mat_vec_qIL9ggml_type7ELi8ELb0ELb0EEvPKvS2_PKi31ggml_cuda_mm_fusion_args_devicePfj15HIP_vector_typeIjLj3EEjjjS8_jjjS8_jjjj.num_named_barrier, 0
	.set _ZL13mul_mat_vec_qIL9ggml_type7ELi8ELb0ELb0EEvPKvS2_PKi31ggml_cuda_mm_fusion_args_devicePfj15HIP_vector_typeIjLj3EEjjjS8_jjjS8_jjjj.private_seg_size, 0
	.set _ZL13mul_mat_vec_qIL9ggml_type7ELi8ELb0ELb0EEvPKvS2_PKi31ggml_cuda_mm_fusion_args_devicePfj15HIP_vector_typeIjLj3EEjjjS8_jjjS8_jjjj.uses_vcc, 1
	.set _ZL13mul_mat_vec_qIL9ggml_type7ELi8ELb0ELb0EEvPKvS2_PKi31ggml_cuda_mm_fusion_args_devicePfj15HIP_vector_typeIjLj3EEjjjS8_jjjS8_jjjj.uses_flat_scratch, 0
	.set _ZL13mul_mat_vec_qIL9ggml_type7ELi8ELb0ELb0EEvPKvS2_PKi31ggml_cuda_mm_fusion_args_devicePfj15HIP_vector_typeIjLj3EEjjjS8_jjjS8_jjjj.has_dyn_sized_stack, 0
	.set _ZL13mul_mat_vec_qIL9ggml_type7ELi8ELb0ELb0EEvPKvS2_PKi31ggml_cuda_mm_fusion_args_devicePfj15HIP_vector_typeIjLj3EEjjjS8_jjjS8_jjjj.has_recursion, 0
	.set _ZL13mul_mat_vec_qIL9ggml_type7ELi8ELb0ELb0EEvPKvS2_PKi31ggml_cuda_mm_fusion_args_devicePfj15HIP_vector_typeIjLj3EEjjjS8_jjjS8_jjjj.has_indirect_call, 0
	.section	.AMDGPU.csdata,"",@progbits
; Kernel info:
; codeLenInByte = 3200
; TotalNumSgprs: 32
; NumVgprs: 85
; ScratchSize: 0
; MemoryBound: 0
; FloatMode: 240
; IeeeMode: 1
; LDSByteSize: 0 bytes/workgroup (compile time only)
; SGPRBlocks: 0
; VGPRBlocks: 10
; NumSGPRsForWavesPerEU: 32
; NumVGPRsForWavesPerEU: 85
; Occupancy: 16
; WaveLimiterHint : 0
; COMPUTE_PGM_RSRC2:SCRATCH_EN: 0
; COMPUTE_PGM_RSRC2:USER_SGPR: 2
; COMPUTE_PGM_RSRC2:TRAP_HANDLER: 0
; COMPUTE_PGM_RSRC2:TGID_X_EN: 1
; COMPUTE_PGM_RSRC2:TGID_Y_EN: 1
; COMPUTE_PGM_RSRC2:TGID_Z_EN: 1
; COMPUTE_PGM_RSRC2:TIDIG_COMP_CNT: 1
	.section	.text._ZL17mul_mat_vec_q_moeIL9ggml_type8ELi2EEvPKvS2_PKiPfj15HIP_vector_typeIjLj3EEjjjjjjjjj,"axG",@progbits,_ZL17mul_mat_vec_q_moeIL9ggml_type8ELi2EEvPKvS2_PKiPfj15HIP_vector_typeIjLj3EEjjjjjjjjj,comdat
	.globl	_ZL17mul_mat_vec_q_moeIL9ggml_type8ELi2EEvPKvS2_PKiPfj15HIP_vector_typeIjLj3EEjjjjjjjjj ; -- Begin function _ZL17mul_mat_vec_q_moeIL9ggml_type8ELi2EEvPKvS2_PKiPfj15HIP_vector_typeIjLj3EEjjjjjjjjj
	.p2align	8
	.type	_ZL17mul_mat_vec_q_moeIL9ggml_type8ELi2EEvPKvS2_PKiPfj15HIP_vector_typeIjLj3EEjjjjjjjjj,@function
_ZL17mul_mat_vec_q_moeIL9ggml_type8ELi2EEvPKvS2_PKiPfj15HIP_vector_typeIjLj3EEjjjjjjjjj: ; @_ZL17mul_mat_vec_q_moeIL9ggml_type8ELi2EEvPKvS2_PKiPfj15HIP_vector_typeIjLj3EEjjjjjjjjj
; %bb.0:
	s_load_b256 s[4:11], s[0:1], 0x30
	v_bfe_u32 v6, v0, 10, 10
	s_mov_b32 s2, exec_lo
	s_wait_kmcnt 0x0
	s_delay_alu instid0(VALU_DEP_1)
	v_cmpx_gt_u32_e64 s11, v6
	s_cbranch_execz .LBB60_7
; %bb.1:
	s_clause 0x2
	s_load_b32 s2, s[0:1], 0x20
	s_load_b32 s20, s[0:1], 0x50
	s_load_b256 s[12:19], s[0:1], 0x0
	v_bfe_u32 v8, v0, 2, 8
	v_dual_mov_b32 v0, 0 :: v_dual_and_b32 v7, 0x3ff, v0
	v_mov_b32_e32 v1, 0
	s_mov_b32 s11, exec_lo
	s_wait_kmcnt 0x0
	s_lshr_b32 s3, s2, 5
	s_lshl_b32 s2, ttmp9, 1
	v_cmpx_gt_u32_e64 s3, v8
	s_cbranch_execz .LBB60_5
; %bb.2:
	s_mov_b32 s22, ttmp7
	v_lshrrev_b32_e32 v9, 2, v7
	v_mad_co_u64_u32 v[0:1], null, s20, v6, s[22:23]
	v_dual_mov_b32 v1, 0 :: v_dual_lshlrev_b32 v4, 2, v7
	s_load_b96 s[20:22], s[0:1], 0x24
	s_mov_b32 s1, 0
	v_and_b32_e32 v5, 3, v7
	s_delay_alu instid0(VALU_DEP_2) | instskip(NEXT) | instid1(VALU_DEP_4)
	v_and_b32_e32 v12, 12, v4
	v_lshlrev_b64_e32 v[2:3], 2, v[0:1]
	s_delay_alu instid0(VALU_DEP_1) | instskip(NEXT) | instid1(VALU_DEP_1)
	v_add_co_u32 v2, vcc_lo, s16, v2
	v_add_co_ci_u32_e64 v3, null, s17, v3, vcc_lo
	global_load_b32 v0, v[2:3], off
	v_mul_lo_u32 v2, s6, v6
	s_wait_kmcnt 0x0
	s_mul_hi_u32 s0, s20, ttmp7
	s_add_co_i32 s6, s2, 1
	s_add_co_i32 s0, ttmp7, s0
	s_delay_alu instid0(SALU_CYCLE_1) | instskip(NEXT) | instid1(SALU_CYCLE_1)
	s_lshr_b32 s0, s0, s21
	s_mul_i32 s0, s0, s22
	s_delay_alu instid0(VALU_DEP_1) | instskip(SKIP_1) | instid1(SALU_CYCLE_1)
	v_mad_co_u64_u32 v[2:3], null, v2, 36, 0
	s_sub_co_i32 s0, ttmp7, s0
	s_mul_i32 s0, s0, s9
	v_mad_co_u64_u32 v[10:11], null, v9, 36, v[2:3]
	s_wait_loadcnt 0x0
	v_mul_lo_u32 v0, v0, s8
	s_mul_u64 s[8:9], s[0:1], 36
	s_wait_alu 0xfffe
	s_add_nc_u64 s[8:9], s[14:15], s[8:9]
	s_delay_alu instid0(VALU_DEP_1)
	v_mad_co_u64_u32 v[2:3], null, s2, s5, v[0:1]
	v_mad_co_u64_u32 v[3:4], null, s5, s6, v[0:1]
	s_wait_alu 0xfffe
	v_add_co_u32 v4, vcc_lo, s8, v10
	v_lshlrev_b32_e32 v10, 1, v12
	v_dual_mov_b32 v0, v1 :: v_dual_lshlrev_b32 v9, 3, v5
	s_wait_alu 0xfffd
	v_add_co_ci_u32_e64 v5, null, s9, v11, vcc_lo
.LBB60_3:                               ; =>This Inner Loop Header: Depth=1
	v_add_nc_u32_e32 v13, v2, v8
	v_add_nc_u32_e32 v15, v3, v8
	v_add_co_u32 v11, vcc_lo, v4, v9
	s_wait_alu 0xfffd
	v_add_co_ci_u32_e64 v12, null, 0, v5, vcc_lo
	v_mad_co_i64_i32 v[13:14], null, v13, 34, s[12:13]
	v_mad_co_i64_i32 v[15:16], null, v15, 34, s[12:13]
	s_delay_alu instid0(VALU_DEP_2) | instskip(SKIP_1) | instid1(VALU_DEP_3)
	v_add_co_u32 v17, vcc_lo, v13, v10
	s_wait_alu 0xfffd
	v_add_co_ci_u32_e64 v18, null, 0, v14, vcc_lo
	s_delay_alu instid0(VALU_DEP_3) | instskip(SKIP_1) | instid1(VALU_DEP_4)
	v_add_co_u32 v19, vcc_lo, v15, v10
	s_wait_alu 0xfffd
	v_add_co_ci_u32_e64 v20, null, 0, v16, vcc_lo
	s_clause 0x1
	global_load_b32 v21, v[4:5], off
	global_load_b64 v[11:12], v[11:12], off offset:4
	s_clause 0x3
	global_load_b64 v[17:18], v[17:18], off offset:2
	global_load_b64 v[19:20], v[19:20], off offset:2
	global_load_u16 v15, v[15:16], off
	global_load_u16 v13, v[13:14], off
	v_add_co_u32 v4, vcc_lo, 0x120, v4
	s_wait_alu 0xfffd
	v_add_co_ci_u32_e64 v5, null, 0, v5, vcc_lo
	s_wait_loadcnt 0x5
	v_cvt_f32_f16_e32 v14, v21
	s_wait_loadcnt 0x3
	v_dot4_i32_iu8 v16, v17, v11, 0 neg_lo:[1,1,0]
	s_wait_loadcnt 0x2
	v_dot4_i32_iu8 v11, v19, v11, 0 neg_lo:[1,1,0]
	s_wait_loadcnt 0x1
	v_cvt_f32_f16_e32 v15, v15
	s_wait_loadcnt 0x0
	v_cvt_f32_f16_e32 v13, v13
	v_add_nc_u32_e32 v8, 8, v8
	v_dot4_i32_iu8 v16, v18, v12, v16 neg_lo:[1,1,0]
	v_dot4_i32_iu8 v11, v20, v12, v11 neg_lo:[1,1,0]
	s_delay_alu instid0(VALU_DEP_4) | instskip(SKIP_1) | instid1(VALU_DEP_4)
	v_mul_f32_e32 v12, v13, v14
	v_mul_f32_e32 v13, v15, v14
	v_cvt_f32_i32_e32 v14, v16
	s_delay_alu instid0(VALU_DEP_4) | instskip(SKIP_1) | instid1(VALU_DEP_2)
	v_cvt_f32_i32_e32 v11, v11
	v_cmp_le_u32_e64 s0, s3, v8
	v_dual_fmac_f32 v1, v12, v14 :: v_dual_fmac_f32 v0, v13, v11
	s_or_b32 s1, s0, s1
	s_delay_alu instid0(SALU_CYCLE_1)
	s_and_not1_b32 exec_lo, exec_lo, s1
	s_cbranch_execnz .LBB60_3
; %bb.4:
	s_or_b32 exec_lo, exec_lo, s1
.LBB60_5:
	s_wait_alu 0xfffe
	s_or_b32 exec_lo, exec_lo, s11
	v_mbcnt_lo_u32_b32 v2, -1, 0
	s_delay_alu instid0(VALU_DEP_1) | instskip(SKIP_1) | instid1(VALU_DEP_2)
	v_xor_b32_e32 v3, 16, v2
	v_xor_b32_e32 v5, 8, v2
	v_cmp_gt_i32_e32 vcc_lo, 32, v3
	s_wait_alu 0xfffd
	v_cndmask_b32_e32 v3, v2, v3, vcc_lo
	s_delay_alu instid0(VALU_DEP_3) | instskip(NEXT) | instid1(VALU_DEP_2)
	v_cmp_gt_i32_e32 vcc_lo, 32, v5
	v_lshlrev_b32_e32 v3, 2, v3
	ds_bpermute_b32 v4, v3, v1
	ds_bpermute_b32 v3, v3, v0
	s_wait_alu 0xfffd
	v_cndmask_b32_e32 v5, v2, v5, vcc_lo
	s_wait_dscnt 0x0
	v_dual_add_f32 v1, v1, v4 :: v_dual_add_f32 v0, v0, v3
	s_delay_alu instid0(VALU_DEP_2) | instskip(SKIP_3) | instid1(VALU_DEP_1)
	v_lshlrev_b32_e32 v5, 2, v5
	ds_bpermute_b32 v3, v5, v1
	ds_bpermute_b32 v4, v5, v0
	v_xor_b32_e32 v5, 4, v2
	v_cmp_gt_i32_e32 vcc_lo, 32, v5
	s_wait_alu 0xfffd
	v_cndmask_b32_e32 v5, v2, v5, vcc_lo
	s_delay_alu instid0(VALU_DEP_1)
	v_lshlrev_b32_e32 v5, 2, v5
	s_wait_dscnt 0x0
	v_dual_add_f32 v1, v1, v3 :: v_dual_add_f32 v0, v0, v4
	ds_bpermute_b32 v3, v5, v1
	ds_bpermute_b32 v4, v5, v0
	v_xor_b32_e32 v5, 2, v2
	s_delay_alu instid0(VALU_DEP_1) | instskip(SKIP_2) | instid1(VALU_DEP_1)
	v_cmp_gt_i32_e32 vcc_lo, 32, v5
	s_wait_alu 0xfffd
	v_cndmask_b32_e32 v5, v2, v5, vcc_lo
	v_lshlrev_b32_e32 v5, 2, v5
	s_wait_dscnt 0x1
	v_add_f32_e32 v1, v1, v3
	s_wait_dscnt 0x0
	v_add_f32_e32 v3, v0, v4
	ds_bpermute_b32 v0, v5, v1
	ds_bpermute_b32 v4, v5, v3
	v_xor_b32_e32 v5, 1, v2
	s_delay_alu instid0(VALU_DEP_1) | instskip(SKIP_4) | instid1(VALU_DEP_2)
	v_cmp_gt_i32_e32 vcc_lo, 32, v5
	s_wait_alu 0xfffd
	v_cndmask_b32_e32 v2, v2, v5, vcc_lo
	v_cmp_gt_u32_e32 vcc_lo, 2, v7
	s_wait_dscnt 0x1
	v_dual_add_f32 v0, v1, v0 :: v_dual_lshlrev_b32 v5, 2, v2
	s_wait_dscnt 0x0
	v_dual_add_f32 v1, v3, v4 :: v_dual_add_nc_u32 v4, s2, v7
	ds_bpermute_b32 v2, v5, v0
	ds_bpermute_b32 v3, v5, v1
	v_cmp_gt_u32_e64 s0, s4, v4
	s_and_b32 s0, vcc_lo, s0
	s_delay_alu instid0(SALU_CYCLE_1)
	s_and_b32 exec_lo, exec_lo, s0
	s_cbranch_execz .LBB60_7
; %bb.6:
	v_mul_lo_u32 v4, s7, v6
	v_or_b32_e32 v6, s2, v7
	s_mul_i32 s0, s10, ttmp7
	s_wait_dscnt 0x1
	v_dual_mov_b32 v5, 0 :: v_dual_add_f32 v2, v0, v2
	s_wait_dscnt 0x0
	v_add_f32_e32 v3, v1, v3
	v_cmp_eq_u32_e32 vcc_lo, 1, v7
	v_add3_u32 v4, v6, v4, s0
	s_wait_alu 0xfffd
	s_delay_alu instid0(VALU_DEP_3) | instskip(NEXT) | instid1(VALU_DEP_2)
	v_cndmask_b32_e32 v2, v2, v3, vcc_lo
	v_lshlrev_b64_e32 v[0:1], 2, v[4:5]
	s_delay_alu instid0(VALU_DEP_1) | instskip(SKIP_1) | instid1(VALU_DEP_2)
	v_add_co_u32 v0, vcc_lo, s18, v0
	s_wait_alu 0xfffd
	v_add_co_ci_u32_e64 v1, null, s19, v1, vcc_lo
	global_store_b32 v[0:1], v2, off
.LBB60_7:
	s_endpgm
	.section	.rodata,"a",@progbits
	.p2align	6, 0x0
	.amdhsa_kernel _ZL17mul_mat_vec_q_moeIL9ggml_type8ELi2EEvPKvS2_PKiPfj15HIP_vector_typeIjLj3EEjjjjjjjjj
		.amdhsa_group_segment_fixed_size 0
		.amdhsa_private_segment_fixed_size 0
		.amdhsa_kernarg_size 84
		.amdhsa_user_sgpr_count 2
		.amdhsa_user_sgpr_dispatch_ptr 0
		.amdhsa_user_sgpr_queue_ptr 0
		.amdhsa_user_sgpr_kernarg_segment_ptr 1
		.amdhsa_user_sgpr_dispatch_id 0
		.amdhsa_user_sgpr_private_segment_size 0
		.amdhsa_wavefront_size32 1
		.amdhsa_uses_dynamic_stack 0
		.amdhsa_enable_private_segment 0
		.amdhsa_system_sgpr_workgroup_id_x 1
		.amdhsa_system_sgpr_workgroup_id_y 1
		.amdhsa_system_sgpr_workgroup_id_z 0
		.amdhsa_system_sgpr_workgroup_info 0
		.amdhsa_system_vgpr_workitem_id 1
		.amdhsa_next_free_vgpr 22
		.amdhsa_next_free_sgpr 24
		.amdhsa_reserve_vcc 1
		.amdhsa_float_round_mode_32 0
		.amdhsa_float_round_mode_16_64 0
		.amdhsa_float_denorm_mode_32 3
		.amdhsa_float_denorm_mode_16_64 3
		.amdhsa_fp16_overflow 0
		.amdhsa_workgroup_processor_mode 1
		.amdhsa_memory_ordered 1
		.amdhsa_forward_progress 1
		.amdhsa_inst_pref_size 9
		.amdhsa_round_robin_scheduling 0
		.amdhsa_exception_fp_ieee_invalid_op 0
		.amdhsa_exception_fp_denorm_src 0
		.amdhsa_exception_fp_ieee_div_zero 0
		.amdhsa_exception_fp_ieee_overflow 0
		.amdhsa_exception_fp_ieee_underflow 0
		.amdhsa_exception_fp_ieee_inexact 0
		.amdhsa_exception_int_div_zero 0
	.end_amdhsa_kernel
	.section	.text._ZL17mul_mat_vec_q_moeIL9ggml_type8ELi2EEvPKvS2_PKiPfj15HIP_vector_typeIjLj3EEjjjjjjjjj,"axG",@progbits,_ZL17mul_mat_vec_q_moeIL9ggml_type8ELi2EEvPKvS2_PKiPfj15HIP_vector_typeIjLj3EEjjjjjjjjj,comdat
.Lfunc_end60:
	.size	_ZL17mul_mat_vec_q_moeIL9ggml_type8ELi2EEvPKvS2_PKiPfj15HIP_vector_typeIjLj3EEjjjjjjjjj, .Lfunc_end60-_ZL17mul_mat_vec_q_moeIL9ggml_type8ELi2EEvPKvS2_PKiPfj15HIP_vector_typeIjLj3EEjjjjjjjjj
                                        ; -- End function
	.set _ZL17mul_mat_vec_q_moeIL9ggml_type8ELi2EEvPKvS2_PKiPfj15HIP_vector_typeIjLj3EEjjjjjjjjj.num_vgpr, 22
	.set _ZL17mul_mat_vec_q_moeIL9ggml_type8ELi2EEvPKvS2_PKiPfj15HIP_vector_typeIjLj3EEjjjjjjjjj.num_agpr, 0
	.set _ZL17mul_mat_vec_q_moeIL9ggml_type8ELi2EEvPKvS2_PKiPfj15HIP_vector_typeIjLj3EEjjjjjjjjj.numbered_sgpr, 24
	.set _ZL17mul_mat_vec_q_moeIL9ggml_type8ELi2EEvPKvS2_PKiPfj15HIP_vector_typeIjLj3EEjjjjjjjjj.num_named_barrier, 0
	.set _ZL17mul_mat_vec_q_moeIL9ggml_type8ELi2EEvPKvS2_PKiPfj15HIP_vector_typeIjLj3EEjjjjjjjjj.private_seg_size, 0
	.set _ZL17mul_mat_vec_q_moeIL9ggml_type8ELi2EEvPKvS2_PKiPfj15HIP_vector_typeIjLj3EEjjjjjjjjj.uses_vcc, 1
	.set _ZL17mul_mat_vec_q_moeIL9ggml_type8ELi2EEvPKvS2_PKiPfj15HIP_vector_typeIjLj3EEjjjjjjjjj.uses_flat_scratch, 0
	.set _ZL17mul_mat_vec_q_moeIL9ggml_type8ELi2EEvPKvS2_PKiPfj15HIP_vector_typeIjLj3EEjjjjjjjjj.has_dyn_sized_stack, 0
	.set _ZL17mul_mat_vec_q_moeIL9ggml_type8ELi2EEvPKvS2_PKiPfj15HIP_vector_typeIjLj3EEjjjjjjjjj.has_recursion, 0
	.set _ZL17mul_mat_vec_q_moeIL9ggml_type8ELi2EEvPKvS2_PKiPfj15HIP_vector_typeIjLj3EEjjjjjjjjj.has_indirect_call, 0
	.section	.AMDGPU.csdata,"",@progbits
; Kernel info:
; codeLenInByte = 1084
; TotalNumSgprs: 26
; NumVgprs: 22
; ScratchSize: 0
; MemoryBound: 0
; FloatMode: 240
; IeeeMode: 1
; LDSByteSize: 0 bytes/workgroup (compile time only)
; SGPRBlocks: 0
; VGPRBlocks: 2
; NumSGPRsForWavesPerEU: 26
; NumVGPRsForWavesPerEU: 22
; Occupancy: 16
; WaveLimiterHint : 1
; COMPUTE_PGM_RSRC2:SCRATCH_EN: 0
; COMPUTE_PGM_RSRC2:USER_SGPR: 2
; COMPUTE_PGM_RSRC2:TRAP_HANDLER: 0
; COMPUTE_PGM_RSRC2:TGID_X_EN: 1
; COMPUTE_PGM_RSRC2:TGID_Y_EN: 1
; COMPUTE_PGM_RSRC2:TGID_Z_EN: 0
; COMPUTE_PGM_RSRC2:TIDIG_COMP_CNT: 1
	.section	.text._ZL13mul_mat_vec_qIL9ggml_type8ELi1ELb1ELb1EEvPKvS2_PKi31ggml_cuda_mm_fusion_args_devicePfj15HIP_vector_typeIjLj3EEjjjS8_jjjS8_jjjj,"axG",@progbits,_ZL13mul_mat_vec_qIL9ggml_type8ELi1ELb1ELb1EEvPKvS2_PKi31ggml_cuda_mm_fusion_args_devicePfj15HIP_vector_typeIjLj3EEjjjS8_jjjS8_jjjj,comdat
	.globl	_ZL13mul_mat_vec_qIL9ggml_type8ELi1ELb1ELb1EEvPKvS2_PKi31ggml_cuda_mm_fusion_args_devicePfj15HIP_vector_typeIjLj3EEjjjS8_jjjS8_jjjj ; -- Begin function _ZL13mul_mat_vec_qIL9ggml_type8ELi1ELb1ELb1EEvPKvS2_PKi31ggml_cuda_mm_fusion_args_devicePfj15HIP_vector_typeIjLj3EEjjjS8_jjjS8_jjjj
	.p2align	8
	.type	_ZL13mul_mat_vec_qIL9ggml_type8ELi1ELb1ELb1EEvPKvS2_PKi31ggml_cuda_mm_fusion_args_devicePfj15HIP_vector_typeIjLj3EEjjjS8_jjjS8_jjjj,@function
_ZL13mul_mat_vec_qIL9ggml_type8ELi1ELb1ELb1EEvPKvS2_PKi31ggml_cuda_mm_fusion_args_devicePfj15HIP_vector_typeIjLj3EEjjjS8_jjjS8_jjjj: ; @_ZL13mul_mat_vec_qIL9ggml_type8ELi1ELb1ELb1EEvPKvS2_PKi31ggml_cuda_mm_fusion_args_devicePfj15HIP_vector_typeIjLj3EEjjjS8_jjjS8_jjjj
; %bb.0:
	s_clause 0x3
	s_load_b256 s[8:15], s[0:1], 0x0
	s_load_b128 s[16:19], s[0:1], 0x20
	s_load_b128 s[20:23], s[0:1], 0x40
	;; [unrolled: 1-line block ×3, first 2 shown]
	s_and_b32 s27, ttmp7, 0xffff
	s_wait_kmcnt 0x0
	s_cmp_lg_u64 s[12:13], 0
	s_cselect_b32 s2, -1, 0
	s_cmp_eq_u64 s[12:13], 0
	s_cbranch_scc1 .LBB61_42
; %bb.1:
	s_lshl_b32 s3, s27, 2
	s_load_b32 s28, s[12:13], s3 offset:0x0
	s_clause 0x1
	s_load_b32 s29, s[0:1], 0x50
	s_load_b32 s30, s[0:1], 0x78
	s_cbranch_execnz .LBB61_3
.LBB61_2:
	s_load_b64 s[12:13], s[0:1], 0x5c
	s_wait_kmcnt 0x0
	s_mul_hi_u32 s3, s12, s27
	s_delay_alu instid0(SALU_CYCLE_1) | instskip(NEXT) | instid1(SALU_CYCLE_1)
	s_add_co_i32 s3, s27, s3
	s_lshr_b32 s28, s3, s13
.LBB61_3:
	s_and_not1_b32 vcc_lo, exec_lo, s2
	s_mov_b32 s3, s27
	s_mov_b32 s31, s27
	s_cbranch_vccnz .LBB61_5
; %bb.4:
	s_mul_hi_u32 s2, s21, s27
	s_wait_kmcnt 0x0
	s_mov_b32 s3, s28
	s_add_co_i32 s2, s27, s2
	s_delay_alu instid0(SALU_CYCLE_1) | instskip(NEXT) | instid1(SALU_CYCLE_1)
	s_lshr_b32 s2, s2, s22
	s_mul_i32 s2, s2, s23
	s_delay_alu instid0(SALU_CYCLE_1)
	s_sub_co_i32 s31, s27, s2
.LBB61_5:
	s_load_b96 s[24:26], s[0:1], 0x80
	v_bfe_u32 v12, v0, 10, 10
	v_dual_mov_b32 v8, 0 :: v_dual_and_b32 v7, 0x3ff, v0
	s_lshr_b32 s21, ttmp7, 16
	s_cmp_lg_u64 s[14:15], 0
	s_delay_alu instid0(VALU_DEP_1) | instskip(SKIP_4) | instid1(VALU_DEP_1)
	v_dual_mov_b32 v9, 0 :: v_dual_lshlrev_b32 v6, 2, v7
	v_or_b32_e32 v0, v7, v12
	s_cselect_b32 s2, -1, 0
	s_mov_b32 s23, 0
	s_mul_i32 s12, s3, s6
	v_cmp_eq_u32_e32 vcc_lo, 0, v0
	s_and_b32 s13, s2, vcc_lo
	s_delay_alu instid0(SALU_CYCLE_1)
	s_and_saveexec_b32 s3, s13
	s_cbranch_execz .LBB61_7
; %bb.6:
	s_wait_kmcnt 0x0
	s_mul_i32 s22, s26, s21
	s_mov_b32 s13, s23
	s_lshl_b64 s[36:37], s[22:23], 2
	s_mov_b32 s34, ttmp9
	s_add_nc_u64 s[14:15], s[14:15], s[36:37]
	s_lshl_b64 s[22:23], s[12:13], 2
	s_ashr_i32 s35, ttmp9, 31
	s_add_nc_u64 s[14:15], s[14:15], s[22:23]
	s_lshl_b64 s[22:23], s[34:35], 2
	s_delay_alu instid0(SALU_CYCLE_1)
	s_add_nc_u64 s[14:15], s[14:15], s[22:23]
	global_load_b32 v9, v6, s[14:15]
.LBB61_7:
	s_or_b32 exec_lo, exec_lo, s3
	s_cmp_lg_u64 s[16:17], 0
	s_cselect_b32 s14, -1, 0
	s_cmp_lg_u64 s[18:19], 0
	s_cselect_b32 s3, -1, 0
	s_delay_alu instid0(SALU_CYCLE_1) | instskip(NEXT) | instid1(SALU_CYCLE_1)
	s_and_b32 s13, s3, s14
	s_and_b32 s13, s13, vcc_lo
	s_delay_alu instid0(SALU_CYCLE_1)
	s_and_saveexec_b32 s15, s13
	s_cbranch_execz .LBB61_9
; %bb.8:
	s_wait_kmcnt 0x0
	s_mul_i32 s34, s26, s21
	s_mov_b32 s35, 0
	s_mov_b32 s22, ttmp9
	s_lshl_b64 s[36:37], s[34:35], 2
	s_mov_b32 s13, s35
	s_add_nc_u64 s[18:19], s[18:19], s[36:37]
	s_lshl_b64 s[12:13], s[12:13], 2
	s_ashr_i32 s23, ttmp9, 31
	s_add_nc_u64 s[12:13], s[18:19], s[12:13]
	s_lshl_b64 s[18:19], s[22:23], 2
	s_delay_alu instid0(SALU_CYCLE_1)
	s_add_nc_u64 s[12:13], s[12:13], s[18:19]
	global_load_b32 v8, v6, s[12:13]
.LBB61_9:
	s_or_b32 exec_lo, exec_lo, s15
	v_lshl_add_u32 v0, v12, 5, v7
	v_mov_b32_e32 v13, 0
	v_cndmask_b32_e64 v10, 0, 1, s14
	v_mov_b32_e32 v11, 0
	s_lshr_b32 s15, s20, 5
	v_lshrrev_b32_e32 v14, 2, v0
	s_mov_b32 s18, exec_lo
	s_wait_alu 0xfffe
	s_delay_alu instid0(VALU_DEP_1)
	v_cmpx_gt_u32_e64 s15, v14
	s_cbranch_execz .LBB61_15
; %bb.10:
	s_mul_hi_u32 s7, s7, s21
	s_mul_i32 s22, s31, s5
	s_add_co_i32 s5, s21, s7
	s_wait_kmcnt 0x0
	s_mul_i32 s12, s25, s21
	s_mov_b32 s13, 0
	s_lshr_b32 s5, s5, s30
	s_mov_b32 s23, s13
	s_mul_i32 s7, s28, s4
	s_mul_i32 s19, s5, s24
	s_mul_u64 s[4:5], s[12:13], 36
	v_lshrrev_b32_e32 v0, 2, v0
	s_mul_u64 s[22:23], s[22:23], 36
	s_add_nc_u64 s[4:5], s[10:11], s[4:5]
	v_dual_mov_b32 v13, 0 :: v_dual_and_b32 v2, 12, v6
	v_and_b32_e32 v3, 3, v7
	s_add_nc_u64 s[4:5], s[4:5], s[22:23]
	s_mul_i32 s29, s29, ttmp9
	v_mad_co_u64_u32 v[0:1], null, v0, 36, s[4:5]
	s_delay_alu instid0(VALU_DEP_2) | instskip(SKIP_2) | instid1(SALU_CYCLE_1)
	v_lshlrev_b32_e32 v15, 3, v3
	v_dual_mov_b32 v11, 0 :: v_dual_lshlrev_b32 v16, 1, v2
	s_add_co_i32 s19, s19, s29
	s_add_co_i32 s5, s7, s19
	s_branch .LBB61_12
.LBB61_11:                              ;   in Loop: Header=BB61_12 Depth=1
	s_wait_loadcnt 0x1
	v_dot4_i32_iu8 v2, v4, v2, 0 neg_lo:[1,1,0]
	s_wait_loadcnt 0x0
	v_cvt_f32_f16_e32 v4, v18
	v_add_nc_u32_e32 v14, 64, v14
	v_add_co_u32 v0, s4, 0x900, v0
	v_dot4_i32_iu8 v2, v5, v3, v2 neg_lo:[1,1,0]
	s_delay_alu instid0(VALU_DEP_4) | instskip(NEXT) | instid1(VALU_DEP_4)
	v_mul_f32_e32 v3, v4, v17
	v_cmp_le_u32_e32 vcc_lo, s15, v14
	s_wait_alu 0xf1ff
	v_add_co_ci_u32_e64 v1, null, 0, v1, s4
	v_cvt_f32_i32_e32 v2, v2
	s_or_b32 s13, vcc_lo, s13
	s_delay_alu instid0(VALU_DEP_1)
	v_fmac_f32_e32 v13, v3, v2
	s_and_not1_b32 exec_lo, exec_lo, s13
	s_cbranch_execz .LBB61_14
.LBB61_12:                              ; =>This Inner Loop Header: Depth=1
	s_wait_alu 0xfffe
	v_add_nc_u32_e32 v19, s5, v14
	v_add_co_u32 v2, vcc_lo, v0, v15
	s_wait_alu 0xfffd
	v_add_co_ci_u32_e64 v3, null, 0, v1, vcc_lo
	s_delay_alu instid0(VALU_DEP_3) | instskip(NEXT) | instid1(VALU_DEP_1)
	v_mad_co_i64_i32 v[17:18], null, v19, 34, s[8:9]
	v_add_co_u32 v4, vcc_lo, v17, v16
	s_wait_alu 0xfffd
	s_delay_alu instid0(VALU_DEP_2)
	v_add_co_ci_u32_e64 v5, null, 0, v18, vcc_lo
	s_and_not1_b32 vcc_lo, exec_lo, s14
	s_clause 0x1
	global_load_b32 v20, v[0:1], off
	global_load_b64 v[2:3], v[2:3], off offset:4
	s_clause 0x1
	global_load_b64 v[4:5], v[4:5], off offset:2
	global_load_u16 v18, v[17:18], off
	s_wait_loadcnt 0x3
	v_cvt_f32_f16_e32 v17, v20
	s_wait_alu 0xfffe
	s_cbranch_vccnz .LBB61_11
; %bb.13:                               ;   in Loop: Header=BB61_12 Depth=1
	v_mad_co_i64_i32 v[19:20], null, v19, 34, s[16:17]
	s_delay_alu instid0(VALU_DEP_1) | instskip(SKIP_1) | instid1(VALU_DEP_2)
	v_add_co_u32 v21, vcc_lo, v19, v16
	s_wait_alu 0xfffd
	v_add_co_ci_u32_e64 v22, null, 0, v20, vcc_lo
	s_clause 0x1
	global_load_b64 v[21:22], v[21:22], off offset:2
	global_load_u16 v19, v[19:20], off
	s_wait_loadcnt 0x1
	v_dot4_i32_iu8 v20, v21, v2, 0 neg_lo:[1,1,0]
	s_wait_loadcnt 0x0
	v_cvt_f32_f16_e32 v19, v19
	s_delay_alu instid0(VALU_DEP_2) | instskip(NEXT) | instid1(VALU_DEP_2)
	v_dot4_i32_iu8 v20, v22, v3, v20 neg_lo:[1,1,0]
	v_mul_f32_e32 v19, v17, v19
	s_delay_alu instid0(VALU_DEP_2) | instskip(NEXT) | instid1(VALU_DEP_1)
	v_cvt_f32_i32_e32 v20, v20
	v_fmac_f32_e32 v11, v19, v20
	s_branch .LBB61_11
.LBB61_14:
	s_or_b32 exec_lo, exec_lo, s13
.LBB61_15:
	s_delay_alu instid0(SALU_CYCLE_1)
	s_or_b32 exec_lo, exec_lo, s18
	s_load_b32 s5, s[0:1], 0x30
	v_cmp_eq_u32_e64 s4, 0, v12
	s_mov_b32 s7, exec_lo
	v_cmpx_ne_u32_e32 0, v12
	s_cbranch_execz .LBB61_19
; %bb.16:
	v_add_nc_u32_e32 v0, -1, v12
	s_and_b32 vcc_lo, exec_lo, s14
	s_delay_alu instid0(VALU_DEP_1)
	v_lshlrev_b32_e32 v0, 7, v0
	s_wait_alu 0xfffe
	s_cbranch_vccz .LBB61_18
; %bb.17:
	s_delay_alu instid0(VALU_DEP_1)
	v_lshl_add_u32 v1, v7, 2, v0
	ds_store_b32 v1, v11 offset:896
.LBB61_18:
	s_delay_alu instid0(VALU_DEP_1)
	v_lshl_add_u32 v0, v7, 2, v0
	ds_store_b32 v0, v13
.LBB61_19:
	s_or_b32 exec_lo, exec_lo, s7
	s_wait_loadcnt_dscnt 0x0
	s_barrier_signal -1
	s_barrier_wait -1
	global_inv scope:SCOPE_SE
	s_and_saveexec_b32 s7, s4
	s_cbranch_execz .LBB61_61
; %bb.20:
	ds_load_b32 v0, v6
	v_cmp_ne_u32_e32 vcc_lo, 1, v10
	v_add_nc_u32_e32 v1, 0x380, v6
	s_cbranch_vccnz .LBB61_22
; %bb.21:
	ds_load_b32 v2, v1
	s_wait_dscnt 0x0
	v_add_f32_e32 v11, v11, v2
.LBB61_22:
	ds_load_b32 v2, v6 offset:128
	v_cmp_ne_u32_e32 vcc_lo, 1, v10
	s_cbranch_vccnz .LBB61_24
; %bb.23:
	ds_load_b32 v3, v1 offset:128
	s_wait_dscnt 0x0
	v_add_f32_e32 v11, v11, v3
.LBB61_24:
	ds_load_b32 v3, v6 offset:256
	v_cmp_ne_u32_e32 vcc_lo, 1, v10
	s_cbranch_vccnz .LBB61_26
; %bb.25:
	ds_load_b32 v4, v1 offset:256
	s_wait_dscnt 0x0
	v_add_f32_e32 v11, v11, v4
.LBB61_26:
	;; [unrolled: 8-line block ×6, first 2 shown]
	s_wait_dscnt 0x6
	v_add_f32_e32 v0, v13, v0
	v_mbcnt_lo_u32_b32 v1, -1, 0
	s_wait_dscnt 0x5
	s_delay_alu instid0(VALU_DEP_2) | instskip(NEXT) | instid1(VALU_DEP_2)
	v_add_f32_e32 v0, v0, v2
	v_xor_b32_e32 v2, 16, v1
	s_wait_dscnt 0x4
	s_delay_alu instid0(VALU_DEP_2) | instskip(NEXT) | instid1(VALU_DEP_2)
	v_add_f32_e32 v0, v0, v3
	v_cmp_gt_i32_e32 vcc_lo, 32, v2
	v_xor_b32_e32 v3, 8, v1
	s_wait_dscnt 0x3
	s_delay_alu instid0(VALU_DEP_3)
	v_add_f32_e32 v0, v0, v4
	s_wait_alu 0xfffd
	v_cndmask_b32_e32 v2, v1, v2, vcc_lo
	v_cmp_gt_i32_e32 vcc_lo, 32, v3
	s_wait_dscnt 0x2
	s_wait_alu 0xfffd
	v_dual_add_f32 v0, v0, v5 :: v_dual_cndmask_b32 v3, v1, v3
	s_wait_dscnt 0x1
	s_delay_alu instid0(VALU_DEP_1) | instskip(SKIP_1) | instid1(VALU_DEP_1)
	v_dual_add_f32 v0, v0, v12 :: v_dual_lshlrev_b32 v3, 2, v3
	s_wait_dscnt 0x0
	v_add_f32_e32 v4, v0, v14
	v_lshlrev_b32_e32 v0, 2, v2
	ds_bpermute_b32 v2, v0, v4
	s_wait_dscnt 0x0
	v_add_f32_e32 v2, v4, v2
	v_xor_b32_e32 v4, 4, v1
	ds_bpermute_b32 v5, v3, v2
	v_cmp_gt_i32_e32 vcc_lo, 32, v4
	s_wait_alu 0xfffd
	v_cndmask_b32_e32 v4, v1, v4, vcc_lo
	s_delay_alu instid0(VALU_DEP_1)
	v_lshlrev_b32_e32 v4, 2, v4
	s_wait_dscnt 0x0
	v_add_f32_e32 v2, v2, v5
	v_xor_b32_e32 v5, 2, v1
	ds_bpermute_b32 v12, v4, v2
	v_cmp_gt_i32_e32 vcc_lo, 32, v5
	s_wait_alu 0xfffd
	v_cndmask_b32_e32 v5, v1, v5, vcc_lo
	s_wait_dscnt 0x0
	s_delay_alu instid0(VALU_DEP_1)
	v_dual_add_f32 v2, v2, v12 :: v_dual_lshlrev_b32 v5, 2, v5
	v_xor_b32_e32 v12, 1, v1
	ds_bpermute_b32 v13, v5, v2
	v_cmp_gt_i32_e32 vcc_lo, 32, v12
	s_wait_alu 0xfffd
	v_cndmask_b32_e32 v1, v1, v12, vcc_lo
	v_cmp_ne_u32_e32 vcc_lo, 1, v10
	s_delay_alu instid0(VALU_DEP_2)
	v_lshlrev_b32_e32 v12, 2, v1
	s_wait_dscnt 0x0
	v_add_f32_e32 v1, v2, v13
	ds_bpermute_b32 v2, v12, v1
	s_cbranch_vccnz .LBB61_36
; %bb.35:
	ds_bpermute_b32 v0, v0, v11
	s_wait_dscnt 0x0
	v_add_f32_e32 v0, v11, v0
	ds_bpermute_b32 v3, v3, v0
	s_wait_dscnt 0x0
	v_add_f32_e32 v0, v0, v3
	;; [unrolled: 3-line block ×5, first 2 shown]
.LBB61_36:
	v_cmp_eq_u32_e32 vcc_lo, 0, v7
	s_and_b32 exec_lo, exec_lo, vcc_lo
	s_cbranch_execz .LBB61_61
; %bb.37:
	s_wait_dscnt 0x0
	v_add_f32_e32 v0, v1, v2
	v_cmp_ne_u32_e32 vcc_lo, 1, v10
	s_delay_alu instid0(VALU_DEP_2) | instskip(NEXT) | instid1(VALU_DEP_1)
	v_add_f32_e32 v1, v9, v0
	v_cndmask_b32_e64 v0, v0, v1, s2
	s_cbranch_vccnz .LBB61_60
; %bb.38:
	v_add_f32_e32 v1, v8, v11
	s_wait_kmcnt 0x0
	s_cmp_lt_i32 s5, 2
	s_mov_b32 s2, 0
	s_delay_alu instid0(VALU_DEP_1)
	v_cndmask_b32_e64 v1, v11, v1, s3
	s_cbranch_scc1 .LBB61_43
; %bb.39:
	s_cmp_gt_i32 s5, 2
	s_cbranch_scc0 .LBB61_44
; %bb.40:
	s_cmp_eq_u32 s5, 3
	s_cbranch_scc0 .LBB61_45
; %bb.41:
	v_max_num_f32_e32 v2, v1, v1
	s_mov_b32 s3, 0xc0e00000
	s_delay_alu instid0(VALU_DEP_1) | instskip(NEXT) | instid1(VALU_DEP_1)
	v_min_num_f32_e32 v2, 0x40e00000, v2
	v_mul_f32_e32 v3, 0xbfd9db23, v2
	s_delay_alu instid0(VALU_DEP_1) | instskip(NEXT) | instid1(VALU_DEP_1)
	v_mul_f32_e32 v4, 0x3fb8aa3b, v3
	v_fma_f32 v5, 0x3fb8aa3b, v3, -v4
	v_rndne_f32_e32 v7, v4
	s_delay_alu instid0(VALU_DEP_1) | instskip(SKIP_1) | instid1(VALU_DEP_2)
	v_dual_sub_f32 v4, v4, v7 :: v_dual_fmamk_f32 v5, v3, 0x32a5705f, v5
	v_cmp_ngt_f32_e32 vcc_lo, 0xc2ce8ed0, v3
	v_add_f32_e32 v4, v4, v5
	v_cvt_i32_f32_e32 v5, v7
	s_delay_alu instid0(VALU_DEP_2) | instskip(NEXT) | instid1(TRANS32_DEP_1)
	v_exp_f32_e32 v4, v4
	v_ldexp_f32 v4, v4, v5
	s_wait_alu 0xfffd
	s_delay_alu instid0(VALU_DEP_1) | instskip(SKIP_2) | instid1(VALU_DEP_2)
	v_cndmask_b32_e32 v4, 0, v4, vcc_lo
	v_cmp_nlt_f32_e32 vcc_lo, 0x42b17218, v3
	s_wait_alu 0xfffd
	v_cndmask_b32_e32 v3, 0x7f800000, v4, vcc_lo
	s_delay_alu instid0(VALU_DEP_1) | instskip(NEXT) | instid1(VALU_DEP_1)
	v_add_f32_e32 v3, 1.0, v3
	v_div_scale_f32 v4, null, v3, v3, v2
	v_div_scale_f32 v8, vcc_lo, v2, v3, v2
	s_delay_alu instid0(VALU_DEP_2) | instskip(NEXT) | instid1(TRANS32_DEP_1)
	v_rcp_f32_e32 v5, v4
	v_fma_f32 v7, -v4, v5, 1.0
	s_delay_alu instid0(VALU_DEP_1) | instskip(NEXT) | instid1(VALU_DEP_1)
	v_fmac_f32_e32 v5, v7, v5
	v_mul_f32_e32 v7, v8, v5
	s_delay_alu instid0(VALU_DEP_1) | instskip(NEXT) | instid1(VALU_DEP_1)
	v_fma_f32 v9, -v4, v7, v8
	v_fmac_f32_e32 v7, v9, v5
	s_delay_alu instid0(VALU_DEP_1) | instskip(SKIP_2) | instid1(VALU_DEP_2)
	v_fma_f32 v4, -v4, v7, v8
	v_max_num_f32_e32 v8, v0, v0
	s_wait_alu 0xfffd
	v_div_fmas_f32 v4, v4, v5, v7
	s_wait_alu 0xfffe
	s_delay_alu instid0(VALU_DEP_2) | instskip(SKIP_1) | instid1(VALU_DEP_2)
	v_minmax_num_f32 v5, v8, 0x40e00000, s3
	s_mov_b32 s3, 0
	v_div_fixup_f32 v2, v4, v3, v2
	s_delay_alu instid0(VALU_DEP_2) | instskip(NEXT) | instid1(VALU_DEP_1)
	v_add_f32_e32 v3, 1.0, v5
	v_mul_f32_e32 v2, v3, v2
	s_branch .LBB61_46
.LBB61_42:
                                        ; implicit-def: $sgpr28
	s_clause 0x1
	s_load_b32 s29, s[0:1], 0x50
	s_load_b32 s30, s[0:1], 0x78
	s_branch .LBB61_2
.LBB61_43:
	s_mov_b32 s3, 0
                                        ; implicit-def: $vgpr2
	s_cbranch_execnz .LBB61_50
	s_branch .LBB61_51
.LBB61_44:
	s_mov_b32 s4, -1
	s_mov_b32 s3, 0
                                        ; implicit-def: $vgpr2
	s_branch .LBB61_47
.LBB61_45:
	s_mov_b32 s3, -1
                                        ; implicit-def: $vgpr2
.LBB61_46:
	s_mov_b32 s4, 0
.LBB61_47:
	s_wait_alu 0xfffe
	s_and_b32 vcc_lo, exec_lo, s4
	s_wait_alu 0xfffe
	s_cbranch_vccz .LBB61_49
; %bb.48:
	v_mul_f32_e32 v2, 0xbfb8aa3b, v1
	v_cmp_nlt_f32_e32 vcc_lo, 0x42ce8ed0, v1
	s_delay_alu instid0(VALU_DEP_2) | instskip(SKIP_1) | instid1(VALU_DEP_2)
	v_rndne_f32_e32 v3, v2
	v_fma_f32 v4, 0xbfb8aa3b, v1, -v2
	v_sub_f32_e32 v2, v2, v3
	s_delay_alu instid0(VALU_DEP_2) | instskip(SKIP_1) | instid1(VALU_DEP_2)
	v_fmamk_f32 v4, v1, 0xb2a5705f, v4
	v_cvt_i32_f32_e32 v3, v3
	v_add_f32_e32 v2, v2, v4
	s_delay_alu instid0(VALU_DEP_1) | instskip(NEXT) | instid1(TRANS32_DEP_1)
	v_exp_f32_e32 v2, v2
	v_ldexp_f32 v2, v2, v3
	s_wait_alu 0xfffd
	s_delay_alu instid0(VALU_DEP_1) | instskip(SKIP_2) | instid1(VALU_DEP_2)
	v_cndmask_b32_e32 v2, 0, v2, vcc_lo
	v_cmp_ngt_f32_e32 vcc_lo, 0xc2b17218, v1
	s_wait_alu 0xfffd
	v_cndmask_b32_e32 v2, 0x7f800000, v2, vcc_lo
	s_delay_alu instid0(VALU_DEP_1) | instskip(NEXT) | instid1(VALU_DEP_1)
	v_add_f32_e32 v2, 1.0, v2
	v_div_scale_f32 v3, null, v2, v2, v1
	s_delay_alu instid0(VALU_DEP_1) | instskip(NEXT) | instid1(TRANS32_DEP_1)
	v_rcp_f32_e32 v4, v3
	v_fma_f32 v5, -v3, v4, 1.0
	s_delay_alu instid0(VALU_DEP_1) | instskip(SKIP_1) | instid1(VALU_DEP_1)
	v_fmac_f32_e32 v4, v5, v4
	v_div_scale_f32 v5, vcc_lo, v1, v2, v1
	v_mul_f32_e32 v7, v5, v4
	s_delay_alu instid0(VALU_DEP_1) | instskip(NEXT) | instid1(VALU_DEP_1)
	v_fma_f32 v8, -v3, v7, v5
	v_fmac_f32_e32 v7, v8, v4
	s_delay_alu instid0(VALU_DEP_1) | instskip(SKIP_1) | instid1(VALU_DEP_1)
	v_fma_f32 v3, -v3, v7, v5
	s_wait_alu 0xfffd
	v_div_fmas_f32 v3, v3, v4, v7
	s_delay_alu instid0(VALU_DEP_1) | instskip(NEXT) | instid1(VALU_DEP_1)
	v_div_fixup_f32 v2, v3, v2, v1
	v_mul_f32_e32 v2, v0, v2
.LBB61_49:
	s_branch .LBB61_51
.LBB61_50:
	s_cmp_lg_u32 s5, 1
	s_mov_b32 s2, -1
	s_cselect_b32 s3, -1, 0
.LBB61_51:
	s_wait_alu 0xfffe
	s_and_not1_b32 vcc_lo, exec_lo, s3
	s_wait_alu 0xfffe
	s_cbranch_vccz .LBB61_53
; %bb.52:
	s_and_not1_b32 vcc_lo, exec_lo, s2
	s_wait_alu 0xfffe
	s_cbranch_vccz .LBB61_54
	s_branch .LBB61_59
.LBB61_53:
	v_mul_f32_e32 v2, v1, v0
	s_cbranch_execnz .LBB61_59
.LBB61_54:
	v_mul_f32_e32 v2, 0x3d372713, v1
	v_mul_f32_e32 v3, 0x3f4c422a, v1
	s_delay_alu instid0(VALU_DEP_2) | instskip(NEXT) | instid1(VALU_DEP_1)
	v_fma_f32 v2, v1, v2, 1.0
	v_mul_f32_e32 v2, v3, v2
                                        ; implicit-def: $vgpr3
	s_delay_alu instid0(VALU_DEP_1)
	v_cmp_ngt_f32_e64 s2, 0x3f200000, |v2|
	s_and_saveexec_b32 s3, s2
	s_wait_alu 0xfffe
	s_xor_b32 s2, exec_lo, s3
	s_cbranch_execz .LBB61_56
; %bb.55:
	v_add_f32_e64 v3, |v2|, |v2|
	s_delay_alu instid0(VALU_DEP_1) | instskip(SKIP_1) | instid1(VALU_DEP_2)
	v_mul_f32_e32 v4, 0x3fb8aa3b, v3
	v_cmp_ngt_f32_e32 vcc_lo, 0xc2ce8ed0, v3
	v_rndne_f32_e32 v5, v4
	v_fma_f32 v7, 0x3fb8aa3b, v3, -v4
	s_delay_alu instid0(VALU_DEP_1) | instskip(SKIP_1) | instid1(VALU_DEP_2)
	v_dual_sub_f32 v4, v4, v5 :: v_dual_fmamk_f32 v7, v3, 0x32a5705f, v7
	v_cvt_i32_f32_e32 v5, v5
	v_add_f32_e32 v4, v4, v7
	s_delay_alu instid0(VALU_DEP_1) | instskip(NEXT) | instid1(TRANS32_DEP_1)
	v_exp_f32_e32 v4, v4
	v_ldexp_f32 v4, v4, v5
	s_wait_alu 0xfffd
	s_delay_alu instid0(VALU_DEP_1) | instskip(SKIP_2) | instid1(VALU_DEP_2)
	v_cndmask_b32_e32 v4, 0, v4, vcc_lo
	v_cmp_nlt_f32_e32 vcc_lo, 0x42b17218, v3
	s_wait_alu 0xfffd
	v_cndmask_b32_e32 v3, 0x7f800000, v4, vcc_lo
	s_delay_alu instid0(VALU_DEP_1) | instskip(NEXT) | instid1(VALU_DEP_1)
	v_add_f32_e32 v3, 1.0, v3
	v_rcp_f32_e32 v3, v3
	s_delay_alu instid0(TRANS32_DEP_1)
	v_fma_f32 v3, v3, -2.0, 1.0
.LBB61_56:
	s_wait_alu 0xfffe
	s_and_not1_saveexec_b32 s2, s2
	s_cbranch_execz .LBB61_58
; %bb.57:
	v_mul_f32_e32 v3, v2, v2
	s_mov_b32 s3, 0xbbbac73d
	s_wait_alu 0xfffe
	s_delay_alu instid0(VALU_DEP_1) | instskip(NEXT) | instid1(VALU_DEP_1)
	v_fmaak_f32 v4, s3, v3, 0x3ca908c9
	v_fmaak_f32 v4, v3, v4, 0xbd5c1c4e
	s_delay_alu instid0(VALU_DEP_1) | instskip(NEXT) | instid1(VALU_DEP_1)
	v_fmaak_f32 v4, v3, v4, 0x3e088382
	v_fmaak_f32 v4, v3, v4, 0xbeaaaa99
	s_delay_alu instid0(VALU_DEP_1) | instskip(NEXT) | instid1(VALU_DEP_1)
	v_mul_f32_e64 v4, |v2|, v4
	v_fma_f32 v3, v3, v4, |v2|
.LBB61_58:
	s_wait_alu 0xfffe
	s_or_b32 exec_lo, exec_lo, s2
	s_delay_alu instid0(VALU_DEP_1) | instskip(NEXT) | instid1(VALU_DEP_1)
	v_bfi_b32 v2, 0x7fffffff, v3, v2
	v_dual_mul_f32 v1, 0.5, v1 :: v_dual_add_f32 v2, 1.0, v2
	s_delay_alu instid0(VALU_DEP_1) | instskip(NEXT) | instid1(VALU_DEP_1)
	v_mul_f32_e32 v1, v1, v2
	v_mul_f32_e32 v2, v0, v1
.LBB61_59:
	s_delay_alu instid0(VALU_DEP_1)
	v_mov_b32_e32 v0, v2
.LBB61_60:
	s_load_b64 s[0:1], s[0:1], 0x38
	s_mul_i32 s2, s6, s27
	s_wait_kmcnt 0x0
	s_mul_i32 s3, s26, s21
	s_wait_alu 0xfffe
	s_add_co_i32 s2, s2, ttmp9
	s_wait_alu 0xfffe
	s_add_co_i32 s2, s2, s3
	s_mov_b32 s3, 0
	s_wait_alu 0xfffe
	s_lshl_b64 s[2:3], s[2:3], 2
	s_wait_alu 0xfffe
	s_add_nc_u64 s[0:1], s[0:1], s[2:3]
	global_store_b32 v6, v0, s[0:1]
.LBB61_61:
	s_endpgm
	.section	.rodata,"a",@progbits
	.p2align	6, 0x0
	.amdhsa_kernel _ZL13mul_mat_vec_qIL9ggml_type8ELi1ELb1ELb1EEvPKvS2_PKi31ggml_cuda_mm_fusion_args_devicePfj15HIP_vector_typeIjLj3EEjjjS8_jjjS8_jjjj
		.amdhsa_group_segment_fixed_size 1792
		.amdhsa_private_segment_fixed_size 0
		.amdhsa_kernarg_size 144
		.amdhsa_user_sgpr_count 2
		.amdhsa_user_sgpr_dispatch_ptr 0
		.amdhsa_user_sgpr_queue_ptr 0
		.amdhsa_user_sgpr_kernarg_segment_ptr 1
		.amdhsa_user_sgpr_dispatch_id 0
		.amdhsa_user_sgpr_private_segment_size 0
		.amdhsa_wavefront_size32 1
		.amdhsa_uses_dynamic_stack 0
		.amdhsa_enable_private_segment 0
		.amdhsa_system_sgpr_workgroup_id_x 1
		.amdhsa_system_sgpr_workgroup_id_y 1
		.amdhsa_system_sgpr_workgroup_id_z 1
		.amdhsa_system_sgpr_workgroup_info 0
		.amdhsa_system_vgpr_workitem_id 1
		.amdhsa_next_free_vgpr 23
		.amdhsa_next_free_sgpr 38
		.amdhsa_reserve_vcc 1
		.amdhsa_float_round_mode_32 0
		.amdhsa_float_round_mode_16_64 0
		.amdhsa_float_denorm_mode_32 3
		.amdhsa_float_denorm_mode_16_64 3
		.amdhsa_fp16_overflow 0
		.amdhsa_workgroup_processor_mode 1
		.amdhsa_memory_ordered 1
		.amdhsa_forward_progress 1
		.amdhsa_inst_pref_size 22
		.amdhsa_round_robin_scheduling 0
		.amdhsa_exception_fp_ieee_invalid_op 0
		.amdhsa_exception_fp_denorm_src 0
		.amdhsa_exception_fp_ieee_div_zero 0
		.amdhsa_exception_fp_ieee_overflow 0
		.amdhsa_exception_fp_ieee_underflow 0
		.amdhsa_exception_fp_ieee_inexact 0
		.amdhsa_exception_int_div_zero 0
	.end_amdhsa_kernel
	.section	.text._ZL13mul_mat_vec_qIL9ggml_type8ELi1ELb1ELb1EEvPKvS2_PKi31ggml_cuda_mm_fusion_args_devicePfj15HIP_vector_typeIjLj3EEjjjS8_jjjS8_jjjj,"axG",@progbits,_ZL13mul_mat_vec_qIL9ggml_type8ELi1ELb1ELb1EEvPKvS2_PKi31ggml_cuda_mm_fusion_args_devicePfj15HIP_vector_typeIjLj3EEjjjS8_jjjS8_jjjj,comdat
.Lfunc_end61:
	.size	_ZL13mul_mat_vec_qIL9ggml_type8ELi1ELb1ELb1EEvPKvS2_PKi31ggml_cuda_mm_fusion_args_devicePfj15HIP_vector_typeIjLj3EEjjjS8_jjjS8_jjjj, .Lfunc_end61-_ZL13mul_mat_vec_qIL9ggml_type8ELi1ELb1ELb1EEvPKvS2_PKi31ggml_cuda_mm_fusion_args_devicePfj15HIP_vector_typeIjLj3EEjjjS8_jjjS8_jjjj
                                        ; -- End function
	.set _ZL13mul_mat_vec_qIL9ggml_type8ELi1ELb1ELb1EEvPKvS2_PKi31ggml_cuda_mm_fusion_args_devicePfj15HIP_vector_typeIjLj3EEjjjS8_jjjS8_jjjj.num_vgpr, 23
	.set _ZL13mul_mat_vec_qIL9ggml_type8ELi1ELb1ELb1EEvPKvS2_PKi31ggml_cuda_mm_fusion_args_devicePfj15HIP_vector_typeIjLj3EEjjjS8_jjjS8_jjjj.num_agpr, 0
	.set _ZL13mul_mat_vec_qIL9ggml_type8ELi1ELb1ELb1EEvPKvS2_PKi31ggml_cuda_mm_fusion_args_devicePfj15HIP_vector_typeIjLj3EEjjjS8_jjjS8_jjjj.numbered_sgpr, 38
	.set _ZL13mul_mat_vec_qIL9ggml_type8ELi1ELb1ELb1EEvPKvS2_PKi31ggml_cuda_mm_fusion_args_devicePfj15HIP_vector_typeIjLj3EEjjjS8_jjjS8_jjjj.num_named_barrier, 0
	.set _ZL13mul_mat_vec_qIL9ggml_type8ELi1ELb1ELb1EEvPKvS2_PKi31ggml_cuda_mm_fusion_args_devicePfj15HIP_vector_typeIjLj3EEjjjS8_jjjS8_jjjj.private_seg_size, 0
	.set _ZL13mul_mat_vec_qIL9ggml_type8ELi1ELb1ELb1EEvPKvS2_PKi31ggml_cuda_mm_fusion_args_devicePfj15HIP_vector_typeIjLj3EEjjjS8_jjjS8_jjjj.uses_vcc, 1
	.set _ZL13mul_mat_vec_qIL9ggml_type8ELi1ELb1ELb1EEvPKvS2_PKi31ggml_cuda_mm_fusion_args_devicePfj15HIP_vector_typeIjLj3EEjjjS8_jjjS8_jjjj.uses_flat_scratch, 0
	.set _ZL13mul_mat_vec_qIL9ggml_type8ELi1ELb1ELb1EEvPKvS2_PKi31ggml_cuda_mm_fusion_args_devicePfj15HIP_vector_typeIjLj3EEjjjS8_jjjS8_jjjj.has_dyn_sized_stack, 0
	.set _ZL13mul_mat_vec_qIL9ggml_type8ELi1ELb1ELb1EEvPKvS2_PKi31ggml_cuda_mm_fusion_args_devicePfj15HIP_vector_typeIjLj3EEjjjS8_jjjS8_jjjj.has_recursion, 0
	.set _ZL13mul_mat_vec_qIL9ggml_type8ELi1ELb1ELb1EEvPKvS2_PKi31ggml_cuda_mm_fusion_args_devicePfj15HIP_vector_typeIjLj3EEjjjS8_jjjS8_jjjj.has_indirect_call, 0
	.section	.AMDGPU.csdata,"",@progbits
; Kernel info:
; codeLenInByte = 2808
; TotalNumSgprs: 40
; NumVgprs: 23
; ScratchSize: 0
; MemoryBound: 0
; FloatMode: 240
; IeeeMode: 1
; LDSByteSize: 1792 bytes/workgroup (compile time only)
; SGPRBlocks: 0
; VGPRBlocks: 2
; NumSGPRsForWavesPerEU: 40
; NumVGPRsForWavesPerEU: 23
; Occupancy: 16
; WaveLimiterHint : 0
; COMPUTE_PGM_RSRC2:SCRATCH_EN: 0
; COMPUTE_PGM_RSRC2:USER_SGPR: 2
; COMPUTE_PGM_RSRC2:TRAP_HANDLER: 0
; COMPUTE_PGM_RSRC2:TGID_X_EN: 1
; COMPUTE_PGM_RSRC2:TGID_Y_EN: 1
; COMPUTE_PGM_RSRC2:TGID_Z_EN: 1
; COMPUTE_PGM_RSRC2:TIDIG_COMP_CNT: 1
	.section	.text._ZL13mul_mat_vec_qIL9ggml_type8ELi1ELb0ELb1EEvPKvS2_PKi31ggml_cuda_mm_fusion_args_devicePfj15HIP_vector_typeIjLj3EEjjjS8_jjjS8_jjjj,"axG",@progbits,_ZL13mul_mat_vec_qIL9ggml_type8ELi1ELb0ELb1EEvPKvS2_PKi31ggml_cuda_mm_fusion_args_devicePfj15HIP_vector_typeIjLj3EEjjjS8_jjjS8_jjjj,comdat
	.globl	_ZL13mul_mat_vec_qIL9ggml_type8ELi1ELb0ELb1EEvPKvS2_PKi31ggml_cuda_mm_fusion_args_devicePfj15HIP_vector_typeIjLj3EEjjjS8_jjjS8_jjjj ; -- Begin function _ZL13mul_mat_vec_qIL9ggml_type8ELi1ELb0ELb1EEvPKvS2_PKi31ggml_cuda_mm_fusion_args_devicePfj15HIP_vector_typeIjLj3EEjjjS8_jjjS8_jjjj
	.p2align	8
	.type	_ZL13mul_mat_vec_qIL9ggml_type8ELi1ELb0ELb1EEvPKvS2_PKi31ggml_cuda_mm_fusion_args_devicePfj15HIP_vector_typeIjLj3EEjjjS8_jjjS8_jjjj,@function
_ZL13mul_mat_vec_qIL9ggml_type8ELi1ELb0ELb1EEvPKvS2_PKi31ggml_cuda_mm_fusion_args_devicePfj15HIP_vector_typeIjLj3EEjjjS8_jjjS8_jjjj: ; @_ZL13mul_mat_vec_qIL9ggml_type8ELi1ELb0ELb1EEvPKvS2_PKi31ggml_cuda_mm_fusion_args_devicePfj15HIP_vector_typeIjLj3EEjjjS8_jjjS8_jjjj
; %bb.0:
	s_clause 0x1
	s_load_b64 s[2:3], s[0:1], 0x10
	s_load_b128 s[8:11], s[0:1], 0x40
	s_and_b32 s15, ttmp7, 0xffff
	s_wait_kmcnt 0x0
	s_cmp_lg_u64 s[2:3], 0
	s_cselect_b32 s12, -1, 0
	s_cmp_eq_u64 s[2:3], 0
	s_cbranch_scc1 .LBB62_15
; %bb.1:
	s_lshl_b32 s4, s15, 2
	s_load_b32 s19, s[2:3], s4 offset:0x0
	s_clause 0x1
	s_load_b128 s[4:7], s[0:1], 0x68
	s_load_b32 s20, s[0:1], 0x50
	s_cbranch_execnz .LBB62_3
.LBB62_2:
	s_load_b64 s[2:3], s[0:1], 0x5c
	s_wait_kmcnt 0x0
	s_mul_hi_u32 s2, s2, s15
	s_delay_alu instid0(SALU_CYCLE_1) | instskip(NEXT) | instid1(SALU_CYCLE_1)
	s_add_co_i32 s2, s15, s2
	s_lshr_b32 s19, s2, s3
.LBB62_3:
	s_load_b32 s21, s[0:1], 0x78
	s_and_not1_b32 vcc_lo, exec_lo, s12
	s_mov_b32 s22, s15
	s_cbranch_vccnz .LBB62_5
; %bb.4:
	s_mul_hi_u32 s2, s9, s15
	s_delay_alu instid0(SALU_CYCLE_1) | instskip(NEXT) | instid1(SALU_CYCLE_1)
	s_add_co_i32 s2, s15, s2
	s_lshr_b32 s2, s2, s10
	s_delay_alu instid0(SALU_CYCLE_1) | instskip(NEXT) | instid1(SALU_CYCLE_1)
	s_mul_i32 s2, s2, s11
	s_sub_co_i32 s22, s15, s2
.LBB62_5:
	s_load_b96 s[12:14], s[0:1], 0x80
	v_bfe_u32 v4, v0, 10, 10
	v_dual_mov_b32 v5, 0 :: v_dual_and_b32 v2, 0x3ff, v0
	s_lshr_b32 s17, s8, 5
	s_lshr_b32 s16, ttmp7, 16
	s_mov_b32 s18, exec_lo
	s_delay_alu instid0(VALU_DEP_1) | instskip(SKIP_1) | instid1(VALU_DEP_2)
	v_lshl_add_u32 v0, v4, 5, v2
	v_lshlrev_b32_e32 v3, 2, v2
	v_lshrrev_b32_e32 v6, 2, v0
	s_delay_alu instid0(VALU_DEP_1)
	v_cmpx_gt_u32_e64 s17, v6
	s_cbranch_execz .LBB62_9
; %bb.6:
	s_load_b128 s[8:11], s[0:1], 0x0
	s_wait_kmcnt 0x0
	s_mul_i32 s22, s22, s5
	s_mul_hi_u32 s5, s7, s16
	s_mul_i32 s2, s13, s16
	s_mov_b32 s3, 0
	s_add_co_i32 s5, s16, s5
	s_mov_b32 s23, s3
	s_mul_i32 s7, s19, s4
	s_lshr_b32 s13, s5, s21
	s_mul_u64 s[4:5], s[2:3], 36
	v_lshrrev_b32_e32 v0, 2, v0
	s_mul_i32 s2, s13, s12
	s_mul_u64 s[12:13], s[22:23], 36
	v_dual_mov_b32 v5, 0 :: v_dual_and_b32 v8, 12, v3
	v_and_b32_e32 v7, 3, v2
	s_mul_i32 s20, s20, ttmp9
	s_delay_alu instid0(VALU_DEP_2) | instskip(SKIP_4) | instid1(SALU_CYCLE_1)
	v_lshlrev_b32_e32 v8, 1, v8
	s_add_co_i32 s2, s2, s20
	s_add_nc_u64 s[4:5], s[10:11], s[4:5]
	v_lshlrev_b32_e32 v7, 3, v7
	s_add_nc_u64 s[4:5], s[4:5], s[12:13]
	v_mad_co_u64_u32 v[0:1], null, v0, 36, s[4:5]
	s_add_co_i32 s4, s7, s2
.LBB62_7:                               ; =>This Inner Loop Header: Depth=1
	s_wait_alu 0xfffe
	v_add_nc_u32_e32 v11, s4, v6
	v_add_co_u32 v9, vcc_lo, v0, v7
	s_wait_alu 0xfffd
	v_add_co_ci_u32_e64 v10, null, 0, v1, vcc_lo
	s_delay_alu instid0(VALU_DEP_3)
	v_mad_co_i64_i32 v[11:12], null, v11, 34, s[8:9]
	global_load_b64 v[9:10], v[9:10], off offset:4
	v_add_co_u32 v13, vcc_lo, v11, v8
	s_wait_alu 0xfffd
	v_add_co_ci_u32_e64 v14, null, 0, v12, vcc_lo
	global_load_b32 v15, v[0:1], off
	s_clause 0x1
	global_load_b64 v[13:14], v[13:14], off offset:2
	global_load_u16 v11, v[11:12], off
	v_add_co_u32 v0, s2, 0x900, v0
	s_wait_alu 0xf1ff
	v_add_co_ci_u32_e64 v1, null, 0, v1, s2
	s_wait_loadcnt 0x2
	v_cvt_f32_f16_e32 v12, v15
	s_wait_loadcnt 0x1
	v_dot4_i32_iu8 v9, v13, v9, 0 neg_lo:[1,1,0]
	s_wait_loadcnt 0x0
	v_cvt_f32_f16_e32 v11, v11
	s_delay_alu instid0(VALU_DEP_2) | instskip(NEXT) | instid1(VALU_DEP_2)
	v_dot4_i32_iu8 v9, v14, v10, v9 neg_lo:[1,1,0]
	v_mul_f32_e32 v10, v11, v12
	s_delay_alu instid0(VALU_DEP_2) | instskip(NEXT) | instid1(VALU_DEP_1)
	v_cvt_f32_i32_e32 v9, v9
	v_dual_fmac_f32 v5, v10, v9 :: v_dual_add_nc_u32 v6, 64, v6
	s_delay_alu instid0(VALU_DEP_1)
	v_cmp_le_u32_e32 vcc_lo, s17, v6
	s_or_b32 s3, vcc_lo, s3
	s_wait_alu 0xfffe
	s_and_not1_b32 exec_lo, exec_lo, s3
	s_cbranch_execnz .LBB62_7
; %bb.8:
	s_or_b32 exec_lo, exec_lo, s3
.LBB62_9:
	s_delay_alu instid0(SALU_CYCLE_1) | instskip(NEXT) | instid1(SALU_CYCLE_1)
	s_or_b32 exec_lo, exec_lo, s18
	s_mov_b32 s3, exec_lo
	v_cmp_eq_u32_e32 vcc_lo, 0, v4
	v_cmpx_ne_u32_e32 0, v4
; %bb.10:
	v_lshlrev_b32_e32 v0, 7, v4
	s_delay_alu instid0(VALU_DEP_1)
	v_add3_u32 v0, v0, v3, 0xffffff80
	ds_store_b32 v0, v5
; %bb.11:
	s_wait_alu 0xfffe
	s_or_b32 exec_lo, exec_lo, s3
	s_wait_dscnt 0x0
	s_barrier_signal -1
	s_barrier_wait -1
	global_inv scope:SCOPE_SE
	s_and_saveexec_b32 s2, vcc_lo
	s_cbranch_execz .LBB62_14
; %bb.12:
	ds_load_2addr_b32 v[0:1], v3 offset1:32
	ds_load_2addr_b32 v[6:7], v3 offset0:64 offset1:96
	ds_load_2addr_b32 v[8:9], v3 offset0:128 offset1:160
	s_mov_b32 s3, 0
	s_wait_dscnt 0x2
	v_add_f32_e32 v0, v5, v0
	s_delay_alu instid0(VALU_DEP_1) | instskip(SKIP_4) | instid1(VALU_DEP_2)
	v_add_f32_e32 v0, v0, v1
	ds_load_b32 v1, v3 offset:768
	v_mbcnt_lo_u32_b32 v3, -1, 0
	s_wait_dscnt 0x2
	v_add_f32_e32 v0, v0, v6
	v_xor_b32_e32 v4, 16, v3
	s_delay_alu instid0(VALU_DEP_2) | instskip(NEXT) | instid1(VALU_DEP_2)
	v_add_f32_e32 v0, v0, v7
	v_cmp_gt_i32_e32 vcc_lo, 32, v4
	s_wait_dscnt 0x1
	s_delay_alu instid0(VALU_DEP_2) | instskip(SKIP_2) | instid1(VALU_DEP_2)
	v_add_f32_e32 v0, v0, v8
	s_wait_alu 0xfffd
	v_cndmask_b32_e32 v4, v3, v4, vcc_lo
	v_add_f32_e32 v0, v0, v9
	s_wait_dscnt 0x0
	s_delay_alu instid0(VALU_DEP_1)
	v_dual_add_f32 v0, v0, v1 :: v_dual_lshlrev_b32 v1, 2, v4
	v_xor_b32_e32 v4, 8, v3
	ds_bpermute_b32 v1, v1, v0
	v_cmp_gt_i32_e32 vcc_lo, 32, v4
	s_wait_alu 0xfffd
	v_cndmask_b32_e32 v4, v3, v4, vcc_lo
	s_delay_alu instid0(VALU_DEP_1) | instskip(SKIP_4) | instid1(VALU_DEP_1)
	v_lshlrev_b32_e32 v4, 2, v4
	s_wait_dscnt 0x0
	v_add_f32_e32 v0, v0, v1
	ds_bpermute_b32 v1, v4, v0
	v_xor_b32_e32 v4, 4, v3
	v_cmp_gt_i32_e32 vcc_lo, 32, v4
	s_wait_alu 0xfffd
	v_cndmask_b32_e32 v4, v3, v4, vcc_lo
	s_delay_alu instid0(VALU_DEP_1) | instskip(SKIP_4) | instid1(VALU_DEP_1)
	v_lshlrev_b32_e32 v4, 2, v4
	s_wait_dscnt 0x0
	v_add_f32_e32 v0, v0, v1
	ds_bpermute_b32 v1, v4, v0
	v_xor_b32_e32 v4, 2, v3
	;; [unrolled: 9-line block ×3, first 2 shown]
	v_cmp_gt_i32_e32 vcc_lo, 32, v4
	s_wait_alu 0xfffd
	v_cndmask_b32_e32 v3, v3, v4, vcc_lo
	v_cmp_eq_u32_e32 vcc_lo, 0, v2
	s_wait_dscnt 0x0
	s_delay_alu instid0(VALU_DEP_2)
	v_dual_add_f32 v0, v0, v1 :: v_dual_lshlrev_b32 v3, 2, v3
	ds_bpermute_b32 v1, v3, v0
	s_and_b32 exec_lo, exec_lo, vcc_lo
	s_cbranch_execz .LBB62_14
; %bb.13:
	s_load_b64 s[0:1], s[0:1], 0x38
	s_wait_kmcnt 0x0
	s_mul_i32 s2, s6, s15
	s_mul_i32 s4, s14, s16
	s_wait_alu 0xfffe
	s_add_co_i32 s2, s2, ttmp9
	v_mov_b32_e32 v2, 0
	s_wait_alu 0xfffe
	s_add_co_i32 s2, s2, s4
	s_wait_dscnt 0x0
	v_add_f32_e32 v0, v0, v1
	s_wait_alu 0xfffe
	s_lshl_b64 s[2:3], s[2:3], 2
	s_wait_alu 0xfffe
	s_add_nc_u64 s[0:1], s[0:1], s[2:3]
	global_store_b32 v2, v0, s[0:1]
.LBB62_14:
	s_endpgm
.LBB62_15:
                                        ; implicit-def: $sgpr19
	s_clause 0x1
	s_load_b128 s[4:7], s[0:1], 0x68
	s_load_b32 s20, s[0:1], 0x50
	s_branch .LBB62_2
	.section	.rodata,"a",@progbits
	.p2align	6, 0x0
	.amdhsa_kernel _ZL13mul_mat_vec_qIL9ggml_type8ELi1ELb0ELb1EEvPKvS2_PKi31ggml_cuda_mm_fusion_args_devicePfj15HIP_vector_typeIjLj3EEjjjS8_jjjS8_jjjj
		.amdhsa_group_segment_fixed_size 896
		.amdhsa_private_segment_fixed_size 0
		.amdhsa_kernarg_size 144
		.amdhsa_user_sgpr_count 2
		.amdhsa_user_sgpr_dispatch_ptr 0
		.amdhsa_user_sgpr_queue_ptr 0
		.amdhsa_user_sgpr_kernarg_segment_ptr 1
		.amdhsa_user_sgpr_dispatch_id 0
		.amdhsa_user_sgpr_private_segment_size 0
		.amdhsa_wavefront_size32 1
		.amdhsa_uses_dynamic_stack 0
		.amdhsa_enable_private_segment 0
		.amdhsa_system_sgpr_workgroup_id_x 1
		.amdhsa_system_sgpr_workgroup_id_y 1
		.amdhsa_system_sgpr_workgroup_id_z 1
		.amdhsa_system_sgpr_workgroup_info 0
		.amdhsa_system_vgpr_workitem_id 1
		.amdhsa_next_free_vgpr 16
		.amdhsa_next_free_sgpr 24
		.amdhsa_reserve_vcc 1
		.amdhsa_float_round_mode_32 0
		.amdhsa_float_round_mode_16_64 0
		.amdhsa_float_denorm_mode_32 3
		.amdhsa_float_denorm_mode_16_64 3
		.amdhsa_fp16_overflow 0
		.amdhsa_workgroup_processor_mode 1
		.amdhsa_memory_ordered 1
		.amdhsa_forward_progress 1
		.amdhsa_inst_pref_size 9
		.amdhsa_round_robin_scheduling 0
		.amdhsa_exception_fp_ieee_invalid_op 0
		.amdhsa_exception_fp_denorm_src 0
		.amdhsa_exception_fp_ieee_div_zero 0
		.amdhsa_exception_fp_ieee_overflow 0
		.amdhsa_exception_fp_ieee_underflow 0
		.amdhsa_exception_fp_ieee_inexact 0
		.amdhsa_exception_int_div_zero 0
	.end_amdhsa_kernel
	.section	.text._ZL13mul_mat_vec_qIL9ggml_type8ELi1ELb0ELb1EEvPKvS2_PKi31ggml_cuda_mm_fusion_args_devicePfj15HIP_vector_typeIjLj3EEjjjS8_jjjS8_jjjj,"axG",@progbits,_ZL13mul_mat_vec_qIL9ggml_type8ELi1ELb0ELb1EEvPKvS2_PKi31ggml_cuda_mm_fusion_args_devicePfj15HIP_vector_typeIjLj3EEjjjS8_jjjS8_jjjj,comdat
.Lfunc_end62:
	.size	_ZL13mul_mat_vec_qIL9ggml_type8ELi1ELb0ELb1EEvPKvS2_PKi31ggml_cuda_mm_fusion_args_devicePfj15HIP_vector_typeIjLj3EEjjjS8_jjjS8_jjjj, .Lfunc_end62-_ZL13mul_mat_vec_qIL9ggml_type8ELi1ELb0ELb1EEvPKvS2_PKi31ggml_cuda_mm_fusion_args_devicePfj15HIP_vector_typeIjLj3EEjjjS8_jjjS8_jjjj
                                        ; -- End function
	.set _ZL13mul_mat_vec_qIL9ggml_type8ELi1ELb0ELb1EEvPKvS2_PKi31ggml_cuda_mm_fusion_args_devicePfj15HIP_vector_typeIjLj3EEjjjS8_jjjS8_jjjj.num_vgpr, 16
	.set _ZL13mul_mat_vec_qIL9ggml_type8ELi1ELb0ELb1EEvPKvS2_PKi31ggml_cuda_mm_fusion_args_devicePfj15HIP_vector_typeIjLj3EEjjjS8_jjjS8_jjjj.num_agpr, 0
	.set _ZL13mul_mat_vec_qIL9ggml_type8ELi1ELb0ELb1EEvPKvS2_PKi31ggml_cuda_mm_fusion_args_devicePfj15HIP_vector_typeIjLj3EEjjjS8_jjjS8_jjjj.numbered_sgpr, 24
	.set _ZL13mul_mat_vec_qIL9ggml_type8ELi1ELb0ELb1EEvPKvS2_PKi31ggml_cuda_mm_fusion_args_devicePfj15HIP_vector_typeIjLj3EEjjjS8_jjjS8_jjjj.num_named_barrier, 0
	.set _ZL13mul_mat_vec_qIL9ggml_type8ELi1ELb0ELb1EEvPKvS2_PKi31ggml_cuda_mm_fusion_args_devicePfj15HIP_vector_typeIjLj3EEjjjS8_jjjS8_jjjj.private_seg_size, 0
	.set _ZL13mul_mat_vec_qIL9ggml_type8ELi1ELb0ELb1EEvPKvS2_PKi31ggml_cuda_mm_fusion_args_devicePfj15HIP_vector_typeIjLj3EEjjjS8_jjjS8_jjjj.uses_vcc, 1
	.set _ZL13mul_mat_vec_qIL9ggml_type8ELi1ELb0ELb1EEvPKvS2_PKi31ggml_cuda_mm_fusion_args_devicePfj15HIP_vector_typeIjLj3EEjjjS8_jjjS8_jjjj.uses_flat_scratch, 0
	.set _ZL13mul_mat_vec_qIL9ggml_type8ELi1ELb0ELb1EEvPKvS2_PKi31ggml_cuda_mm_fusion_args_devicePfj15HIP_vector_typeIjLj3EEjjjS8_jjjS8_jjjj.has_dyn_sized_stack, 0
	.set _ZL13mul_mat_vec_qIL9ggml_type8ELi1ELb0ELb1EEvPKvS2_PKi31ggml_cuda_mm_fusion_args_devicePfj15HIP_vector_typeIjLj3EEjjjS8_jjjS8_jjjj.has_recursion, 0
	.set _ZL13mul_mat_vec_qIL9ggml_type8ELi1ELb0ELb1EEvPKvS2_PKi31ggml_cuda_mm_fusion_args_devicePfj15HIP_vector_typeIjLj3EEjjjS8_jjjS8_jjjj.has_indirect_call, 0
	.section	.AMDGPU.csdata,"",@progbits
; Kernel info:
; codeLenInByte = 1068
; TotalNumSgprs: 26
; NumVgprs: 16
; ScratchSize: 0
; MemoryBound: 0
; FloatMode: 240
; IeeeMode: 1
; LDSByteSize: 896 bytes/workgroup (compile time only)
; SGPRBlocks: 0
; VGPRBlocks: 1
; NumSGPRsForWavesPerEU: 26
; NumVGPRsForWavesPerEU: 16
; Occupancy: 16
; WaveLimiterHint : 0
; COMPUTE_PGM_RSRC2:SCRATCH_EN: 0
; COMPUTE_PGM_RSRC2:USER_SGPR: 2
; COMPUTE_PGM_RSRC2:TRAP_HANDLER: 0
; COMPUTE_PGM_RSRC2:TGID_X_EN: 1
; COMPUTE_PGM_RSRC2:TGID_Y_EN: 1
; COMPUTE_PGM_RSRC2:TGID_Z_EN: 1
; COMPUTE_PGM_RSRC2:TIDIG_COMP_CNT: 1
	.section	.text._ZL13mul_mat_vec_qIL9ggml_type8ELi1ELb1ELb0EEvPKvS2_PKi31ggml_cuda_mm_fusion_args_devicePfj15HIP_vector_typeIjLj3EEjjjS8_jjjS8_jjjj,"axG",@progbits,_ZL13mul_mat_vec_qIL9ggml_type8ELi1ELb1ELb0EEvPKvS2_PKi31ggml_cuda_mm_fusion_args_devicePfj15HIP_vector_typeIjLj3EEjjjS8_jjjS8_jjjj,comdat
	.globl	_ZL13mul_mat_vec_qIL9ggml_type8ELi1ELb1ELb0EEvPKvS2_PKi31ggml_cuda_mm_fusion_args_devicePfj15HIP_vector_typeIjLj3EEjjjS8_jjjS8_jjjj ; -- Begin function _ZL13mul_mat_vec_qIL9ggml_type8ELi1ELb1ELb0EEvPKvS2_PKi31ggml_cuda_mm_fusion_args_devicePfj15HIP_vector_typeIjLj3EEjjjS8_jjjS8_jjjj
	.p2align	8
	.type	_ZL13mul_mat_vec_qIL9ggml_type8ELi1ELb1ELb0EEvPKvS2_PKi31ggml_cuda_mm_fusion_args_devicePfj15HIP_vector_typeIjLj3EEjjjS8_jjjS8_jjjj,@function
_ZL13mul_mat_vec_qIL9ggml_type8ELi1ELb1ELb0EEvPKvS2_PKi31ggml_cuda_mm_fusion_args_devicePfj15HIP_vector_typeIjLj3EEjjjS8_jjjS8_jjjj: ; @_ZL13mul_mat_vec_qIL9ggml_type8ELi1ELb1ELb0EEvPKvS2_PKi31ggml_cuda_mm_fusion_args_devicePfj15HIP_vector_typeIjLj3EEjjjS8_jjjS8_jjjj
; %bb.0:
	s_clause 0x3
	s_load_b256 s[8:15], s[0:1], 0x0
	s_load_b128 s[16:19], s[0:1], 0x20
	s_load_b128 s[20:23], s[0:1], 0x40
	;; [unrolled: 1-line block ×3, first 2 shown]
	s_and_b32 s27, ttmp7, 0xffff
	s_wait_kmcnt 0x0
	s_cmp_lg_u64 s[12:13], 0
	s_cselect_b32 s2, -1, 0
	s_cmp_eq_u64 s[12:13], 0
	s_cbranch_scc1 .LBB63_42
; %bb.1:
	s_lshl_b32 s3, s27, 2
	s_load_b32 s28, s[12:13], s3 offset:0x0
	s_clause 0x1
	s_load_b32 s29, s[0:1], 0x50
	s_load_b32 s30, s[0:1], 0x78
	s_cbranch_execnz .LBB63_3
.LBB63_2:
	s_load_b64 s[12:13], s[0:1], 0x5c
	s_wait_kmcnt 0x0
	s_mul_hi_u32 s3, s12, s27
	s_delay_alu instid0(SALU_CYCLE_1) | instskip(NEXT) | instid1(SALU_CYCLE_1)
	s_add_co_i32 s3, s27, s3
	s_lshr_b32 s28, s3, s13
.LBB63_3:
	s_and_not1_b32 vcc_lo, exec_lo, s2
	s_mov_b32 s3, s27
	s_mov_b32 s31, s27
	s_cbranch_vccnz .LBB63_5
; %bb.4:
	s_mul_hi_u32 s2, s21, s27
	s_wait_kmcnt 0x0
	s_mov_b32 s3, s28
	s_add_co_i32 s2, s27, s2
	s_delay_alu instid0(SALU_CYCLE_1) | instskip(NEXT) | instid1(SALU_CYCLE_1)
	s_lshr_b32 s2, s2, s22
	s_mul_i32 s2, s2, s23
	s_delay_alu instid0(SALU_CYCLE_1)
	s_sub_co_i32 s31, s27, s2
.LBB63_5:
	s_load_b96 s[24:26], s[0:1], 0x80
	v_bfe_u32 v12, v0, 10, 10
	v_dual_mov_b32 v8, 0 :: v_dual_and_b32 v7, 0x3ff, v0
	s_lshr_b32 s21, ttmp7, 16
	s_cmp_lg_u64 s[14:15], 0
	s_delay_alu instid0(VALU_DEP_1) | instskip(SKIP_4) | instid1(VALU_DEP_1)
	v_dual_mov_b32 v9, 0 :: v_dual_lshlrev_b32 v6, 2, v7
	v_or_b32_e32 v0, v7, v12
	s_cselect_b32 s2, -1, 0
	s_mov_b32 s23, 0
	s_mul_i32 s12, s3, s6
	v_cmp_eq_u32_e32 vcc_lo, 0, v0
	s_and_b32 s13, s2, vcc_lo
	s_delay_alu instid0(SALU_CYCLE_1)
	s_and_saveexec_b32 s3, s13
	s_cbranch_execz .LBB63_7
; %bb.6:
	s_wait_kmcnt 0x0
	s_mul_i32 s22, s26, s21
	s_mov_b32 s13, s23
	s_lshl_b64 s[36:37], s[22:23], 2
	s_mov_b32 s34, ttmp9
	s_add_nc_u64 s[14:15], s[14:15], s[36:37]
	s_lshl_b64 s[22:23], s[12:13], 2
	s_ashr_i32 s35, ttmp9, 31
	s_add_nc_u64 s[14:15], s[14:15], s[22:23]
	s_lshl_b64 s[22:23], s[34:35], 2
	s_delay_alu instid0(SALU_CYCLE_1)
	s_add_nc_u64 s[14:15], s[14:15], s[22:23]
	global_load_b32 v9, v6, s[14:15]
.LBB63_7:
	s_or_b32 exec_lo, exec_lo, s3
	s_cmp_lg_u64 s[16:17], 0
	s_cselect_b32 s14, -1, 0
	s_cmp_lg_u64 s[18:19], 0
	s_cselect_b32 s3, -1, 0
	s_delay_alu instid0(SALU_CYCLE_1) | instskip(NEXT) | instid1(SALU_CYCLE_1)
	s_and_b32 s13, s3, s14
	s_and_b32 s13, s13, vcc_lo
	s_delay_alu instid0(SALU_CYCLE_1)
	s_and_saveexec_b32 s15, s13
	s_cbranch_execz .LBB63_9
; %bb.8:
	s_wait_kmcnt 0x0
	s_mul_i32 s34, s26, s21
	s_mov_b32 s35, 0
	s_mov_b32 s22, ttmp9
	s_lshl_b64 s[36:37], s[34:35], 2
	s_mov_b32 s13, s35
	s_add_nc_u64 s[18:19], s[18:19], s[36:37]
	s_lshl_b64 s[12:13], s[12:13], 2
	s_ashr_i32 s23, ttmp9, 31
	s_add_nc_u64 s[12:13], s[18:19], s[12:13]
	s_lshl_b64 s[18:19], s[22:23], 2
	s_delay_alu instid0(SALU_CYCLE_1)
	s_add_nc_u64 s[12:13], s[12:13], s[18:19]
	global_load_b32 v8, v6, s[12:13]
.LBB63_9:
	s_or_b32 exec_lo, exec_lo, s15
	v_lshl_add_u32 v0, v12, 5, v7
	v_mov_b32_e32 v13, 0
	v_cndmask_b32_e64 v10, 0, 1, s14
	v_mov_b32_e32 v11, 0
	s_lshr_b32 s15, s20, 5
	v_lshrrev_b32_e32 v14, 2, v0
	s_mov_b32 s18, exec_lo
	s_wait_alu 0xfffe
	s_delay_alu instid0(VALU_DEP_1)
	v_cmpx_gt_u32_e64 s15, v14
	s_cbranch_execz .LBB63_15
; %bb.10:
	s_mul_hi_u32 s7, s7, s21
	s_mul_i32 s22, s31, s5
	s_add_co_i32 s5, s21, s7
	s_wait_kmcnt 0x0
	s_mul_i32 s12, s25, s21
	s_mov_b32 s13, 0
	s_lshr_b32 s5, s5, s30
	s_mov_b32 s23, s13
	s_mul_i32 s7, s28, s4
	s_mul_i32 s19, s5, s24
	s_mul_u64 s[4:5], s[12:13], 36
	v_lshrrev_b32_e32 v0, 2, v0
	s_mul_u64 s[22:23], s[22:23], 36
	s_add_nc_u64 s[4:5], s[10:11], s[4:5]
	v_dual_mov_b32 v13, 0 :: v_dual_and_b32 v2, 12, v6
	v_and_b32_e32 v3, 3, v7
	s_add_nc_u64 s[4:5], s[4:5], s[22:23]
	s_mul_i32 s29, s29, ttmp9
	v_mad_co_u64_u32 v[0:1], null, v0, 36, s[4:5]
	s_delay_alu instid0(VALU_DEP_2) | instskip(SKIP_2) | instid1(SALU_CYCLE_1)
	v_lshlrev_b32_e32 v15, 3, v3
	v_dual_mov_b32 v11, 0 :: v_dual_lshlrev_b32 v16, 1, v2
	s_add_co_i32 s19, s19, s29
	s_add_co_i32 s5, s7, s19
	s_branch .LBB63_12
.LBB63_11:                              ;   in Loop: Header=BB63_12 Depth=1
	s_wait_loadcnt 0x1
	v_dot4_i32_iu8 v2, v4, v2, 0 neg_lo:[1,1,0]
	s_wait_loadcnt 0x0
	v_cvt_f32_f16_e32 v4, v18
	v_add_nc_u32_e32 v14, 64, v14
	v_add_co_u32 v0, s4, 0x900, v0
	v_dot4_i32_iu8 v2, v5, v3, v2 neg_lo:[1,1,0]
	s_delay_alu instid0(VALU_DEP_4) | instskip(NEXT) | instid1(VALU_DEP_4)
	v_mul_f32_e32 v3, v4, v17
	v_cmp_le_u32_e32 vcc_lo, s15, v14
	s_wait_alu 0xf1ff
	v_add_co_ci_u32_e64 v1, null, 0, v1, s4
	v_cvt_f32_i32_e32 v2, v2
	s_or_b32 s13, vcc_lo, s13
	s_delay_alu instid0(VALU_DEP_1)
	v_fmac_f32_e32 v13, v3, v2
	s_and_not1_b32 exec_lo, exec_lo, s13
	s_cbranch_execz .LBB63_14
.LBB63_12:                              ; =>This Inner Loop Header: Depth=1
	s_wait_alu 0xfffe
	v_add_nc_u32_e32 v19, s5, v14
	v_add_co_u32 v2, vcc_lo, v0, v15
	s_wait_alu 0xfffd
	v_add_co_ci_u32_e64 v3, null, 0, v1, vcc_lo
	s_delay_alu instid0(VALU_DEP_3) | instskip(NEXT) | instid1(VALU_DEP_1)
	v_mad_co_i64_i32 v[17:18], null, v19, 34, s[8:9]
	v_add_co_u32 v4, vcc_lo, v17, v16
	s_wait_alu 0xfffd
	s_delay_alu instid0(VALU_DEP_2)
	v_add_co_ci_u32_e64 v5, null, 0, v18, vcc_lo
	s_and_not1_b32 vcc_lo, exec_lo, s14
	s_clause 0x1
	global_load_b32 v20, v[0:1], off
	global_load_b64 v[2:3], v[2:3], off offset:4
	s_clause 0x1
	global_load_b64 v[4:5], v[4:5], off offset:2
	global_load_u16 v18, v[17:18], off
	s_wait_loadcnt 0x3
	v_cvt_f32_f16_e32 v17, v20
	s_wait_alu 0xfffe
	s_cbranch_vccnz .LBB63_11
; %bb.13:                               ;   in Loop: Header=BB63_12 Depth=1
	v_mad_co_i64_i32 v[19:20], null, v19, 34, s[16:17]
	s_delay_alu instid0(VALU_DEP_1) | instskip(SKIP_1) | instid1(VALU_DEP_2)
	v_add_co_u32 v21, vcc_lo, v19, v16
	s_wait_alu 0xfffd
	v_add_co_ci_u32_e64 v22, null, 0, v20, vcc_lo
	s_clause 0x1
	global_load_b64 v[21:22], v[21:22], off offset:2
	global_load_u16 v19, v[19:20], off
	s_wait_loadcnt 0x1
	v_dot4_i32_iu8 v20, v21, v2, 0 neg_lo:[1,1,0]
	s_wait_loadcnt 0x0
	v_cvt_f32_f16_e32 v19, v19
	s_delay_alu instid0(VALU_DEP_2) | instskip(NEXT) | instid1(VALU_DEP_2)
	v_dot4_i32_iu8 v20, v22, v3, v20 neg_lo:[1,1,0]
	v_mul_f32_e32 v19, v17, v19
	s_delay_alu instid0(VALU_DEP_2) | instskip(NEXT) | instid1(VALU_DEP_1)
	v_cvt_f32_i32_e32 v20, v20
	v_fmac_f32_e32 v11, v19, v20
	s_branch .LBB63_11
.LBB63_14:
	s_or_b32 exec_lo, exec_lo, s13
.LBB63_15:
	s_delay_alu instid0(SALU_CYCLE_1)
	s_or_b32 exec_lo, exec_lo, s18
	s_load_b32 s5, s[0:1], 0x30
	v_cmp_eq_u32_e64 s4, 0, v12
	s_mov_b32 s7, exec_lo
	v_cmpx_ne_u32_e32 0, v12
	s_cbranch_execz .LBB63_19
; %bb.16:
	v_add_nc_u32_e32 v0, -1, v12
	s_and_b32 vcc_lo, exec_lo, s14
	s_delay_alu instid0(VALU_DEP_1)
	v_lshlrev_b32_e32 v0, 7, v0
	s_wait_alu 0xfffe
	s_cbranch_vccz .LBB63_18
; %bb.17:
	s_delay_alu instid0(VALU_DEP_1)
	v_lshl_add_u32 v1, v7, 2, v0
	ds_store_b32 v1, v11 offset:896
.LBB63_18:
	s_delay_alu instid0(VALU_DEP_1)
	v_lshl_add_u32 v0, v7, 2, v0
	ds_store_b32 v0, v13
.LBB63_19:
	s_or_b32 exec_lo, exec_lo, s7
	s_wait_loadcnt_dscnt 0x0
	s_barrier_signal -1
	s_barrier_wait -1
	global_inv scope:SCOPE_SE
	s_and_saveexec_b32 s7, s4
	s_cbranch_execz .LBB63_61
; %bb.20:
	ds_load_b32 v0, v6
	v_cmp_ne_u32_e32 vcc_lo, 1, v10
	v_add_nc_u32_e32 v1, 0x380, v6
	s_cbranch_vccnz .LBB63_22
; %bb.21:
	ds_load_b32 v2, v1
	s_wait_dscnt 0x0
	v_add_f32_e32 v11, v11, v2
.LBB63_22:
	ds_load_b32 v2, v6 offset:128
	v_cmp_ne_u32_e32 vcc_lo, 1, v10
	s_cbranch_vccnz .LBB63_24
; %bb.23:
	ds_load_b32 v3, v1 offset:128
	s_wait_dscnt 0x0
	v_add_f32_e32 v11, v11, v3
.LBB63_24:
	ds_load_b32 v3, v6 offset:256
	v_cmp_ne_u32_e32 vcc_lo, 1, v10
	s_cbranch_vccnz .LBB63_26
; %bb.25:
	ds_load_b32 v4, v1 offset:256
	s_wait_dscnt 0x0
	v_add_f32_e32 v11, v11, v4
.LBB63_26:
	;; [unrolled: 8-line block ×6, first 2 shown]
	s_wait_dscnt 0x6
	v_add_f32_e32 v0, v13, v0
	v_mbcnt_lo_u32_b32 v1, -1, 0
	s_wait_dscnt 0x5
	s_delay_alu instid0(VALU_DEP_2) | instskip(NEXT) | instid1(VALU_DEP_2)
	v_add_f32_e32 v0, v0, v2
	v_xor_b32_e32 v2, 16, v1
	s_wait_dscnt 0x4
	s_delay_alu instid0(VALU_DEP_2) | instskip(NEXT) | instid1(VALU_DEP_2)
	v_add_f32_e32 v0, v0, v3
	v_cmp_gt_i32_e32 vcc_lo, 32, v2
	v_xor_b32_e32 v3, 8, v1
	s_wait_dscnt 0x3
	s_delay_alu instid0(VALU_DEP_3)
	v_add_f32_e32 v0, v0, v4
	s_wait_alu 0xfffd
	v_cndmask_b32_e32 v2, v1, v2, vcc_lo
	v_cmp_gt_i32_e32 vcc_lo, 32, v3
	s_wait_dscnt 0x2
	s_wait_alu 0xfffd
	v_dual_add_f32 v0, v0, v5 :: v_dual_cndmask_b32 v3, v1, v3
	s_wait_dscnt 0x1
	s_delay_alu instid0(VALU_DEP_1) | instskip(SKIP_1) | instid1(VALU_DEP_1)
	v_dual_add_f32 v0, v0, v12 :: v_dual_lshlrev_b32 v3, 2, v3
	s_wait_dscnt 0x0
	v_add_f32_e32 v4, v0, v14
	v_lshlrev_b32_e32 v0, 2, v2
	ds_bpermute_b32 v2, v0, v4
	s_wait_dscnt 0x0
	v_add_f32_e32 v2, v4, v2
	v_xor_b32_e32 v4, 4, v1
	ds_bpermute_b32 v5, v3, v2
	v_cmp_gt_i32_e32 vcc_lo, 32, v4
	s_wait_alu 0xfffd
	v_cndmask_b32_e32 v4, v1, v4, vcc_lo
	s_delay_alu instid0(VALU_DEP_1)
	v_lshlrev_b32_e32 v4, 2, v4
	s_wait_dscnt 0x0
	v_add_f32_e32 v2, v2, v5
	v_xor_b32_e32 v5, 2, v1
	ds_bpermute_b32 v12, v4, v2
	v_cmp_gt_i32_e32 vcc_lo, 32, v5
	s_wait_alu 0xfffd
	v_cndmask_b32_e32 v5, v1, v5, vcc_lo
	s_wait_dscnt 0x0
	s_delay_alu instid0(VALU_DEP_1)
	v_dual_add_f32 v2, v2, v12 :: v_dual_lshlrev_b32 v5, 2, v5
	v_xor_b32_e32 v12, 1, v1
	ds_bpermute_b32 v13, v5, v2
	v_cmp_gt_i32_e32 vcc_lo, 32, v12
	s_wait_alu 0xfffd
	v_cndmask_b32_e32 v1, v1, v12, vcc_lo
	v_cmp_ne_u32_e32 vcc_lo, 1, v10
	s_delay_alu instid0(VALU_DEP_2)
	v_lshlrev_b32_e32 v12, 2, v1
	s_wait_dscnt 0x0
	v_add_f32_e32 v1, v2, v13
	ds_bpermute_b32 v2, v12, v1
	s_cbranch_vccnz .LBB63_36
; %bb.35:
	ds_bpermute_b32 v0, v0, v11
	s_wait_dscnt 0x0
	v_add_f32_e32 v0, v11, v0
	ds_bpermute_b32 v3, v3, v0
	s_wait_dscnt 0x0
	v_add_f32_e32 v0, v0, v3
	;; [unrolled: 3-line block ×5, first 2 shown]
.LBB63_36:
	v_cmp_eq_u32_e32 vcc_lo, 0, v7
	s_and_b32 exec_lo, exec_lo, vcc_lo
	s_cbranch_execz .LBB63_61
; %bb.37:
	s_wait_dscnt 0x0
	v_add_f32_e32 v0, v1, v2
	v_cmp_ne_u32_e32 vcc_lo, 1, v10
	s_delay_alu instid0(VALU_DEP_2) | instskip(NEXT) | instid1(VALU_DEP_1)
	v_add_f32_e32 v1, v9, v0
	v_cndmask_b32_e64 v0, v0, v1, s2
	s_cbranch_vccnz .LBB63_60
; %bb.38:
	v_add_f32_e32 v1, v8, v11
	s_wait_kmcnt 0x0
	s_cmp_lt_i32 s5, 2
	s_mov_b32 s2, 0
	s_delay_alu instid0(VALU_DEP_1)
	v_cndmask_b32_e64 v1, v11, v1, s3
	s_cbranch_scc1 .LBB63_43
; %bb.39:
	s_cmp_gt_i32 s5, 2
	s_cbranch_scc0 .LBB63_44
; %bb.40:
	s_cmp_eq_u32 s5, 3
	s_cbranch_scc0 .LBB63_45
; %bb.41:
	v_max_num_f32_e32 v2, v1, v1
	s_mov_b32 s3, 0xc0e00000
	s_delay_alu instid0(VALU_DEP_1) | instskip(NEXT) | instid1(VALU_DEP_1)
	v_min_num_f32_e32 v2, 0x40e00000, v2
	v_mul_f32_e32 v3, 0xbfd9db23, v2
	s_delay_alu instid0(VALU_DEP_1) | instskip(NEXT) | instid1(VALU_DEP_1)
	v_mul_f32_e32 v4, 0x3fb8aa3b, v3
	v_fma_f32 v5, 0x3fb8aa3b, v3, -v4
	v_rndne_f32_e32 v7, v4
	s_delay_alu instid0(VALU_DEP_1) | instskip(SKIP_1) | instid1(VALU_DEP_2)
	v_dual_sub_f32 v4, v4, v7 :: v_dual_fmamk_f32 v5, v3, 0x32a5705f, v5
	v_cmp_ngt_f32_e32 vcc_lo, 0xc2ce8ed0, v3
	v_add_f32_e32 v4, v4, v5
	v_cvt_i32_f32_e32 v5, v7
	s_delay_alu instid0(VALU_DEP_2) | instskip(NEXT) | instid1(TRANS32_DEP_1)
	v_exp_f32_e32 v4, v4
	v_ldexp_f32 v4, v4, v5
	s_wait_alu 0xfffd
	s_delay_alu instid0(VALU_DEP_1) | instskip(SKIP_2) | instid1(VALU_DEP_2)
	v_cndmask_b32_e32 v4, 0, v4, vcc_lo
	v_cmp_nlt_f32_e32 vcc_lo, 0x42b17218, v3
	s_wait_alu 0xfffd
	v_cndmask_b32_e32 v3, 0x7f800000, v4, vcc_lo
	s_delay_alu instid0(VALU_DEP_1) | instskip(NEXT) | instid1(VALU_DEP_1)
	v_add_f32_e32 v3, 1.0, v3
	v_div_scale_f32 v4, null, v3, v3, v2
	v_div_scale_f32 v8, vcc_lo, v2, v3, v2
	s_delay_alu instid0(VALU_DEP_2) | instskip(NEXT) | instid1(TRANS32_DEP_1)
	v_rcp_f32_e32 v5, v4
	v_fma_f32 v7, -v4, v5, 1.0
	s_delay_alu instid0(VALU_DEP_1) | instskip(NEXT) | instid1(VALU_DEP_1)
	v_fmac_f32_e32 v5, v7, v5
	v_mul_f32_e32 v7, v8, v5
	s_delay_alu instid0(VALU_DEP_1) | instskip(NEXT) | instid1(VALU_DEP_1)
	v_fma_f32 v9, -v4, v7, v8
	v_fmac_f32_e32 v7, v9, v5
	s_delay_alu instid0(VALU_DEP_1) | instskip(SKIP_2) | instid1(VALU_DEP_2)
	v_fma_f32 v4, -v4, v7, v8
	v_max_num_f32_e32 v8, v0, v0
	s_wait_alu 0xfffd
	v_div_fmas_f32 v4, v4, v5, v7
	s_wait_alu 0xfffe
	s_delay_alu instid0(VALU_DEP_2) | instskip(SKIP_1) | instid1(VALU_DEP_2)
	v_minmax_num_f32 v5, v8, 0x40e00000, s3
	s_mov_b32 s3, 0
	v_div_fixup_f32 v2, v4, v3, v2
	s_delay_alu instid0(VALU_DEP_2) | instskip(NEXT) | instid1(VALU_DEP_1)
	v_add_f32_e32 v3, 1.0, v5
	v_mul_f32_e32 v2, v3, v2
	s_branch .LBB63_46
.LBB63_42:
                                        ; implicit-def: $sgpr28
	s_clause 0x1
	s_load_b32 s29, s[0:1], 0x50
	s_load_b32 s30, s[0:1], 0x78
	s_branch .LBB63_2
.LBB63_43:
	s_mov_b32 s3, 0
                                        ; implicit-def: $vgpr2
	s_cbranch_execnz .LBB63_50
	s_branch .LBB63_51
.LBB63_44:
	s_mov_b32 s4, -1
	s_mov_b32 s3, 0
                                        ; implicit-def: $vgpr2
	s_branch .LBB63_47
.LBB63_45:
	s_mov_b32 s3, -1
                                        ; implicit-def: $vgpr2
.LBB63_46:
	s_mov_b32 s4, 0
.LBB63_47:
	s_wait_alu 0xfffe
	s_and_b32 vcc_lo, exec_lo, s4
	s_wait_alu 0xfffe
	s_cbranch_vccz .LBB63_49
; %bb.48:
	v_mul_f32_e32 v2, 0xbfb8aa3b, v1
	v_cmp_nlt_f32_e32 vcc_lo, 0x42ce8ed0, v1
	s_delay_alu instid0(VALU_DEP_2) | instskip(SKIP_1) | instid1(VALU_DEP_2)
	v_rndne_f32_e32 v3, v2
	v_fma_f32 v4, 0xbfb8aa3b, v1, -v2
	v_sub_f32_e32 v2, v2, v3
	s_delay_alu instid0(VALU_DEP_2) | instskip(SKIP_1) | instid1(VALU_DEP_2)
	v_fmamk_f32 v4, v1, 0xb2a5705f, v4
	v_cvt_i32_f32_e32 v3, v3
	v_add_f32_e32 v2, v2, v4
	s_delay_alu instid0(VALU_DEP_1) | instskip(NEXT) | instid1(TRANS32_DEP_1)
	v_exp_f32_e32 v2, v2
	v_ldexp_f32 v2, v2, v3
	s_wait_alu 0xfffd
	s_delay_alu instid0(VALU_DEP_1) | instskip(SKIP_2) | instid1(VALU_DEP_2)
	v_cndmask_b32_e32 v2, 0, v2, vcc_lo
	v_cmp_ngt_f32_e32 vcc_lo, 0xc2b17218, v1
	s_wait_alu 0xfffd
	v_cndmask_b32_e32 v2, 0x7f800000, v2, vcc_lo
	s_delay_alu instid0(VALU_DEP_1) | instskip(NEXT) | instid1(VALU_DEP_1)
	v_add_f32_e32 v2, 1.0, v2
	v_div_scale_f32 v3, null, v2, v2, v1
	s_delay_alu instid0(VALU_DEP_1) | instskip(NEXT) | instid1(TRANS32_DEP_1)
	v_rcp_f32_e32 v4, v3
	v_fma_f32 v5, -v3, v4, 1.0
	s_delay_alu instid0(VALU_DEP_1) | instskip(SKIP_1) | instid1(VALU_DEP_1)
	v_fmac_f32_e32 v4, v5, v4
	v_div_scale_f32 v5, vcc_lo, v1, v2, v1
	v_mul_f32_e32 v7, v5, v4
	s_delay_alu instid0(VALU_DEP_1) | instskip(NEXT) | instid1(VALU_DEP_1)
	v_fma_f32 v8, -v3, v7, v5
	v_fmac_f32_e32 v7, v8, v4
	s_delay_alu instid0(VALU_DEP_1) | instskip(SKIP_1) | instid1(VALU_DEP_1)
	v_fma_f32 v3, -v3, v7, v5
	s_wait_alu 0xfffd
	v_div_fmas_f32 v3, v3, v4, v7
	s_delay_alu instid0(VALU_DEP_1) | instskip(NEXT) | instid1(VALU_DEP_1)
	v_div_fixup_f32 v2, v3, v2, v1
	v_mul_f32_e32 v2, v0, v2
.LBB63_49:
	s_branch .LBB63_51
.LBB63_50:
	s_cmp_lg_u32 s5, 1
	s_mov_b32 s2, -1
	s_cselect_b32 s3, -1, 0
.LBB63_51:
	s_wait_alu 0xfffe
	s_and_not1_b32 vcc_lo, exec_lo, s3
	s_wait_alu 0xfffe
	s_cbranch_vccz .LBB63_53
; %bb.52:
	s_and_not1_b32 vcc_lo, exec_lo, s2
	s_wait_alu 0xfffe
	s_cbranch_vccz .LBB63_54
	s_branch .LBB63_59
.LBB63_53:
	v_mul_f32_e32 v2, v1, v0
	s_cbranch_execnz .LBB63_59
.LBB63_54:
	v_mul_f32_e32 v2, 0x3d372713, v1
	v_mul_f32_e32 v3, 0x3f4c422a, v1
	s_delay_alu instid0(VALU_DEP_2) | instskip(NEXT) | instid1(VALU_DEP_1)
	v_fma_f32 v2, v1, v2, 1.0
	v_mul_f32_e32 v2, v3, v2
                                        ; implicit-def: $vgpr3
	s_delay_alu instid0(VALU_DEP_1)
	v_cmp_ngt_f32_e64 s2, 0x3f200000, |v2|
	s_and_saveexec_b32 s3, s2
	s_wait_alu 0xfffe
	s_xor_b32 s2, exec_lo, s3
	s_cbranch_execz .LBB63_56
; %bb.55:
	v_add_f32_e64 v3, |v2|, |v2|
	s_delay_alu instid0(VALU_DEP_1) | instskip(SKIP_1) | instid1(VALU_DEP_2)
	v_mul_f32_e32 v4, 0x3fb8aa3b, v3
	v_cmp_ngt_f32_e32 vcc_lo, 0xc2ce8ed0, v3
	v_rndne_f32_e32 v5, v4
	v_fma_f32 v7, 0x3fb8aa3b, v3, -v4
	s_delay_alu instid0(VALU_DEP_1) | instskip(SKIP_1) | instid1(VALU_DEP_2)
	v_dual_sub_f32 v4, v4, v5 :: v_dual_fmamk_f32 v7, v3, 0x32a5705f, v7
	v_cvt_i32_f32_e32 v5, v5
	v_add_f32_e32 v4, v4, v7
	s_delay_alu instid0(VALU_DEP_1) | instskip(NEXT) | instid1(TRANS32_DEP_1)
	v_exp_f32_e32 v4, v4
	v_ldexp_f32 v4, v4, v5
	s_wait_alu 0xfffd
	s_delay_alu instid0(VALU_DEP_1) | instskip(SKIP_2) | instid1(VALU_DEP_2)
	v_cndmask_b32_e32 v4, 0, v4, vcc_lo
	v_cmp_nlt_f32_e32 vcc_lo, 0x42b17218, v3
	s_wait_alu 0xfffd
	v_cndmask_b32_e32 v3, 0x7f800000, v4, vcc_lo
	s_delay_alu instid0(VALU_DEP_1) | instskip(NEXT) | instid1(VALU_DEP_1)
	v_add_f32_e32 v3, 1.0, v3
	v_rcp_f32_e32 v3, v3
	s_delay_alu instid0(TRANS32_DEP_1)
	v_fma_f32 v3, v3, -2.0, 1.0
.LBB63_56:
	s_wait_alu 0xfffe
	s_and_not1_saveexec_b32 s2, s2
	s_cbranch_execz .LBB63_58
; %bb.57:
	v_mul_f32_e32 v3, v2, v2
	s_mov_b32 s3, 0xbbbac73d
	s_wait_alu 0xfffe
	s_delay_alu instid0(VALU_DEP_1) | instskip(NEXT) | instid1(VALU_DEP_1)
	v_fmaak_f32 v4, s3, v3, 0x3ca908c9
	v_fmaak_f32 v4, v3, v4, 0xbd5c1c4e
	s_delay_alu instid0(VALU_DEP_1) | instskip(NEXT) | instid1(VALU_DEP_1)
	v_fmaak_f32 v4, v3, v4, 0x3e088382
	v_fmaak_f32 v4, v3, v4, 0xbeaaaa99
	s_delay_alu instid0(VALU_DEP_1) | instskip(NEXT) | instid1(VALU_DEP_1)
	v_mul_f32_e64 v4, |v2|, v4
	v_fma_f32 v3, v3, v4, |v2|
.LBB63_58:
	s_wait_alu 0xfffe
	s_or_b32 exec_lo, exec_lo, s2
	s_delay_alu instid0(VALU_DEP_1) | instskip(NEXT) | instid1(VALU_DEP_1)
	v_bfi_b32 v2, 0x7fffffff, v3, v2
	v_dual_mul_f32 v1, 0.5, v1 :: v_dual_add_f32 v2, 1.0, v2
	s_delay_alu instid0(VALU_DEP_1) | instskip(NEXT) | instid1(VALU_DEP_1)
	v_mul_f32_e32 v1, v1, v2
	v_mul_f32_e32 v2, v0, v1
.LBB63_59:
	s_delay_alu instid0(VALU_DEP_1)
	v_mov_b32_e32 v0, v2
.LBB63_60:
	s_load_b64 s[0:1], s[0:1], 0x38
	s_mul_i32 s2, s6, s27
	s_wait_kmcnt 0x0
	s_mul_i32 s3, s26, s21
	s_wait_alu 0xfffe
	s_add_co_i32 s2, s2, ttmp9
	s_wait_alu 0xfffe
	s_add_co_i32 s2, s2, s3
	s_mov_b32 s3, 0
	s_wait_alu 0xfffe
	s_lshl_b64 s[2:3], s[2:3], 2
	s_wait_alu 0xfffe
	s_add_nc_u64 s[0:1], s[0:1], s[2:3]
	global_store_b32 v6, v0, s[0:1]
.LBB63_61:
	s_endpgm
	.section	.rodata,"a",@progbits
	.p2align	6, 0x0
	.amdhsa_kernel _ZL13mul_mat_vec_qIL9ggml_type8ELi1ELb1ELb0EEvPKvS2_PKi31ggml_cuda_mm_fusion_args_devicePfj15HIP_vector_typeIjLj3EEjjjS8_jjjS8_jjjj
		.amdhsa_group_segment_fixed_size 1792
		.amdhsa_private_segment_fixed_size 0
		.amdhsa_kernarg_size 144
		.amdhsa_user_sgpr_count 2
		.amdhsa_user_sgpr_dispatch_ptr 0
		.amdhsa_user_sgpr_queue_ptr 0
		.amdhsa_user_sgpr_kernarg_segment_ptr 1
		.amdhsa_user_sgpr_dispatch_id 0
		.amdhsa_user_sgpr_private_segment_size 0
		.amdhsa_wavefront_size32 1
		.amdhsa_uses_dynamic_stack 0
		.amdhsa_enable_private_segment 0
		.amdhsa_system_sgpr_workgroup_id_x 1
		.amdhsa_system_sgpr_workgroup_id_y 1
		.amdhsa_system_sgpr_workgroup_id_z 1
		.amdhsa_system_sgpr_workgroup_info 0
		.amdhsa_system_vgpr_workitem_id 1
		.amdhsa_next_free_vgpr 23
		.amdhsa_next_free_sgpr 38
		.amdhsa_reserve_vcc 1
		.amdhsa_float_round_mode_32 0
		.amdhsa_float_round_mode_16_64 0
		.amdhsa_float_denorm_mode_32 3
		.amdhsa_float_denorm_mode_16_64 3
		.amdhsa_fp16_overflow 0
		.amdhsa_workgroup_processor_mode 1
		.amdhsa_memory_ordered 1
		.amdhsa_forward_progress 1
		.amdhsa_inst_pref_size 22
		.amdhsa_round_robin_scheduling 0
		.amdhsa_exception_fp_ieee_invalid_op 0
		.amdhsa_exception_fp_denorm_src 0
		.amdhsa_exception_fp_ieee_div_zero 0
		.amdhsa_exception_fp_ieee_overflow 0
		.amdhsa_exception_fp_ieee_underflow 0
		.amdhsa_exception_fp_ieee_inexact 0
		.amdhsa_exception_int_div_zero 0
	.end_amdhsa_kernel
	.section	.text._ZL13mul_mat_vec_qIL9ggml_type8ELi1ELb1ELb0EEvPKvS2_PKi31ggml_cuda_mm_fusion_args_devicePfj15HIP_vector_typeIjLj3EEjjjS8_jjjS8_jjjj,"axG",@progbits,_ZL13mul_mat_vec_qIL9ggml_type8ELi1ELb1ELb0EEvPKvS2_PKi31ggml_cuda_mm_fusion_args_devicePfj15HIP_vector_typeIjLj3EEjjjS8_jjjS8_jjjj,comdat
.Lfunc_end63:
	.size	_ZL13mul_mat_vec_qIL9ggml_type8ELi1ELb1ELb0EEvPKvS2_PKi31ggml_cuda_mm_fusion_args_devicePfj15HIP_vector_typeIjLj3EEjjjS8_jjjS8_jjjj, .Lfunc_end63-_ZL13mul_mat_vec_qIL9ggml_type8ELi1ELb1ELb0EEvPKvS2_PKi31ggml_cuda_mm_fusion_args_devicePfj15HIP_vector_typeIjLj3EEjjjS8_jjjS8_jjjj
                                        ; -- End function
	.set _ZL13mul_mat_vec_qIL9ggml_type8ELi1ELb1ELb0EEvPKvS2_PKi31ggml_cuda_mm_fusion_args_devicePfj15HIP_vector_typeIjLj3EEjjjS8_jjjS8_jjjj.num_vgpr, 23
	.set _ZL13mul_mat_vec_qIL9ggml_type8ELi1ELb1ELb0EEvPKvS2_PKi31ggml_cuda_mm_fusion_args_devicePfj15HIP_vector_typeIjLj3EEjjjS8_jjjS8_jjjj.num_agpr, 0
	.set _ZL13mul_mat_vec_qIL9ggml_type8ELi1ELb1ELb0EEvPKvS2_PKi31ggml_cuda_mm_fusion_args_devicePfj15HIP_vector_typeIjLj3EEjjjS8_jjjS8_jjjj.numbered_sgpr, 38
	.set _ZL13mul_mat_vec_qIL9ggml_type8ELi1ELb1ELb0EEvPKvS2_PKi31ggml_cuda_mm_fusion_args_devicePfj15HIP_vector_typeIjLj3EEjjjS8_jjjS8_jjjj.num_named_barrier, 0
	.set _ZL13mul_mat_vec_qIL9ggml_type8ELi1ELb1ELb0EEvPKvS2_PKi31ggml_cuda_mm_fusion_args_devicePfj15HIP_vector_typeIjLj3EEjjjS8_jjjS8_jjjj.private_seg_size, 0
	.set _ZL13mul_mat_vec_qIL9ggml_type8ELi1ELb1ELb0EEvPKvS2_PKi31ggml_cuda_mm_fusion_args_devicePfj15HIP_vector_typeIjLj3EEjjjS8_jjjS8_jjjj.uses_vcc, 1
	.set _ZL13mul_mat_vec_qIL9ggml_type8ELi1ELb1ELb0EEvPKvS2_PKi31ggml_cuda_mm_fusion_args_devicePfj15HIP_vector_typeIjLj3EEjjjS8_jjjS8_jjjj.uses_flat_scratch, 0
	.set _ZL13mul_mat_vec_qIL9ggml_type8ELi1ELb1ELb0EEvPKvS2_PKi31ggml_cuda_mm_fusion_args_devicePfj15HIP_vector_typeIjLj3EEjjjS8_jjjS8_jjjj.has_dyn_sized_stack, 0
	.set _ZL13mul_mat_vec_qIL9ggml_type8ELi1ELb1ELb0EEvPKvS2_PKi31ggml_cuda_mm_fusion_args_devicePfj15HIP_vector_typeIjLj3EEjjjS8_jjjS8_jjjj.has_recursion, 0
	.set _ZL13mul_mat_vec_qIL9ggml_type8ELi1ELb1ELb0EEvPKvS2_PKi31ggml_cuda_mm_fusion_args_devicePfj15HIP_vector_typeIjLj3EEjjjS8_jjjS8_jjjj.has_indirect_call, 0
	.section	.AMDGPU.csdata,"",@progbits
; Kernel info:
; codeLenInByte = 2808
; TotalNumSgprs: 40
; NumVgprs: 23
; ScratchSize: 0
; MemoryBound: 0
; FloatMode: 240
; IeeeMode: 1
; LDSByteSize: 1792 bytes/workgroup (compile time only)
; SGPRBlocks: 0
; VGPRBlocks: 2
; NumSGPRsForWavesPerEU: 40
; NumVGPRsForWavesPerEU: 23
; Occupancy: 16
; WaveLimiterHint : 0
; COMPUTE_PGM_RSRC2:SCRATCH_EN: 0
; COMPUTE_PGM_RSRC2:USER_SGPR: 2
; COMPUTE_PGM_RSRC2:TRAP_HANDLER: 0
; COMPUTE_PGM_RSRC2:TGID_X_EN: 1
; COMPUTE_PGM_RSRC2:TGID_Y_EN: 1
; COMPUTE_PGM_RSRC2:TGID_Z_EN: 1
; COMPUTE_PGM_RSRC2:TIDIG_COMP_CNT: 1
	.section	.text._ZL13mul_mat_vec_qIL9ggml_type8ELi1ELb0ELb0EEvPKvS2_PKi31ggml_cuda_mm_fusion_args_devicePfj15HIP_vector_typeIjLj3EEjjjS8_jjjS8_jjjj,"axG",@progbits,_ZL13mul_mat_vec_qIL9ggml_type8ELi1ELb0ELb0EEvPKvS2_PKi31ggml_cuda_mm_fusion_args_devicePfj15HIP_vector_typeIjLj3EEjjjS8_jjjS8_jjjj,comdat
	.globl	_ZL13mul_mat_vec_qIL9ggml_type8ELi1ELb0ELb0EEvPKvS2_PKi31ggml_cuda_mm_fusion_args_devicePfj15HIP_vector_typeIjLj3EEjjjS8_jjjS8_jjjj ; -- Begin function _ZL13mul_mat_vec_qIL9ggml_type8ELi1ELb0ELb0EEvPKvS2_PKi31ggml_cuda_mm_fusion_args_devicePfj15HIP_vector_typeIjLj3EEjjjS8_jjjS8_jjjj
	.p2align	8
	.type	_ZL13mul_mat_vec_qIL9ggml_type8ELi1ELb0ELb0EEvPKvS2_PKi31ggml_cuda_mm_fusion_args_devicePfj15HIP_vector_typeIjLj3EEjjjS8_jjjS8_jjjj,@function
_ZL13mul_mat_vec_qIL9ggml_type8ELi1ELb0ELb0EEvPKvS2_PKi31ggml_cuda_mm_fusion_args_devicePfj15HIP_vector_typeIjLj3EEjjjS8_jjjS8_jjjj: ; @_ZL13mul_mat_vec_qIL9ggml_type8ELi1ELb0ELb0EEvPKvS2_PKi31ggml_cuda_mm_fusion_args_devicePfj15HIP_vector_typeIjLj3EEjjjS8_jjjS8_jjjj
; %bb.0:
	s_clause 0x1
	s_load_b64 s[2:3], s[0:1], 0x10
	s_load_b128 s[8:11], s[0:1], 0x40
	s_and_b32 s15, ttmp7, 0xffff
	s_wait_kmcnt 0x0
	s_cmp_lg_u64 s[2:3], 0
	s_cselect_b32 s12, -1, 0
	s_cmp_eq_u64 s[2:3], 0
	s_cbranch_scc1 .LBB64_15
; %bb.1:
	s_lshl_b32 s4, s15, 2
	s_load_b32 s19, s[2:3], s4 offset:0x0
	s_clause 0x1
	s_load_b128 s[4:7], s[0:1], 0x68
	s_load_b32 s20, s[0:1], 0x50
	s_cbranch_execnz .LBB64_3
.LBB64_2:
	s_load_b64 s[2:3], s[0:1], 0x5c
	s_wait_kmcnt 0x0
	s_mul_hi_u32 s2, s2, s15
	s_delay_alu instid0(SALU_CYCLE_1) | instskip(NEXT) | instid1(SALU_CYCLE_1)
	s_add_co_i32 s2, s15, s2
	s_lshr_b32 s19, s2, s3
.LBB64_3:
	s_load_b32 s21, s[0:1], 0x78
	s_and_not1_b32 vcc_lo, exec_lo, s12
	s_mov_b32 s22, s15
	s_cbranch_vccnz .LBB64_5
; %bb.4:
	s_mul_hi_u32 s2, s9, s15
	s_delay_alu instid0(SALU_CYCLE_1) | instskip(NEXT) | instid1(SALU_CYCLE_1)
	s_add_co_i32 s2, s15, s2
	s_lshr_b32 s2, s2, s10
	s_delay_alu instid0(SALU_CYCLE_1) | instskip(NEXT) | instid1(SALU_CYCLE_1)
	s_mul_i32 s2, s2, s11
	s_sub_co_i32 s22, s15, s2
.LBB64_5:
	s_load_b96 s[12:14], s[0:1], 0x80
	v_bfe_u32 v4, v0, 10, 10
	v_dual_mov_b32 v5, 0 :: v_dual_and_b32 v2, 0x3ff, v0
	s_lshr_b32 s17, s8, 5
	s_lshr_b32 s16, ttmp7, 16
	s_mov_b32 s18, exec_lo
	s_delay_alu instid0(VALU_DEP_1) | instskip(SKIP_1) | instid1(VALU_DEP_2)
	v_lshl_add_u32 v0, v4, 5, v2
	v_lshlrev_b32_e32 v3, 2, v2
	v_lshrrev_b32_e32 v6, 2, v0
	s_delay_alu instid0(VALU_DEP_1)
	v_cmpx_gt_u32_e64 s17, v6
	s_cbranch_execz .LBB64_9
; %bb.6:
	s_load_b128 s[8:11], s[0:1], 0x0
	s_wait_kmcnt 0x0
	s_mul_i32 s22, s22, s5
	s_mul_hi_u32 s5, s7, s16
	s_mul_i32 s2, s13, s16
	s_mov_b32 s3, 0
	s_add_co_i32 s5, s16, s5
	s_mov_b32 s23, s3
	s_mul_i32 s7, s19, s4
	s_lshr_b32 s13, s5, s21
	s_mul_u64 s[4:5], s[2:3], 36
	v_lshrrev_b32_e32 v0, 2, v0
	s_mul_i32 s2, s13, s12
	s_mul_u64 s[12:13], s[22:23], 36
	v_dual_mov_b32 v5, 0 :: v_dual_and_b32 v8, 12, v3
	v_and_b32_e32 v7, 3, v2
	s_mul_i32 s20, s20, ttmp9
	s_delay_alu instid0(VALU_DEP_2) | instskip(SKIP_4) | instid1(SALU_CYCLE_1)
	v_lshlrev_b32_e32 v8, 1, v8
	s_add_co_i32 s2, s2, s20
	s_add_nc_u64 s[4:5], s[10:11], s[4:5]
	v_lshlrev_b32_e32 v7, 3, v7
	s_add_nc_u64 s[4:5], s[4:5], s[12:13]
	v_mad_co_u64_u32 v[0:1], null, v0, 36, s[4:5]
	s_add_co_i32 s4, s7, s2
.LBB64_7:                               ; =>This Inner Loop Header: Depth=1
	s_wait_alu 0xfffe
	v_add_nc_u32_e32 v11, s4, v6
	v_add_co_u32 v9, vcc_lo, v0, v7
	s_wait_alu 0xfffd
	v_add_co_ci_u32_e64 v10, null, 0, v1, vcc_lo
	s_delay_alu instid0(VALU_DEP_3)
	v_mad_co_i64_i32 v[11:12], null, v11, 34, s[8:9]
	global_load_b64 v[9:10], v[9:10], off offset:4
	v_add_co_u32 v13, vcc_lo, v11, v8
	s_wait_alu 0xfffd
	v_add_co_ci_u32_e64 v14, null, 0, v12, vcc_lo
	global_load_b32 v15, v[0:1], off
	s_clause 0x1
	global_load_b64 v[13:14], v[13:14], off offset:2
	global_load_u16 v11, v[11:12], off
	v_add_co_u32 v0, s2, 0x900, v0
	s_wait_alu 0xf1ff
	v_add_co_ci_u32_e64 v1, null, 0, v1, s2
	s_wait_loadcnt 0x2
	v_cvt_f32_f16_e32 v12, v15
	s_wait_loadcnt 0x1
	v_dot4_i32_iu8 v9, v13, v9, 0 neg_lo:[1,1,0]
	s_wait_loadcnt 0x0
	v_cvt_f32_f16_e32 v11, v11
	s_delay_alu instid0(VALU_DEP_2) | instskip(NEXT) | instid1(VALU_DEP_2)
	v_dot4_i32_iu8 v9, v14, v10, v9 neg_lo:[1,1,0]
	v_mul_f32_e32 v10, v11, v12
	s_delay_alu instid0(VALU_DEP_2) | instskip(NEXT) | instid1(VALU_DEP_1)
	v_cvt_f32_i32_e32 v9, v9
	v_dual_fmac_f32 v5, v10, v9 :: v_dual_add_nc_u32 v6, 64, v6
	s_delay_alu instid0(VALU_DEP_1)
	v_cmp_le_u32_e32 vcc_lo, s17, v6
	s_or_b32 s3, vcc_lo, s3
	s_wait_alu 0xfffe
	s_and_not1_b32 exec_lo, exec_lo, s3
	s_cbranch_execnz .LBB64_7
; %bb.8:
	s_or_b32 exec_lo, exec_lo, s3
.LBB64_9:
	s_delay_alu instid0(SALU_CYCLE_1) | instskip(NEXT) | instid1(SALU_CYCLE_1)
	s_or_b32 exec_lo, exec_lo, s18
	s_mov_b32 s3, exec_lo
	v_cmp_eq_u32_e32 vcc_lo, 0, v4
	v_cmpx_ne_u32_e32 0, v4
; %bb.10:
	v_lshlrev_b32_e32 v0, 7, v4
	s_delay_alu instid0(VALU_DEP_1)
	v_add3_u32 v0, v0, v3, 0xffffff80
	ds_store_b32 v0, v5
; %bb.11:
	s_wait_alu 0xfffe
	s_or_b32 exec_lo, exec_lo, s3
	s_wait_dscnt 0x0
	s_barrier_signal -1
	s_barrier_wait -1
	global_inv scope:SCOPE_SE
	s_and_saveexec_b32 s2, vcc_lo
	s_cbranch_execz .LBB64_14
; %bb.12:
	ds_load_2addr_b32 v[0:1], v3 offset1:32
	ds_load_2addr_b32 v[6:7], v3 offset0:64 offset1:96
	ds_load_2addr_b32 v[8:9], v3 offset0:128 offset1:160
	s_mov_b32 s3, 0
	s_wait_dscnt 0x2
	v_add_f32_e32 v0, v5, v0
	s_delay_alu instid0(VALU_DEP_1) | instskip(SKIP_4) | instid1(VALU_DEP_2)
	v_add_f32_e32 v0, v0, v1
	ds_load_b32 v1, v3 offset:768
	v_mbcnt_lo_u32_b32 v3, -1, 0
	s_wait_dscnt 0x2
	v_add_f32_e32 v0, v0, v6
	v_xor_b32_e32 v4, 16, v3
	s_delay_alu instid0(VALU_DEP_2) | instskip(NEXT) | instid1(VALU_DEP_2)
	v_add_f32_e32 v0, v0, v7
	v_cmp_gt_i32_e32 vcc_lo, 32, v4
	s_wait_dscnt 0x1
	s_delay_alu instid0(VALU_DEP_2) | instskip(SKIP_2) | instid1(VALU_DEP_2)
	v_add_f32_e32 v0, v0, v8
	s_wait_alu 0xfffd
	v_cndmask_b32_e32 v4, v3, v4, vcc_lo
	v_add_f32_e32 v0, v0, v9
	s_wait_dscnt 0x0
	s_delay_alu instid0(VALU_DEP_1)
	v_dual_add_f32 v0, v0, v1 :: v_dual_lshlrev_b32 v1, 2, v4
	v_xor_b32_e32 v4, 8, v3
	ds_bpermute_b32 v1, v1, v0
	v_cmp_gt_i32_e32 vcc_lo, 32, v4
	s_wait_alu 0xfffd
	v_cndmask_b32_e32 v4, v3, v4, vcc_lo
	s_delay_alu instid0(VALU_DEP_1) | instskip(SKIP_4) | instid1(VALU_DEP_1)
	v_lshlrev_b32_e32 v4, 2, v4
	s_wait_dscnt 0x0
	v_add_f32_e32 v0, v0, v1
	ds_bpermute_b32 v1, v4, v0
	v_xor_b32_e32 v4, 4, v3
	v_cmp_gt_i32_e32 vcc_lo, 32, v4
	s_wait_alu 0xfffd
	v_cndmask_b32_e32 v4, v3, v4, vcc_lo
	s_delay_alu instid0(VALU_DEP_1) | instskip(SKIP_4) | instid1(VALU_DEP_1)
	v_lshlrev_b32_e32 v4, 2, v4
	s_wait_dscnt 0x0
	v_add_f32_e32 v0, v0, v1
	ds_bpermute_b32 v1, v4, v0
	v_xor_b32_e32 v4, 2, v3
	;; [unrolled: 9-line block ×3, first 2 shown]
	v_cmp_gt_i32_e32 vcc_lo, 32, v4
	s_wait_alu 0xfffd
	v_cndmask_b32_e32 v3, v3, v4, vcc_lo
	v_cmp_eq_u32_e32 vcc_lo, 0, v2
	s_wait_dscnt 0x0
	s_delay_alu instid0(VALU_DEP_2)
	v_dual_add_f32 v0, v0, v1 :: v_dual_lshlrev_b32 v3, 2, v3
	ds_bpermute_b32 v1, v3, v0
	s_and_b32 exec_lo, exec_lo, vcc_lo
	s_cbranch_execz .LBB64_14
; %bb.13:
	s_load_b64 s[0:1], s[0:1], 0x38
	s_wait_kmcnt 0x0
	s_mul_i32 s2, s6, s15
	s_mul_i32 s4, s14, s16
	s_wait_alu 0xfffe
	s_add_co_i32 s2, s2, ttmp9
	v_mov_b32_e32 v2, 0
	s_wait_alu 0xfffe
	s_add_co_i32 s2, s2, s4
	s_wait_dscnt 0x0
	v_add_f32_e32 v0, v0, v1
	s_wait_alu 0xfffe
	s_lshl_b64 s[2:3], s[2:3], 2
	s_wait_alu 0xfffe
	s_add_nc_u64 s[0:1], s[0:1], s[2:3]
	global_store_b32 v2, v0, s[0:1]
.LBB64_14:
	s_endpgm
.LBB64_15:
                                        ; implicit-def: $sgpr19
	s_clause 0x1
	s_load_b128 s[4:7], s[0:1], 0x68
	s_load_b32 s20, s[0:1], 0x50
	s_branch .LBB64_2
	.section	.rodata,"a",@progbits
	.p2align	6, 0x0
	.amdhsa_kernel _ZL13mul_mat_vec_qIL9ggml_type8ELi1ELb0ELb0EEvPKvS2_PKi31ggml_cuda_mm_fusion_args_devicePfj15HIP_vector_typeIjLj3EEjjjS8_jjjS8_jjjj
		.amdhsa_group_segment_fixed_size 896
		.amdhsa_private_segment_fixed_size 0
		.amdhsa_kernarg_size 144
		.amdhsa_user_sgpr_count 2
		.amdhsa_user_sgpr_dispatch_ptr 0
		.amdhsa_user_sgpr_queue_ptr 0
		.amdhsa_user_sgpr_kernarg_segment_ptr 1
		.amdhsa_user_sgpr_dispatch_id 0
		.amdhsa_user_sgpr_private_segment_size 0
		.amdhsa_wavefront_size32 1
		.amdhsa_uses_dynamic_stack 0
		.amdhsa_enable_private_segment 0
		.amdhsa_system_sgpr_workgroup_id_x 1
		.amdhsa_system_sgpr_workgroup_id_y 1
		.amdhsa_system_sgpr_workgroup_id_z 1
		.amdhsa_system_sgpr_workgroup_info 0
		.amdhsa_system_vgpr_workitem_id 1
		.amdhsa_next_free_vgpr 16
		.amdhsa_next_free_sgpr 24
		.amdhsa_reserve_vcc 1
		.amdhsa_float_round_mode_32 0
		.amdhsa_float_round_mode_16_64 0
		.amdhsa_float_denorm_mode_32 3
		.amdhsa_float_denorm_mode_16_64 3
		.amdhsa_fp16_overflow 0
		.amdhsa_workgroup_processor_mode 1
		.amdhsa_memory_ordered 1
		.amdhsa_forward_progress 1
		.amdhsa_inst_pref_size 9
		.amdhsa_round_robin_scheduling 0
		.amdhsa_exception_fp_ieee_invalid_op 0
		.amdhsa_exception_fp_denorm_src 0
		.amdhsa_exception_fp_ieee_div_zero 0
		.amdhsa_exception_fp_ieee_overflow 0
		.amdhsa_exception_fp_ieee_underflow 0
		.amdhsa_exception_fp_ieee_inexact 0
		.amdhsa_exception_int_div_zero 0
	.end_amdhsa_kernel
	.section	.text._ZL13mul_mat_vec_qIL9ggml_type8ELi1ELb0ELb0EEvPKvS2_PKi31ggml_cuda_mm_fusion_args_devicePfj15HIP_vector_typeIjLj3EEjjjS8_jjjS8_jjjj,"axG",@progbits,_ZL13mul_mat_vec_qIL9ggml_type8ELi1ELb0ELb0EEvPKvS2_PKi31ggml_cuda_mm_fusion_args_devicePfj15HIP_vector_typeIjLj3EEjjjS8_jjjS8_jjjj,comdat
.Lfunc_end64:
	.size	_ZL13mul_mat_vec_qIL9ggml_type8ELi1ELb0ELb0EEvPKvS2_PKi31ggml_cuda_mm_fusion_args_devicePfj15HIP_vector_typeIjLj3EEjjjS8_jjjS8_jjjj, .Lfunc_end64-_ZL13mul_mat_vec_qIL9ggml_type8ELi1ELb0ELb0EEvPKvS2_PKi31ggml_cuda_mm_fusion_args_devicePfj15HIP_vector_typeIjLj3EEjjjS8_jjjS8_jjjj
                                        ; -- End function
	.set _ZL13mul_mat_vec_qIL9ggml_type8ELi1ELb0ELb0EEvPKvS2_PKi31ggml_cuda_mm_fusion_args_devicePfj15HIP_vector_typeIjLj3EEjjjS8_jjjS8_jjjj.num_vgpr, 16
	.set _ZL13mul_mat_vec_qIL9ggml_type8ELi1ELb0ELb0EEvPKvS2_PKi31ggml_cuda_mm_fusion_args_devicePfj15HIP_vector_typeIjLj3EEjjjS8_jjjS8_jjjj.num_agpr, 0
	.set _ZL13mul_mat_vec_qIL9ggml_type8ELi1ELb0ELb0EEvPKvS2_PKi31ggml_cuda_mm_fusion_args_devicePfj15HIP_vector_typeIjLj3EEjjjS8_jjjS8_jjjj.numbered_sgpr, 24
	.set _ZL13mul_mat_vec_qIL9ggml_type8ELi1ELb0ELb0EEvPKvS2_PKi31ggml_cuda_mm_fusion_args_devicePfj15HIP_vector_typeIjLj3EEjjjS8_jjjS8_jjjj.num_named_barrier, 0
	.set _ZL13mul_mat_vec_qIL9ggml_type8ELi1ELb0ELb0EEvPKvS2_PKi31ggml_cuda_mm_fusion_args_devicePfj15HIP_vector_typeIjLj3EEjjjS8_jjjS8_jjjj.private_seg_size, 0
	.set _ZL13mul_mat_vec_qIL9ggml_type8ELi1ELb0ELb0EEvPKvS2_PKi31ggml_cuda_mm_fusion_args_devicePfj15HIP_vector_typeIjLj3EEjjjS8_jjjS8_jjjj.uses_vcc, 1
	.set _ZL13mul_mat_vec_qIL9ggml_type8ELi1ELb0ELb0EEvPKvS2_PKi31ggml_cuda_mm_fusion_args_devicePfj15HIP_vector_typeIjLj3EEjjjS8_jjjS8_jjjj.uses_flat_scratch, 0
	.set _ZL13mul_mat_vec_qIL9ggml_type8ELi1ELb0ELb0EEvPKvS2_PKi31ggml_cuda_mm_fusion_args_devicePfj15HIP_vector_typeIjLj3EEjjjS8_jjjS8_jjjj.has_dyn_sized_stack, 0
	.set _ZL13mul_mat_vec_qIL9ggml_type8ELi1ELb0ELb0EEvPKvS2_PKi31ggml_cuda_mm_fusion_args_devicePfj15HIP_vector_typeIjLj3EEjjjS8_jjjS8_jjjj.has_recursion, 0
	.set _ZL13mul_mat_vec_qIL9ggml_type8ELi1ELb0ELb0EEvPKvS2_PKi31ggml_cuda_mm_fusion_args_devicePfj15HIP_vector_typeIjLj3EEjjjS8_jjjS8_jjjj.has_indirect_call, 0
	.section	.AMDGPU.csdata,"",@progbits
; Kernel info:
; codeLenInByte = 1068
; TotalNumSgprs: 26
; NumVgprs: 16
; ScratchSize: 0
; MemoryBound: 0
; FloatMode: 240
; IeeeMode: 1
; LDSByteSize: 896 bytes/workgroup (compile time only)
; SGPRBlocks: 0
; VGPRBlocks: 1
; NumSGPRsForWavesPerEU: 26
; NumVGPRsForWavesPerEU: 16
; Occupancy: 16
; WaveLimiterHint : 0
; COMPUTE_PGM_RSRC2:SCRATCH_EN: 0
; COMPUTE_PGM_RSRC2:USER_SGPR: 2
; COMPUTE_PGM_RSRC2:TRAP_HANDLER: 0
; COMPUTE_PGM_RSRC2:TGID_X_EN: 1
; COMPUTE_PGM_RSRC2:TGID_Y_EN: 1
; COMPUTE_PGM_RSRC2:TGID_Z_EN: 1
; COMPUTE_PGM_RSRC2:TIDIG_COMP_CNT: 1
	.section	.text._ZL13mul_mat_vec_qIL9ggml_type8ELi2ELb0ELb0EEvPKvS2_PKi31ggml_cuda_mm_fusion_args_devicePfj15HIP_vector_typeIjLj3EEjjjS8_jjjS8_jjjj,"axG",@progbits,_ZL13mul_mat_vec_qIL9ggml_type8ELi2ELb0ELb0EEvPKvS2_PKi31ggml_cuda_mm_fusion_args_devicePfj15HIP_vector_typeIjLj3EEjjjS8_jjjS8_jjjj,comdat
	.globl	_ZL13mul_mat_vec_qIL9ggml_type8ELi2ELb0ELb0EEvPKvS2_PKi31ggml_cuda_mm_fusion_args_devicePfj15HIP_vector_typeIjLj3EEjjjS8_jjjS8_jjjj ; -- Begin function _ZL13mul_mat_vec_qIL9ggml_type8ELi2ELb0ELb0EEvPKvS2_PKi31ggml_cuda_mm_fusion_args_devicePfj15HIP_vector_typeIjLj3EEjjjS8_jjjS8_jjjj
	.p2align	8
	.type	_ZL13mul_mat_vec_qIL9ggml_type8ELi2ELb0ELb0EEvPKvS2_PKi31ggml_cuda_mm_fusion_args_devicePfj15HIP_vector_typeIjLj3EEjjjS8_jjjS8_jjjj,@function
_ZL13mul_mat_vec_qIL9ggml_type8ELi2ELb0ELb0EEvPKvS2_PKi31ggml_cuda_mm_fusion_args_devicePfj15HIP_vector_typeIjLj3EEjjjS8_jjjS8_jjjj: ; @_ZL13mul_mat_vec_qIL9ggml_type8ELi2ELb0ELb0EEvPKvS2_PKi31ggml_cuda_mm_fusion_args_devicePfj15HIP_vector_typeIjLj3EEjjjS8_jjjS8_jjjj
; %bb.0:
	s_clause 0x5
	s_load_b96 s[16:18], s[0:1], 0x80
	s_load_b32 s2, s[0:1], 0x40
	s_load_b128 s[4:7], s[0:1], 0x50
	s_load_b32 s23, s[0:1], 0x60
	s_load_b128 s[8:11], s[0:1], 0x68
	s_load_b32 s24, s[0:1], 0x78
	v_bfe_u32 v4, v0, 10, 10
	v_dual_mov_b32 v3, 0 :: v_dual_and_b32 v2, 0x3ff, v0
	v_mov_b32_e32 v6, 0
	s_and_b32 s19, ttmp7, 0xffff
	s_lshr_b32 s20, ttmp7, 16
	s_delay_alu instid0(VALU_DEP_2) | instskip(SKIP_1) | instid1(VALU_DEP_1)
	v_lshl_or_b32 v0, v4, 5, v2
	s_mov_b32 s22, exec_lo
	v_lshrrev_b32_e32 v5, 2, v0
	s_wait_kmcnt 0x0
	s_lshr_b32 s21, s2, 5
	s_delay_alu instid0(VALU_DEP_1) | instid1(SALU_CYCLE_1)
	v_cmpx_gt_u32_e64 s21, v5
	s_cbranch_execz .LBB65_4
; %bb.1:
	s_load_b128 s[12:15], s[0:1], 0x0
	v_lshlrev_b32_e32 v0, 1, v2
	s_mul_i32 s2, s17, s20
	s_mov_b32 s3, 0
	s_mul_hi_u32 s7, s7, s19
	v_lshl_add_u32 v3, v4, 5, v2
	s_mul_hi_u32 s11, s11, s20
	s_mul_u64 s[26:27], s[2:3], 36
	s_mul_i32 s2, s9, s19
	s_add_co_i32 s7, s19, s7
	v_and_b32_e32 v6, 6, v0
	s_add_co_i32 s9, s20, s11
	s_mul_u64 s[28:29], s[2:3], 36
	s_lshr_b32 s2, s7, s23
	v_and_b32_e32 v1, 3, v2
	v_lshrrev_b32_e32 v0, 2, v3
	s_lshr_b32 s7, s9, s24
	s_mul_i32 s2, s2, s8
	v_lshlrev_b32_e32 v8, 1, v6
	v_lshlrev_b32_e32 v9, 2, v6
	s_wait_kmcnt 0x0
	s_add_nc_u64 s[8:9], s[14:15], s[26:27]
	v_mov_b32_e32 v6, 0
	s_add_nc_u64 s[8:9], s[8:9], s[28:29]
	v_lshlrev_b32_e32 v7, 3, v1
	v_mad_co_u64_u32 v[0:1], null, v0, 36, s[8:9]
	s_mul_i32 s4, s4, ttmp9
	v_dual_mov_b32 v3, 0 :: v_dual_lshlrev_b32 v8, 1, v8
	s_mul_i32 s7, s7, s16
	s_add_co_i32 s2, s2, s4
	s_delay_alu instid0(SALU_CYCLE_1)
	s_add_co_i32 s4, s7, s2
.LBB65_2:                               ; =>This Inner Loop Header: Depth=1
	s_delay_alu instid0(SALU_CYCLE_1)
	v_add_nc_u32_e32 v12, s4, v5
	v_add_nc_u32_e32 v14, s5, v5
	v_add_co_u32 v10, vcc_lo, v0, v7
	s_wait_alu 0xfffd
	v_add_co_ci_u32_e64 v11, null, 0, v1, vcc_lo
	v_mad_co_i64_i32 v[12:13], null, v12, 34, s[12:13]
	v_mad_co_u64_u32 v[14:15], null, v14, 36, s[8:9]
	s_delay_alu instid0(VALU_DEP_2) | instskip(SKIP_1) | instid1(VALU_DEP_3)
	v_add_co_u32 v16, vcc_lo, v12, v8
	s_wait_alu 0xfffd
	v_add_co_ci_u32_e64 v17, null, 0, v13, vcc_lo
	s_delay_alu instid0(VALU_DEP_3) | instskip(SKIP_1) | instid1(VALU_DEP_4)
	v_add_co_u32 v18, vcc_lo, v14, v9
	s_wait_alu 0xfffd
	v_add_co_ci_u32_e64 v19, null, 0, v15, vcc_lo
	s_clause 0x1
	global_load_b32 v20, v[0:1], off
	global_load_b64 v[10:11], v[10:11], off offset:4
	global_load_b64 v[16:17], v[16:17], off offset:2
	;; [unrolled: 1-line block ×3, first 2 shown]
	global_load_u16 v12, v[12:13], off
	global_load_b32 v13, v[14:15], off
	v_add_co_u32 v0, vcc_lo, 0x120, v0
	s_wait_alu 0xfffd
	v_add_co_ci_u32_e64 v1, null, 0, v1, vcc_lo
	s_wait_loadcnt 0x5
	v_cvt_f32_f16_e32 v14, v20
	s_wait_loadcnt 0x3
	v_dot4_i32_iu8 v10, v16, v10, 0 neg_lo:[1,1,0]
	s_wait_loadcnt 0x2
	v_dot4_i32_iu8 v15, v16, v18, 0 neg_lo:[1,1,0]
	s_wait_loadcnt 0x1
	v_cvt_f32_f16_e32 v12, v12
	s_wait_loadcnt 0x0
	v_cvt_f32_f16_e32 v13, v13
	v_add_nc_u32_e32 v5, 8, v5
	v_dot4_i32_iu8 v10, v17, v11, v10 neg_lo:[1,1,0]
	v_dot4_i32_iu8 v11, v17, v19, v15 neg_lo:[1,1,0]
	v_mul_f32_e32 v14, v12, v14
	v_mul_f32_e32 v12, v12, v13
	v_cmp_le_u32_e64 s2, s21, v5
	v_cvt_f32_i32_e32 v10, v10
	v_cvt_f32_i32_e32 v11, v11
	s_or_b32 s3, s2, s3
	s_delay_alu instid0(VALU_DEP_1)
	v_dual_fmac_f32 v6, v14, v10 :: v_dual_fmac_f32 v3, v12, v11
	s_and_not1_b32 exec_lo, exec_lo, s3
	s_cbranch_execnz .LBB65_2
; %bb.3:
	s_or_b32 exec_lo, exec_lo, s3
.LBB65_4:
	s_delay_alu instid0(SALU_CYCLE_1)
	s_or_b32 exec_lo, exec_lo, s22
	s_mov_b32 s3, 0
	; wave barrier
	global_inv scope:SCOPE_SE
	s_mov_b32 s2, exec_lo
	v_cmpx_eq_u32_e32 0, v4
	s_cbranch_execz .LBB65_9
; %bb.5:
	v_mbcnt_lo_u32_b32 v7, -1, 0
	s_load_b64 s[0:1], s[0:1], 0x38
	s_mul_i32 s2, s10, s19
	s_mul_i32 s4, s18, s20
	s_add_co_i32 s2, s2, ttmp9
	v_xor_b32_e32 v0, 16, v7
	v_xor_b32_e32 v1, 8, v7
	s_wait_alu 0xfffe
	s_add_co_i32 s2, s2, s4
	s_delay_alu instid0(SALU_CYCLE_1)
	s_lshl_b64 s[2:3], s[2:3], 2
	v_cmp_gt_i32_e32 vcc_lo, 32, v0
	s_wait_alu 0xfffd
	v_cndmask_b32_e32 v0, v7, v0, vcc_lo
	v_cmp_gt_i32_e32 vcc_lo, 32, v1
	s_wait_alu 0xfffd
	v_cndmask_b32_e32 v1, v7, v1, vcc_lo
	s_wait_kmcnt 0x0
	s_add_nc_u64 s[0:1], s[0:1], s[2:3]
	s_delay_alu instid0(VALU_DEP_1)
	v_lshlrev_b32_e32 v1, 2, v1
	v_lshlrev_b32_e32 v0, 2, v0
	ds_bpermute_b32 v4, v0, v6
	s_wait_dscnt 0x0
	v_add_f32_e32 v5, v6, v4
	v_xor_b32_e32 v4, 4, v7
	ds_bpermute_b32 v6, v1, v5
	v_cmp_gt_i32_e32 vcc_lo, 32, v4
	s_wait_alu 0xfffd
	v_cndmask_b32_e32 v4, v7, v4, vcc_lo
	s_wait_dscnt 0x0
	v_add_f32_e32 v6, v5, v6
	v_xor_b32_e32 v5, 2, v7
	s_delay_alu instid0(VALU_DEP_1) | instskip(SKIP_2) | instid1(VALU_DEP_1)
	v_cmp_gt_i32_e32 vcc_lo, 32, v5
	s_wait_alu 0xfffd
	v_cndmask_b32_e32 v5, v7, v5, vcc_lo
	v_lshlrev_b32_e32 v5, 2, v5
	v_lshlrev_b32_e32 v4, 2, v4
	ds_bpermute_b32 v8, v4, v6
	s_wait_dscnt 0x0
	v_add_f32_e32 v8, v6, v8
	v_xor_b32_e32 v6, 1, v7
	ds_bpermute_b32 v9, v5, v8
	v_cmp_gt_i32_e32 vcc_lo, 32, v6
	s_wait_alu 0xfffd
	v_cndmask_b32_e32 v6, v7, v6, vcc_lo
	v_cmp_eq_u32_e32 vcc_lo, 0, v2
	s_wait_dscnt 0x0
	s_delay_alu instid0(VALU_DEP_2)
	v_dual_add_f32 v7, v8, v9 :: v_dual_lshlrev_b32 v6, 2, v6
	ds_bpermute_b32 v8, v6, v7
	s_and_saveexec_b32 s2, vcc_lo
	s_cbranch_execz .LBB65_7
; %bb.6:
	s_wait_dscnt 0x0
	v_dual_add_f32 v2, v7, v8 :: v_dual_mov_b32 v7, 0
	global_store_b32 v7, v2, s[0:1]
.LBB65_7:
	s_or_b32 exec_lo, exec_lo, s2
	ds_bpermute_b32 v0, v0, v3
	s_wait_dscnt 0x0
	v_add_f32_e32 v0, v3, v0
	ds_bpermute_b32 v1, v1, v0
	s_wait_dscnt 0x0
	v_add_f32_e32 v0, v0, v1
	;; [unrolled: 3-line block ×4, first 2 shown]
	ds_bpermute_b32 v1, v6, v0
	s_and_b32 exec_lo, exec_lo, vcc_lo
	s_cbranch_execz .LBB65_9
; %bb.8:
	s_mov_b32 s7, 0
	s_wait_dscnt 0x0
	v_dual_add_f32 v0, v0, v1 :: v_dual_mov_b32 v1, 0
	s_lshl_b64 s[2:3], s[6:7], 2
	s_delay_alu instid0(SALU_CYCLE_1)
	s_add_nc_u64 s[0:1], s[0:1], s[2:3]
	global_store_b32 v1, v0, s[0:1]
.LBB65_9:
	s_endpgm
	.section	.rodata,"a",@progbits
	.p2align	6, 0x0
	.amdhsa_kernel _ZL13mul_mat_vec_qIL9ggml_type8ELi2ELb0ELb0EEvPKvS2_PKi31ggml_cuda_mm_fusion_args_devicePfj15HIP_vector_typeIjLj3EEjjjS8_jjjS8_jjjj
		.amdhsa_group_segment_fixed_size 0
		.amdhsa_private_segment_fixed_size 0
		.amdhsa_kernarg_size 144
		.amdhsa_user_sgpr_count 2
		.amdhsa_user_sgpr_dispatch_ptr 0
		.amdhsa_user_sgpr_queue_ptr 0
		.amdhsa_user_sgpr_kernarg_segment_ptr 1
		.amdhsa_user_sgpr_dispatch_id 0
		.amdhsa_user_sgpr_private_segment_size 0
		.amdhsa_wavefront_size32 1
		.amdhsa_uses_dynamic_stack 0
		.amdhsa_enable_private_segment 0
		.amdhsa_system_sgpr_workgroup_id_x 1
		.amdhsa_system_sgpr_workgroup_id_y 1
		.amdhsa_system_sgpr_workgroup_id_z 1
		.amdhsa_system_sgpr_workgroup_info 0
		.amdhsa_system_vgpr_workitem_id 1
		.amdhsa_next_free_vgpr 21
		.amdhsa_next_free_sgpr 30
		.amdhsa_reserve_vcc 1
		.amdhsa_float_round_mode_32 0
		.amdhsa_float_round_mode_16_64 0
		.amdhsa_float_denorm_mode_32 3
		.amdhsa_float_denorm_mode_16_64 3
		.amdhsa_fp16_overflow 0
		.amdhsa_workgroup_processor_mode 1
		.amdhsa_memory_ordered 1
		.amdhsa_forward_progress 1
		.amdhsa_inst_pref_size 9
		.amdhsa_round_robin_scheduling 0
		.amdhsa_exception_fp_ieee_invalid_op 0
		.amdhsa_exception_fp_denorm_src 0
		.amdhsa_exception_fp_ieee_div_zero 0
		.amdhsa_exception_fp_ieee_overflow 0
		.amdhsa_exception_fp_ieee_underflow 0
		.amdhsa_exception_fp_ieee_inexact 0
		.amdhsa_exception_int_div_zero 0
	.end_amdhsa_kernel
	.section	.text._ZL13mul_mat_vec_qIL9ggml_type8ELi2ELb0ELb0EEvPKvS2_PKi31ggml_cuda_mm_fusion_args_devicePfj15HIP_vector_typeIjLj3EEjjjS8_jjjS8_jjjj,"axG",@progbits,_ZL13mul_mat_vec_qIL9ggml_type8ELi2ELb0ELb0EEvPKvS2_PKi31ggml_cuda_mm_fusion_args_devicePfj15HIP_vector_typeIjLj3EEjjjS8_jjjS8_jjjj,comdat
.Lfunc_end65:
	.size	_ZL13mul_mat_vec_qIL9ggml_type8ELi2ELb0ELb0EEvPKvS2_PKi31ggml_cuda_mm_fusion_args_devicePfj15HIP_vector_typeIjLj3EEjjjS8_jjjS8_jjjj, .Lfunc_end65-_ZL13mul_mat_vec_qIL9ggml_type8ELi2ELb0ELb0EEvPKvS2_PKi31ggml_cuda_mm_fusion_args_devicePfj15HIP_vector_typeIjLj3EEjjjS8_jjjS8_jjjj
                                        ; -- End function
	.set _ZL13mul_mat_vec_qIL9ggml_type8ELi2ELb0ELb0EEvPKvS2_PKi31ggml_cuda_mm_fusion_args_devicePfj15HIP_vector_typeIjLj3EEjjjS8_jjjS8_jjjj.num_vgpr, 21
	.set _ZL13mul_mat_vec_qIL9ggml_type8ELi2ELb0ELb0EEvPKvS2_PKi31ggml_cuda_mm_fusion_args_devicePfj15HIP_vector_typeIjLj3EEjjjS8_jjjS8_jjjj.num_agpr, 0
	.set _ZL13mul_mat_vec_qIL9ggml_type8ELi2ELb0ELb0EEvPKvS2_PKi31ggml_cuda_mm_fusion_args_devicePfj15HIP_vector_typeIjLj3EEjjjS8_jjjS8_jjjj.numbered_sgpr, 30
	.set _ZL13mul_mat_vec_qIL9ggml_type8ELi2ELb0ELb0EEvPKvS2_PKi31ggml_cuda_mm_fusion_args_devicePfj15HIP_vector_typeIjLj3EEjjjS8_jjjS8_jjjj.num_named_barrier, 0
	.set _ZL13mul_mat_vec_qIL9ggml_type8ELi2ELb0ELb0EEvPKvS2_PKi31ggml_cuda_mm_fusion_args_devicePfj15HIP_vector_typeIjLj3EEjjjS8_jjjS8_jjjj.private_seg_size, 0
	.set _ZL13mul_mat_vec_qIL9ggml_type8ELi2ELb0ELb0EEvPKvS2_PKi31ggml_cuda_mm_fusion_args_devicePfj15HIP_vector_typeIjLj3EEjjjS8_jjjS8_jjjj.uses_vcc, 1
	.set _ZL13mul_mat_vec_qIL9ggml_type8ELi2ELb0ELb0EEvPKvS2_PKi31ggml_cuda_mm_fusion_args_devicePfj15HIP_vector_typeIjLj3EEjjjS8_jjjS8_jjjj.uses_flat_scratch, 0
	.set _ZL13mul_mat_vec_qIL9ggml_type8ELi2ELb0ELb0EEvPKvS2_PKi31ggml_cuda_mm_fusion_args_devicePfj15HIP_vector_typeIjLj3EEjjjS8_jjjS8_jjjj.has_dyn_sized_stack, 0
	.set _ZL13mul_mat_vec_qIL9ggml_type8ELi2ELb0ELb0EEvPKvS2_PKi31ggml_cuda_mm_fusion_args_devicePfj15HIP_vector_typeIjLj3EEjjjS8_jjjS8_jjjj.has_recursion, 0
	.set _ZL13mul_mat_vec_qIL9ggml_type8ELi2ELb0ELb0EEvPKvS2_PKi31ggml_cuda_mm_fusion_args_devicePfj15HIP_vector_typeIjLj3EEjjjS8_jjjS8_jjjj.has_indirect_call, 0
	.section	.AMDGPU.csdata,"",@progbits
; Kernel info:
; codeLenInByte = 1028
; TotalNumSgprs: 32
; NumVgprs: 21
; ScratchSize: 0
; MemoryBound: 0
; FloatMode: 240
; IeeeMode: 1
; LDSByteSize: 0 bytes/workgroup (compile time only)
; SGPRBlocks: 0
; VGPRBlocks: 2
; NumSGPRsForWavesPerEU: 32
; NumVGPRsForWavesPerEU: 21
; Occupancy: 16
; WaveLimiterHint : 0
; COMPUTE_PGM_RSRC2:SCRATCH_EN: 0
; COMPUTE_PGM_RSRC2:USER_SGPR: 2
; COMPUTE_PGM_RSRC2:TRAP_HANDLER: 0
; COMPUTE_PGM_RSRC2:TGID_X_EN: 1
; COMPUTE_PGM_RSRC2:TGID_Y_EN: 1
; COMPUTE_PGM_RSRC2:TGID_Z_EN: 1
; COMPUTE_PGM_RSRC2:TIDIG_COMP_CNT: 1
	.section	.text._ZL13mul_mat_vec_qIL9ggml_type8ELi3ELb0ELb0EEvPKvS2_PKi31ggml_cuda_mm_fusion_args_devicePfj15HIP_vector_typeIjLj3EEjjjS8_jjjS8_jjjj,"axG",@progbits,_ZL13mul_mat_vec_qIL9ggml_type8ELi3ELb0ELb0EEvPKvS2_PKi31ggml_cuda_mm_fusion_args_devicePfj15HIP_vector_typeIjLj3EEjjjS8_jjjS8_jjjj,comdat
	.globl	_ZL13mul_mat_vec_qIL9ggml_type8ELi3ELb0ELb0EEvPKvS2_PKi31ggml_cuda_mm_fusion_args_devicePfj15HIP_vector_typeIjLj3EEjjjS8_jjjS8_jjjj ; -- Begin function _ZL13mul_mat_vec_qIL9ggml_type8ELi3ELb0ELb0EEvPKvS2_PKi31ggml_cuda_mm_fusion_args_devicePfj15HIP_vector_typeIjLj3EEjjjS8_jjjS8_jjjj
	.p2align	8
	.type	_ZL13mul_mat_vec_qIL9ggml_type8ELi3ELb0ELb0EEvPKvS2_PKi31ggml_cuda_mm_fusion_args_devicePfj15HIP_vector_typeIjLj3EEjjjS8_jjjS8_jjjj,@function
_ZL13mul_mat_vec_qIL9ggml_type8ELi3ELb0ELb0EEvPKvS2_PKi31ggml_cuda_mm_fusion_args_devicePfj15HIP_vector_typeIjLj3EEjjjS8_jjjS8_jjjj: ; @_ZL13mul_mat_vec_qIL9ggml_type8ELi3ELb0ELb0EEvPKvS2_PKi31ggml_cuda_mm_fusion_args_devicePfj15HIP_vector_typeIjLj3EEjjjS8_jjjS8_jjjj
; %bb.0:
	s_clause 0x5
	s_load_b96 s[16:18], s[0:1], 0x80
	s_load_b32 s2, s[0:1], 0x40
	s_load_b128 s[4:7], s[0:1], 0x50
	s_load_b32 s23, s[0:1], 0x60
	s_load_b128 s[8:11], s[0:1], 0x68
	s_load_b32 s24, s[0:1], 0x78
	v_bfe_u32 v5, v0, 10, 10
	v_dual_mov_b32 v3, 0 :: v_dual_and_b32 v2, 0x3ff, v0
	v_dual_mov_b32 v4, 0 :: v_dual_mov_b32 v7, 0
	s_and_b32 s19, ttmp7, 0xffff
	s_delay_alu instid0(VALU_DEP_2) | instskip(SKIP_2) | instid1(VALU_DEP_1)
	v_lshl_or_b32 v0, v5, 5, v2
	s_lshr_b32 s20, ttmp7, 16
	s_mov_b32 s21, exec_lo
	v_lshrrev_b32_e32 v6, 2, v0
	s_wait_kmcnt 0x0
	s_lshr_b32 s22, s2, 5
	s_delay_alu instid0(VALU_DEP_1) | instid1(SALU_CYCLE_1)
	v_cmpx_gt_u32_e64 s22, v6
	s_cbranch_execz .LBB66_4
; %bb.1:
	s_load_b128 s[12:15], s[0:1], 0x0
	v_lshlrev_b32_e32 v0, 1, v2
	s_mul_i32 s2, s17, s20
	s_mov_b32 s3, 0
	s_mul_hi_u32 s7, s7, s19
	v_lshl_add_u32 v3, v5, 5, v2
	v_and_b32_e32 v4, 6, v0
	s_mul_hi_u32 s11, s11, s20
	s_mul_u64 s[26:27], s[2:3], 36
	s_mul_i32 s2, s9, s19
	s_add_co_i32 s7, s19, s7
	s_add_co_i32 s9, s20, s11
	s_mul_u64 s[28:29], s[2:3], 36
	s_lshr_b32 s2, s7, s23
	v_and_b32_e32 v1, 3, v2
	v_lshrrev_b32_e32 v0, 2, v3
	v_lshlrev_b32_e32 v7, 1, v4
	s_lshr_b32 s7, s9, s24
	s_mul_i32 s2, s2, s8
	s_mul_i32 s4, s4, ttmp9
	s_wait_kmcnt 0x0
	s_add_nc_u64 s[8:9], s[14:15], s[26:27]
	v_lshlrev_b32_e32 v9, 1, v7
	s_add_nc_u64 s[8:9], s[8:9], s[28:29]
	v_dual_mov_b32 v7, 0 :: v_dual_lshlrev_b32 v10, 2, v4
	v_mov_b32_e32 v4, 0
	v_lshlrev_b32_e32 v8, 3, v1
	v_mad_co_u64_u32 v[0:1], null, v0, 36, s[8:9]
	v_mov_b32_e32 v3, 0
	s_mul_i32 s7, s7, s16
	s_add_co_i32 s2, s2, s4
	s_lshl_b32 s4, s5, 1
	s_add_co_i32 s2, s7, s2
.LBB66_2:                               ; =>This Inner Loop Header: Depth=1
	s_delay_alu instid0(SALU_CYCLE_1) | instskip(SKIP_3) | instid1(VALU_DEP_4)
	v_add_nc_u32_e32 v13, s2, v6
	v_add_nc_u32_e32 v15, s5, v6
	;; [unrolled: 1-line block ×3, first 2 shown]
	v_add_co_u32 v11, vcc_lo, v0, v8
	v_mad_co_i64_i32 v[13:14], null, v13, 34, s[12:13]
	s_delay_alu instid0(VALU_DEP_4) | instskip(NEXT) | instid1(VALU_DEP_4)
	v_mad_co_u64_u32 v[15:16], null, v15, 36, s[8:9]
	v_mad_co_u64_u32 v[17:18], null, v17, 36, s[8:9]
	s_wait_alu 0xfffd
	v_add_co_ci_u32_e64 v12, null, 0, v1, vcc_lo
	s_delay_alu instid0(VALU_DEP_4)
	v_add_co_u32 v19, vcc_lo, v13, v9
	s_wait_alu 0xfffd
	v_add_co_ci_u32_e64 v20, null, 0, v14, vcc_lo
	v_add_co_u32 v21, vcc_lo, v15, v10
	s_wait_alu 0xfffd
	v_add_co_ci_u32_e64 v22, null, 0, v16, vcc_lo
	v_add_co_u32 v23, vcc_lo, v17, v10
	s_clause 0x1
	global_load_b32 v25, v[0:1], off
	global_load_b64 v[11:12], v[11:12], off offset:4
	s_wait_alu 0xfffd
	v_add_co_ci_u32_e64 v24, null, 0, v18, vcc_lo
	s_clause 0x1
	global_load_b64 v[19:20], v[19:20], off offset:2
	global_load_u16 v26, v[13:14], off
	s_clause 0x3
	global_load_b64 v[13:14], v[21:22], off offset:4
	global_load_b64 v[21:22], v[23:24], off offset:4
	global_load_b32 v17, v[17:18], off
	global_load_b32 v15, v[15:16], off
	v_add_co_u32 v0, vcc_lo, 0x120, v0
	s_wait_alu 0xfffd
	v_add_co_ci_u32_e64 v1, null, 0, v1, vcc_lo
	s_wait_loadcnt 0x7
	v_cvt_f32_f16_e32 v16, v25
	s_wait_loadcnt 0x5
	v_dot4_i32_iu8 v11, v19, v11, 0 neg_lo:[1,1,0]
	s_wait_loadcnt 0x3
	v_dot4_i32_iu8 v13, v19, v13, 0 neg_lo:[1,1,0]
	;; [unrolled: 2-line block ×3, first 2 shown]
	v_cvt_f32_f16_e32 v18, v26
	s_wait_loadcnt 0x0
	v_cvt_f32_f16_e32 v15, v15
	v_cvt_f32_f16_e32 v17, v17
	v_dot4_i32_iu8 v11, v20, v12, v11 neg_lo:[1,1,0]
	v_dot4_i32_iu8 v13, v20, v14, v13 neg_lo:[1,1,0]
	;; [unrolled: 1-line block ×3, first 2 shown]
	v_dual_mul_f32 v15, v18, v15 :: v_dual_add_nc_u32 v6, 8, v6
	v_mul_f32_e32 v12, v18, v16
	v_mul_f32_e32 v16, v18, v17
	v_cvt_f32_i32_e32 v11, v11
	v_cvt_f32_i32_e32 v13, v13
	;; [unrolled: 1-line block ×3, first 2 shown]
	v_cmp_le_u32_e32 vcc_lo, s22, v6
	s_delay_alu instid0(VALU_DEP_3) | instskip(NEXT) | instid1(VALU_DEP_3)
	v_dual_fmac_f32 v7, v12, v11 :: v_dual_fmac_f32 v4, v15, v13
	v_fmac_f32_e32 v3, v16, v14
	s_or_b32 s3, vcc_lo, s3
	s_wait_alu 0xfffe
	s_and_not1_b32 exec_lo, exec_lo, s3
	s_cbranch_execnz .LBB66_2
; %bb.3:
	s_or_b32 exec_lo, exec_lo, s3
.LBB66_4:
	s_delay_alu instid0(SALU_CYCLE_1)
	s_or_b32 exec_lo, exec_lo, s21
	s_mov_b32 s3, 0
	; wave barrier
	global_inv scope:SCOPE_SE
	s_mov_b32 s2, exec_lo
	v_cmpx_eq_u32_e32 0, v5
	s_cbranch_execz .LBB66_11
; %bb.5:
	v_mbcnt_lo_u32_b32 v8, -1, 0
	s_load_b64 s[0:1], s[0:1], 0x38
	s_mul_i32 s2, s10, s19
	s_mul_i32 s4, s18, s20
	s_wait_alu 0xfffe
	s_add_co_i32 s2, s2, ttmp9
	v_xor_b32_e32 v0, 16, v8
	v_xor_b32_e32 v1, 8, v8
	s_wait_alu 0xfffe
	s_add_co_i32 s2, s2, s4
	s_wait_alu 0xfffe
	s_lshl_b64 s[2:3], s[2:3], 2
	v_cmp_gt_i32_e32 vcc_lo, 32, v0
	s_wait_alu 0xfffd
	v_cndmask_b32_e32 v0, v8, v0, vcc_lo
	v_cmp_gt_i32_e32 vcc_lo, 32, v1
	s_wait_alu 0xfffd
	v_cndmask_b32_e32 v1, v8, v1, vcc_lo
	s_wait_kmcnt 0x0
	s_wait_alu 0xfffe
	s_add_nc_u64 s[0:1], s[0:1], s[2:3]
	s_delay_alu instid0(VALU_DEP_1)
	v_lshlrev_b32_e32 v1, 2, v1
	v_lshlrev_b32_e32 v0, 2, v0
	ds_bpermute_b32 v5, v0, v7
	s_wait_dscnt 0x0
	v_add_f32_e32 v6, v7, v5
	v_xor_b32_e32 v5, 4, v8
	ds_bpermute_b32 v7, v1, v6
	v_cmp_gt_i32_e32 vcc_lo, 32, v5
	s_wait_alu 0xfffd
	v_cndmask_b32_e32 v5, v8, v5, vcc_lo
	s_wait_dscnt 0x0
	v_add_f32_e32 v7, v6, v7
	v_xor_b32_e32 v6, 2, v8
	s_delay_alu instid0(VALU_DEP_1)
	v_cmp_gt_i32_e32 vcc_lo, 32, v6
	s_wait_alu 0xfffd
	v_dual_cndmask_b32 v6, v8, v6 :: v_dual_lshlrev_b32 v5, 2, v5
	ds_bpermute_b32 v9, v5, v7
	s_wait_dscnt 0x0
	v_dual_add_f32 v9, v7, v9 :: v_dual_lshlrev_b32 v6, 2, v6
	v_xor_b32_e32 v7, 1, v8
	ds_bpermute_b32 v10, v6, v9
	v_cmp_gt_i32_e32 vcc_lo, 32, v7
	s_wait_alu 0xfffd
	v_cndmask_b32_e32 v7, v8, v7, vcc_lo
	v_cmp_eq_u32_e32 vcc_lo, 0, v2
	s_wait_dscnt 0x0
	s_delay_alu instid0(VALU_DEP_2)
	v_dual_add_f32 v8, v9, v10 :: v_dual_lshlrev_b32 v7, 2, v7
	ds_bpermute_b32 v9, v7, v8
	s_and_saveexec_b32 s2, vcc_lo
	s_cbranch_execz .LBB66_7
; %bb.6:
	s_wait_dscnt 0x0
	v_add_f32_e32 v2, v8, v9
	v_mov_b32_e32 v8, 0
	global_store_b32 v8, v2, s[0:1]
.LBB66_7:
	s_wait_alu 0xfffe
	s_or_b32 exec_lo, exec_lo, s2
	ds_bpermute_b32 v2, v0, v4
	s_wait_dscnt 0x0
	v_add_f32_e32 v2, v4, v2
	ds_bpermute_b32 v4, v1, v2
	s_wait_dscnt 0x0
	v_add_f32_e32 v2, v2, v4
	;; [unrolled: 3-line block ×4, first 2 shown]
	ds_bpermute_b32 v4, v7, v2
	s_and_saveexec_b32 s2, vcc_lo
	s_cbranch_execz .LBB66_9
; %bb.8:
	s_mov_b32 s7, 0
	s_wait_dscnt 0x0
	v_add_f32_e32 v2, v2, v4
	v_mov_b32_e32 v4, 0
	s_lshl_b64 s[4:5], s[6:7], 2
	s_wait_alu 0xfffe
	s_add_nc_u64 s[4:5], s[0:1], s[4:5]
	global_store_b32 v4, v2, s[4:5]
.LBB66_9:
	s_wait_alu 0xfffe
	s_or_b32 exec_lo, exec_lo, s2
	ds_bpermute_b32 v0, v0, v3
	s_wait_dscnt 0x0
	v_add_f32_e32 v0, v3, v0
	ds_bpermute_b32 v1, v1, v0
	s_wait_dscnt 0x0
	v_add_f32_e32 v0, v0, v1
	;; [unrolled: 3-line block ×4, first 2 shown]
	ds_bpermute_b32 v1, v7, v0
	s_and_b32 exec_lo, exec_lo, vcc_lo
	s_cbranch_execz .LBB66_11
; %bb.10:
	s_lshl_b32 s2, s6, 1
	s_mov_b32 s3, 0
	s_wait_dscnt 0x0
	v_dual_add_f32 v0, v0, v1 :: v_dual_mov_b32 v1, 0
	s_wait_alu 0xfffe
	s_lshl_b64 s[2:3], s[2:3], 2
	s_wait_alu 0xfffe
	s_add_nc_u64 s[0:1], s[0:1], s[2:3]
	global_store_b32 v1, v0, s[0:1]
.LBB66_11:
	s_endpgm
	.section	.rodata,"a",@progbits
	.p2align	6, 0x0
	.amdhsa_kernel _ZL13mul_mat_vec_qIL9ggml_type8ELi3ELb0ELb0EEvPKvS2_PKi31ggml_cuda_mm_fusion_args_devicePfj15HIP_vector_typeIjLj3EEjjjS8_jjjS8_jjjj
		.amdhsa_group_segment_fixed_size 0
		.amdhsa_private_segment_fixed_size 0
		.amdhsa_kernarg_size 144
		.amdhsa_user_sgpr_count 2
		.amdhsa_user_sgpr_dispatch_ptr 0
		.amdhsa_user_sgpr_queue_ptr 0
		.amdhsa_user_sgpr_kernarg_segment_ptr 1
		.amdhsa_user_sgpr_dispatch_id 0
		.amdhsa_user_sgpr_private_segment_size 0
		.amdhsa_wavefront_size32 1
		.amdhsa_uses_dynamic_stack 0
		.amdhsa_enable_private_segment 0
		.amdhsa_system_sgpr_workgroup_id_x 1
		.amdhsa_system_sgpr_workgroup_id_y 1
		.amdhsa_system_sgpr_workgroup_id_z 1
		.amdhsa_system_sgpr_workgroup_info 0
		.amdhsa_system_vgpr_workitem_id 1
		.amdhsa_next_free_vgpr 27
		.amdhsa_next_free_sgpr 30
		.amdhsa_reserve_vcc 1
		.amdhsa_float_round_mode_32 0
		.amdhsa_float_round_mode_16_64 0
		.amdhsa_float_denorm_mode_32 3
		.amdhsa_float_denorm_mode_16_64 3
		.amdhsa_fp16_overflow 0
		.amdhsa_workgroup_processor_mode 1
		.amdhsa_memory_ordered 1
		.amdhsa_forward_progress 1
		.amdhsa_inst_pref_size 10
		.amdhsa_round_robin_scheduling 0
		.amdhsa_exception_fp_ieee_invalid_op 0
		.amdhsa_exception_fp_denorm_src 0
		.amdhsa_exception_fp_ieee_div_zero 0
		.amdhsa_exception_fp_ieee_overflow 0
		.amdhsa_exception_fp_ieee_underflow 0
		.amdhsa_exception_fp_ieee_inexact 0
		.amdhsa_exception_int_div_zero 0
	.end_amdhsa_kernel
	.section	.text._ZL13mul_mat_vec_qIL9ggml_type8ELi3ELb0ELb0EEvPKvS2_PKi31ggml_cuda_mm_fusion_args_devicePfj15HIP_vector_typeIjLj3EEjjjS8_jjjS8_jjjj,"axG",@progbits,_ZL13mul_mat_vec_qIL9ggml_type8ELi3ELb0ELb0EEvPKvS2_PKi31ggml_cuda_mm_fusion_args_devicePfj15HIP_vector_typeIjLj3EEjjjS8_jjjS8_jjjj,comdat
.Lfunc_end66:
	.size	_ZL13mul_mat_vec_qIL9ggml_type8ELi3ELb0ELb0EEvPKvS2_PKi31ggml_cuda_mm_fusion_args_devicePfj15HIP_vector_typeIjLj3EEjjjS8_jjjS8_jjjj, .Lfunc_end66-_ZL13mul_mat_vec_qIL9ggml_type8ELi3ELb0ELb0EEvPKvS2_PKi31ggml_cuda_mm_fusion_args_devicePfj15HIP_vector_typeIjLj3EEjjjS8_jjjS8_jjjj
                                        ; -- End function
	.set _ZL13mul_mat_vec_qIL9ggml_type8ELi3ELb0ELb0EEvPKvS2_PKi31ggml_cuda_mm_fusion_args_devicePfj15HIP_vector_typeIjLj3EEjjjS8_jjjS8_jjjj.num_vgpr, 27
	.set _ZL13mul_mat_vec_qIL9ggml_type8ELi3ELb0ELb0EEvPKvS2_PKi31ggml_cuda_mm_fusion_args_devicePfj15HIP_vector_typeIjLj3EEjjjS8_jjjS8_jjjj.num_agpr, 0
	.set _ZL13mul_mat_vec_qIL9ggml_type8ELi3ELb0ELb0EEvPKvS2_PKi31ggml_cuda_mm_fusion_args_devicePfj15HIP_vector_typeIjLj3EEjjjS8_jjjS8_jjjj.numbered_sgpr, 30
	.set _ZL13mul_mat_vec_qIL9ggml_type8ELi3ELb0ELb0EEvPKvS2_PKi31ggml_cuda_mm_fusion_args_devicePfj15HIP_vector_typeIjLj3EEjjjS8_jjjS8_jjjj.num_named_barrier, 0
	.set _ZL13mul_mat_vec_qIL9ggml_type8ELi3ELb0ELb0EEvPKvS2_PKi31ggml_cuda_mm_fusion_args_devicePfj15HIP_vector_typeIjLj3EEjjjS8_jjjS8_jjjj.private_seg_size, 0
	.set _ZL13mul_mat_vec_qIL9ggml_type8ELi3ELb0ELb0EEvPKvS2_PKi31ggml_cuda_mm_fusion_args_devicePfj15HIP_vector_typeIjLj3EEjjjS8_jjjS8_jjjj.uses_vcc, 1
	.set _ZL13mul_mat_vec_qIL9ggml_type8ELi3ELb0ELb0EEvPKvS2_PKi31ggml_cuda_mm_fusion_args_devicePfj15HIP_vector_typeIjLj3EEjjjS8_jjjS8_jjjj.uses_flat_scratch, 0
	.set _ZL13mul_mat_vec_qIL9ggml_type8ELi3ELb0ELb0EEvPKvS2_PKi31ggml_cuda_mm_fusion_args_devicePfj15HIP_vector_typeIjLj3EEjjjS8_jjjS8_jjjj.has_dyn_sized_stack, 0
	.set _ZL13mul_mat_vec_qIL9ggml_type8ELi3ELb0ELb0EEvPKvS2_PKi31ggml_cuda_mm_fusion_args_devicePfj15HIP_vector_typeIjLj3EEjjjS8_jjjS8_jjjj.has_recursion, 0
	.set _ZL13mul_mat_vec_qIL9ggml_type8ELi3ELb0ELb0EEvPKvS2_PKi31ggml_cuda_mm_fusion_args_devicePfj15HIP_vector_typeIjLj3EEjjjS8_jjjS8_jjjj.has_indirect_call, 0
	.section	.AMDGPU.csdata,"",@progbits
; Kernel info:
; codeLenInByte = 1280
; TotalNumSgprs: 32
; NumVgprs: 27
; ScratchSize: 0
; MemoryBound: 0
; FloatMode: 240
; IeeeMode: 1
; LDSByteSize: 0 bytes/workgroup (compile time only)
; SGPRBlocks: 0
; VGPRBlocks: 3
; NumSGPRsForWavesPerEU: 32
; NumVGPRsForWavesPerEU: 27
; Occupancy: 16
; WaveLimiterHint : 0
; COMPUTE_PGM_RSRC2:SCRATCH_EN: 0
; COMPUTE_PGM_RSRC2:USER_SGPR: 2
; COMPUTE_PGM_RSRC2:TRAP_HANDLER: 0
; COMPUTE_PGM_RSRC2:TGID_X_EN: 1
; COMPUTE_PGM_RSRC2:TGID_Y_EN: 1
; COMPUTE_PGM_RSRC2:TGID_Z_EN: 1
; COMPUTE_PGM_RSRC2:TIDIG_COMP_CNT: 1
	.section	.text._ZL13mul_mat_vec_qIL9ggml_type8ELi4ELb0ELb0EEvPKvS2_PKi31ggml_cuda_mm_fusion_args_devicePfj15HIP_vector_typeIjLj3EEjjjS8_jjjS8_jjjj,"axG",@progbits,_ZL13mul_mat_vec_qIL9ggml_type8ELi4ELb0ELb0EEvPKvS2_PKi31ggml_cuda_mm_fusion_args_devicePfj15HIP_vector_typeIjLj3EEjjjS8_jjjS8_jjjj,comdat
	.globl	_ZL13mul_mat_vec_qIL9ggml_type8ELi4ELb0ELb0EEvPKvS2_PKi31ggml_cuda_mm_fusion_args_devicePfj15HIP_vector_typeIjLj3EEjjjS8_jjjS8_jjjj ; -- Begin function _ZL13mul_mat_vec_qIL9ggml_type8ELi4ELb0ELb0EEvPKvS2_PKi31ggml_cuda_mm_fusion_args_devicePfj15HIP_vector_typeIjLj3EEjjjS8_jjjS8_jjjj
	.p2align	8
	.type	_ZL13mul_mat_vec_qIL9ggml_type8ELi4ELb0ELb0EEvPKvS2_PKi31ggml_cuda_mm_fusion_args_devicePfj15HIP_vector_typeIjLj3EEjjjS8_jjjS8_jjjj,@function
_ZL13mul_mat_vec_qIL9ggml_type8ELi4ELb0ELb0EEvPKvS2_PKi31ggml_cuda_mm_fusion_args_devicePfj15HIP_vector_typeIjLj3EEjjjS8_jjjS8_jjjj: ; @_ZL13mul_mat_vec_qIL9ggml_type8ELi4ELb0ELb0EEvPKvS2_PKi31ggml_cuda_mm_fusion_args_devicePfj15HIP_vector_typeIjLj3EEjjjS8_jjjS8_jjjj
; %bb.0:
	s_clause 0x5
	s_load_b96 s[16:18], s[0:1], 0x80
	s_load_b32 s2, s[0:1], 0x40
	s_load_b128 s[4:7], s[0:1], 0x50
	s_load_b32 s23, s[0:1], 0x60
	s_load_b128 s[8:11], s[0:1], 0x68
	s_load_b32 s24, s[0:1], 0x78
	v_bfe_u32 v6, v0, 10, 10
	v_dual_mov_b32 v2, 0 :: v_dual_and_b32 v3, 0x3ff, v0
	v_dual_mov_b32 v4, 0 :: v_dual_mov_b32 v5, 0
	v_mov_b32_e32 v8, 0
	s_delay_alu instid0(VALU_DEP_3) | instskip(SKIP_3) | instid1(VALU_DEP_1)
	v_lshl_or_b32 v0, v6, 5, v3
	s_and_b32 s19, ttmp7, 0xffff
	s_lshr_b32 s20, ttmp7, 16
	s_mov_b32 s21, exec_lo
	v_lshrrev_b32_e32 v7, 2, v0
	s_wait_kmcnt 0x0
	s_lshr_b32 s22, s2, 5
	s_delay_alu instid0(VALU_DEP_1) | instid1(SALU_CYCLE_1)
	v_cmpx_gt_u32_e64 s22, v7
	s_cbranch_execz .LBB67_4
; %bb.1:
	s_load_b128 s[12:15], s[0:1], 0x0
	v_lshlrev_b32_e32 v0, 1, v3
	s_mul_i32 s2, s17, s20
	s_mov_b32 s3, 0
	s_mul_hi_u32 s7, s7, s19
	v_lshl_add_u32 v2, v6, 5, v3
	s_mul_hi_u32 s11, s11, s20
	s_mul_u64 s[26:27], s[2:3], 36
	s_mul_i32 s2, s9, s19
	s_add_co_i32 s7, s19, s7
	v_and_b32_e32 v4, 6, v0
	s_add_co_i32 s9, s20, s11
	s_mul_u64 s[28:29], s[2:3], 36
	s_lshr_b32 s2, s7, s23
	v_and_b32_e32 v1, 3, v3
	v_lshrrev_b32_e32 v0, 2, v2
	s_lshr_b32 s7, s9, s24
	s_mul_i32 s2, s2, s8
	v_dual_mov_b32 v2, 0 :: v_dual_lshlrev_b32 v5, 1, v4
	s_wait_kmcnt 0x0
	s_add_nc_u64 s[8:9], s[14:15], s[26:27]
	v_dual_mov_b32 v8, 0 :: v_dual_lshlrev_b32 v9, 3, v1
	s_add_nc_u64 s[8:9], s[8:9], s[28:29]
	s_mul_i32 s4, s4, ttmp9
	v_mad_co_u64_u32 v[0:1], null, v0, 36, s[8:9]
	v_dual_mov_b32 v4, 0 :: v_dual_lshlrev_b32 v11, 2, v4
	v_dual_mov_b32 v5, 0 :: v_dual_lshlrev_b32 v10, 1, v5
	s_mul_i32 s7, s7, s16
	s_add_co_i32 s2, s2, s4
	s_lshl_b32 s4, s5, 1
	s_add_co_i32 s2, s7, s2
	s_mul_i32 s7, s5, 3
.LBB67_2:                               ; =>This Inner Loop Header: Depth=1
	v_add_nc_u32_e32 v14, s2, v7
	v_add_nc_u32_e32 v16, s5, v7
	;; [unrolled: 1-line block ×4, first 2 shown]
	v_add_co_u32 v12, vcc_lo, v0, v9
	v_mad_co_i64_i32 v[14:15], null, v14, 34, s[12:13]
	v_mad_co_u64_u32 v[16:17], null, v16, 36, s[8:9]
	v_mad_co_u64_u32 v[18:19], null, v18, 36, s[8:9]
	v_mad_co_u64_u32 v[20:21], null, v20, 36, s[8:9]
	s_wait_alu 0xfffd
	v_add_co_ci_u32_e64 v13, null, 0, v1, vcc_lo
	v_add_co_u32 v22, vcc_lo, v14, v10
	s_wait_alu 0xfffd
	v_add_co_ci_u32_e64 v23, null, 0, v15, vcc_lo
	v_add_co_u32 v24, vcc_lo, v16, v11
	;; [unrolled: 3-line block ×3, first 2 shown]
	s_clause 0x1
	global_load_b32 v30, v[0:1], off
	global_load_b64 v[12:13], v[12:13], off offset:4
	s_wait_alu 0xfffd
	v_add_co_ci_u32_e64 v27, null, 0, v19, vcc_lo
	v_add_co_u32 v28, vcc_lo, v20, v11
	s_wait_alu 0xfffd
	v_add_co_ci_u32_e64 v29, null, 0, v21, vcc_lo
	s_clause 0x1
	global_load_b64 v[22:23], v[22:23], off offset:2
	global_load_u16 v31, v[14:15], off
	s_clause 0x5
	global_load_b32 v32, v[18:19], off
	global_load_b32 v33, v[16:17], off
	global_load_b64 v[14:15], v[24:25], off offset:4
	global_load_b64 v[16:17], v[26:27], off offset:4
	global_load_b64 v[18:19], v[28:29], off offset:4
	global_load_b32 v20, v[20:21], off
	v_add_co_u32 v0, vcc_lo, 0x120, v0
	s_wait_alu 0xfffd
	v_add_co_ci_u32_e64 v1, null, 0, v1, vcc_lo
	s_wait_loadcnt 0x9
	v_cvt_f32_f16_e32 v21, v30
	s_wait_loadcnt 0x7
	v_dot4_i32_iu8 v12, v22, v12, 0 neg_lo:[1,1,0]
	s_wait_loadcnt 0x6
	v_cvt_f32_f16_e32 v24, v31
	s_wait_loadcnt 0x5
	v_cvt_f32_f16_e32 v26, v32
	s_wait_loadcnt 0x4
	v_cvt_f32_f16_e32 v25, v33
	s_wait_loadcnt 0x3
	v_dot4_i32_iu8 v14, v22, v14, 0 neg_lo:[1,1,0]
	s_wait_loadcnt 0x2
	v_dot4_i32_iu8 v16, v22, v16, 0 neg_lo:[1,1,0]
	;; [unrolled: 2-line block ×3, first 2 shown]
	v_dot4_i32_iu8 v12, v23, v13, v12 neg_lo:[1,1,0]
	s_wait_loadcnt 0x0
	v_cvt_f32_f16_e32 v20, v20
	v_dot4_i32_iu8 v14, v23, v15, v14 neg_lo:[1,1,0]
	v_dot4_i32_iu8 v16, v23, v17, v16 neg_lo:[1,1,0]
	;; [unrolled: 1-line block ×3, first 2 shown]
	v_mul_f32_e32 v13, v24, v21
	v_cvt_f32_i32_e32 v12, v12
	v_add_nc_u32_e32 v7, 8, v7
	v_mul_f32_e32 v15, v24, v25
	v_mul_f32_e32 v17, v24, v26
	;; [unrolled: 1-line block ×3, first 2 shown]
	v_cvt_f32_i32_e32 v14, v14
	v_cvt_f32_i32_e32 v16, v16
	;; [unrolled: 1-line block ×3, first 2 shown]
	v_fmac_f32_e32 v8, v13, v12
	v_cmp_le_u32_e32 vcc_lo, s22, v7
	s_delay_alu instid0(VALU_DEP_4) | instskip(NEXT) | instid1(VALU_DEP_4)
	v_dual_fmac_f32 v5, v15, v14 :: v_dual_fmac_f32 v4, v17, v16
	v_fmac_f32_e32 v2, v19, v18
	s_or_b32 s3, vcc_lo, s3
	s_wait_alu 0xfffe
	s_and_not1_b32 exec_lo, exec_lo, s3
	s_cbranch_execnz .LBB67_2
; %bb.3:
	s_or_b32 exec_lo, exec_lo, s3
.LBB67_4:
	s_delay_alu instid0(SALU_CYCLE_1)
	s_or_b32 exec_lo, exec_lo, s21
	s_mov_b32 s3, 0
	; wave barrier
	global_inv scope:SCOPE_SE
	s_mov_b32 s2, exec_lo
	v_cmpx_eq_u32_e32 0, v6
	s_cbranch_execz .LBB67_13
; %bb.5:
	v_mbcnt_lo_u32_b32 v9, -1, 0
	s_load_b64 s[0:1], s[0:1], 0x38
	s_mul_i32 s2, s10, s19
	s_mul_i32 s4, s18, s20
	s_wait_alu 0xfffe
	s_add_co_i32 s2, s2, ttmp9
	v_xor_b32_e32 v0, 16, v9
	v_xor_b32_e32 v1, 8, v9
	s_wait_alu 0xfffe
	s_add_co_i32 s2, s2, s4
	s_wait_alu 0xfffe
	s_lshl_b64 s[2:3], s[2:3], 2
	v_cmp_gt_i32_e32 vcc_lo, 32, v0
	s_wait_alu 0xfffd
	v_cndmask_b32_e32 v0, v9, v0, vcc_lo
	v_cmp_gt_i32_e32 vcc_lo, 32, v1
	s_wait_alu 0xfffd
	v_cndmask_b32_e32 v1, v9, v1, vcc_lo
	s_wait_kmcnt 0x0
	s_wait_alu 0xfffe
	s_add_nc_u64 s[0:1], s[0:1], s[2:3]
	s_delay_alu instid0(VALU_DEP_1)
	v_lshlrev_b32_e32 v1, 2, v1
	v_lshlrev_b32_e32 v0, 2, v0
	ds_bpermute_b32 v6, v0, v8
	s_wait_dscnt 0x0
	v_add_f32_e32 v7, v8, v6
	v_xor_b32_e32 v6, 4, v9
	ds_bpermute_b32 v8, v1, v7
	v_cmp_gt_i32_e32 vcc_lo, 32, v6
	s_wait_alu 0xfffd
	v_cndmask_b32_e32 v6, v9, v6, vcc_lo
	s_wait_dscnt 0x0
	v_add_f32_e32 v8, v7, v8
	v_xor_b32_e32 v7, 2, v9
	s_delay_alu instid0(VALU_DEP_1) | instskip(SKIP_2) | instid1(VALU_DEP_1)
	v_cmp_gt_i32_e32 vcc_lo, 32, v7
	s_wait_alu 0xfffd
	v_cndmask_b32_e32 v7, v9, v7, vcc_lo
	v_lshlrev_b32_e32 v7, 2, v7
	v_lshlrev_b32_e32 v6, 2, v6
	ds_bpermute_b32 v10, v6, v8
	s_wait_dscnt 0x0
	v_add_f32_e32 v10, v8, v10
	v_xor_b32_e32 v8, 1, v9
	ds_bpermute_b32 v11, v7, v10
	v_cmp_gt_i32_e32 vcc_lo, 32, v8
	s_wait_alu 0xfffd
	v_cndmask_b32_e32 v8, v9, v8, vcc_lo
	v_cmp_eq_u32_e32 vcc_lo, 0, v3
	s_wait_dscnt 0x0
	s_delay_alu instid0(VALU_DEP_2)
	v_dual_add_f32 v9, v10, v11 :: v_dual_lshlrev_b32 v8, 2, v8
	ds_bpermute_b32 v10, v8, v9
	s_and_saveexec_b32 s2, vcc_lo
	s_cbranch_execz .LBB67_7
; %bb.6:
	s_wait_dscnt 0x0
	v_add_f32_e32 v3, v9, v10
	v_mov_b32_e32 v9, 0
	global_store_b32 v9, v3, s[0:1]
.LBB67_7:
	s_wait_alu 0xfffe
	s_or_b32 exec_lo, exec_lo, s2
	ds_bpermute_b32 v3, v0, v5
	s_wait_dscnt 0x0
	v_add_f32_e32 v3, v5, v3
	ds_bpermute_b32 v5, v1, v3
	s_wait_dscnt 0x0
	v_add_f32_e32 v3, v3, v5
	;; [unrolled: 3-line block ×4, first 2 shown]
	ds_bpermute_b32 v5, v8, v3
	s_and_saveexec_b32 s2, vcc_lo
	s_cbranch_execz .LBB67_9
; %bb.8:
	s_mov_b32 s7, 0
	s_wait_dscnt 0x0
	v_add_f32_e32 v3, v3, v5
	v_mov_b32_e32 v5, 0
	s_wait_alu 0xfffe
	s_lshl_b64 s[4:5], s[6:7], 2
	s_wait_alu 0xfffe
	s_add_nc_u64 s[4:5], s[0:1], s[4:5]
	global_store_b32 v5, v3, s[4:5]
.LBB67_9:
	s_wait_alu 0xfffe
	s_or_b32 exec_lo, exec_lo, s2
	ds_bpermute_b32 v3, v0, v4
	s_wait_dscnt 0x0
	v_add_f32_e32 v3, v4, v3
	ds_bpermute_b32 v4, v1, v3
	s_wait_dscnt 0x0
	v_add_f32_e32 v3, v3, v4
	;; [unrolled: 3-line block ×4, first 2 shown]
	ds_bpermute_b32 v4, v8, v3
	s_and_saveexec_b32 s2, vcc_lo
	s_cbranch_execz .LBB67_11
; %bb.10:
	s_lshl_b32 s4, s6, 1
	s_mov_b32 s5, 0
	s_wait_dscnt 0x0
	v_dual_add_f32 v3, v3, v4 :: v_dual_mov_b32 v4, 0
	s_wait_alu 0xfffe
	s_lshl_b64 s[4:5], s[4:5], 2
	s_wait_alu 0xfffe
	s_add_nc_u64 s[4:5], s[0:1], s[4:5]
	global_store_b32 v4, v3, s[4:5]
.LBB67_11:
	s_wait_alu 0xfffe
	s_or_b32 exec_lo, exec_lo, s2
	ds_bpermute_b32 v0, v0, v2
	s_wait_dscnt 0x0
	v_add_f32_e32 v0, v2, v0
	ds_bpermute_b32 v1, v1, v0
	s_wait_dscnt 0x0
	v_add_f32_e32 v0, v0, v1
	;; [unrolled: 3-line block ×4, first 2 shown]
	ds_bpermute_b32 v1, v8, v0
	s_and_b32 exec_lo, exec_lo, vcc_lo
	s_cbranch_execz .LBB67_13
; %bb.12:
	s_mul_i32 s2, s6, 3
	s_mov_b32 s3, 0
	s_wait_dscnt 0x0
	v_dual_add_f32 v0, v0, v1 :: v_dual_mov_b32 v1, 0
	s_wait_alu 0xfffe
	s_lshl_b64 s[2:3], s[2:3], 2
	s_wait_alu 0xfffe
	s_add_nc_u64 s[0:1], s[0:1], s[2:3]
	global_store_b32 v1, v0, s[0:1]
.LBB67_13:
	s_endpgm
	.section	.rodata,"a",@progbits
	.p2align	6, 0x0
	.amdhsa_kernel _ZL13mul_mat_vec_qIL9ggml_type8ELi4ELb0ELb0EEvPKvS2_PKi31ggml_cuda_mm_fusion_args_devicePfj15HIP_vector_typeIjLj3EEjjjS8_jjjS8_jjjj
		.amdhsa_group_segment_fixed_size 0
		.amdhsa_private_segment_fixed_size 0
		.amdhsa_kernarg_size 144
		.amdhsa_user_sgpr_count 2
		.amdhsa_user_sgpr_dispatch_ptr 0
		.amdhsa_user_sgpr_queue_ptr 0
		.amdhsa_user_sgpr_kernarg_segment_ptr 1
		.amdhsa_user_sgpr_dispatch_id 0
		.amdhsa_user_sgpr_private_segment_size 0
		.amdhsa_wavefront_size32 1
		.amdhsa_uses_dynamic_stack 0
		.amdhsa_enable_private_segment 0
		.amdhsa_system_sgpr_workgroup_id_x 1
		.amdhsa_system_sgpr_workgroup_id_y 1
		.amdhsa_system_sgpr_workgroup_id_z 1
		.amdhsa_system_sgpr_workgroup_info 0
		.amdhsa_system_vgpr_workitem_id 1
		.amdhsa_next_free_vgpr 34
		.amdhsa_next_free_sgpr 30
		.amdhsa_reserve_vcc 1
		.amdhsa_float_round_mode_32 0
		.amdhsa_float_round_mode_16_64 0
		.amdhsa_float_denorm_mode_32 3
		.amdhsa_float_denorm_mode_16_64 3
		.amdhsa_fp16_overflow 0
		.amdhsa_workgroup_processor_mode 1
		.amdhsa_memory_ordered 1
		.amdhsa_forward_progress 1
		.amdhsa_inst_pref_size 12
		.amdhsa_round_robin_scheduling 0
		.amdhsa_exception_fp_ieee_invalid_op 0
		.amdhsa_exception_fp_denorm_src 0
		.amdhsa_exception_fp_ieee_div_zero 0
		.amdhsa_exception_fp_ieee_overflow 0
		.amdhsa_exception_fp_ieee_underflow 0
		.amdhsa_exception_fp_ieee_inexact 0
		.amdhsa_exception_int_div_zero 0
	.end_amdhsa_kernel
	.section	.text._ZL13mul_mat_vec_qIL9ggml_type8ELi4ELb0ELb0EEvPKvS2_PKi31ggml_cuda_mm_fusion_args_devicePfj15HIP_vector_typeIjLj3EEjjjS8_jjjS8_jjjj,"axG",@progbits,_ZL13mul_mat_vec_qIL9ggml_type8ELi4ELb0ELb0EEvPKvS2_PKi31ggml_cuda_mm_fusion_args_devicePfj15HIP_vector_typeIjLj3EEjjjS8_jjjS8_jjjj,comdat
.Lfunc_end67:
	.size	_ZL13mul_mat_vec_qIL9ggml_type8ELi4ELb0ELb0EEvPKvS2_PKi31ggml_cuda_mm_fusion_args_devicePfj15HIP_vector_typeIjLj3EEjjjS8_jjjS8_jjjj, .Lfunc_end67-_ZL13mul_mat_vec_qIL9ggml_type8ELi4ELb0ELb0EEvPKvS2_PKi31ggml_cuda_mm_fusion_args_devicePfj15HIP_vector_typeIjLj3EEjjjS8_jjjS8_jjjj
                                        ; -- End function
	.set _ZL13mul_mat_vec_qIL9ggml_type8ELi4ELb0ELb0EEvPKvS2_PKi31ggml_cuda_mm_fusion_args_devicePfj15HIP_vector_typeIjLj3EEjjjS8_jjjS8_jjjj.num_vgpr, 34
	.set _ZL13mul_mat_vec_qIL9ggml_type8ELi4ELb0ELb0EEvPKvS2_PKi31ggml_cuda_mm_fusion_args_devicePfj15HIP_vector_typeIjLj3EEjjjS8_jjjS8_jjjj.num_agpr, 0
	.set _ZL13mul_mat_vec_qIL9ggml_type8ELi4ELb0ELb0EEvPKvS2_PKi31ggml_cuda_mm_fusion_args_devicePfj15HIP_vector_typeIjLj3EEjjjS8_jjjS8_jjjj.numbered_sgpr, 30
	.set _ZL13mul_mat_vec_qIL9ggml_type8ELi4ELb0ELb0EEvPKvS2_PKi31ggml_cuda_mm_fusion_args_devicePfj15HIP_vector_typeIjLj3EEjjjS8_jjjS8_jjjj.num_named_barrier, 0
	.set _ZL13mul_mat_vec_qIL9ggml_type8ELi4ELb0ELb0EEvPKvS2_PKi31ggml_cuda_mm_fusion_args_devicePfj15HIP_vector_typeIjLj3EEjjjS8_jjjS8_jjjj.private_seg_size, 0
	.set _ZL13mul_mat_vec_qIL9ggml_type8ELi4ELb0ELb0EEvPKvS2_PKi31ggml_cuda_mm_fusion_args_devicePfj15HIP_vector_typeIjLj3EEjjjS8_jjjS8_jjjj.uses_vcc, 1
	.set _ZL13mul_mat_vec_qIL9ggml_type8ELi4ELb0ELb0EEvPKvS2_PKi31ggml_cuda_mm_fusion_args_devicePfj15HIP_vector_typeIjLj3EEjjjS8_jjjS8_jjjj.uses_flat_scratch, 0
	.set _ZL13mul_mat_vec_qIL9ggml_type8ELi4ELb0ELb0EEvPKvS2_PKi31ggml_cuda_mm_fusion_args_devicePfj15HIP_vector_typeIjLj3EEjjjS8_jjjS8_jjjj.has_dyn_sized_stack, 0
	.set _ZL13mul_mat_vec_qIL9ggml_type8ELi4ELb0ELb0EEvPKvS2_PKi31ggml_cuda_mm_fusion_args_devicePfj15HIP_vector_typeIjLj3EEjjjS8_jjjS8_jjjj.has_recursion, 0
	.set _ZL13mul_mat_vec_qIL9ggml_type8ELi4ELb0ELb0EEvPKvS2_PKi31ggml_cuda_mm_fusion_args_devicePfj15HIP_vector_typeIjLj3EEjjjS8_jjjS8_jjjj.has_indirect_call, 0
	.section	.AMDGPU.csdata,"",@progbits
; Kernel info:
; codeLenInByte = 1524
; TotalNumSgprs: 32
; NumVgprs: 34
; ScratchSize: 0
; MemoryBound: 0
; FloatMode: 240
; IeeeMode: 1
; LDSByteSize: 0 bytes/workgroup (compile time only)
; SGPRBlocks: 0
; VGPRBlocks: 4
; NumSGPRsForWavesPerEU: 32
; NumVGPRsForWavesPerEU: 34
; Occupancy: 16
; WaveLimiterHint : 0
; COMPUTE_PGM_RSRC2:SCRATCH_EN: 0
; COMPUTE_PGM_RSRC2:USER_SGPR: 2
; COMPUTE_PGM_RSRC2:TRAP_HANDLER: 0
; COMPUTE_PGM_RSRC2:TGID_X_EN: 1
; COMPUTE_PGM_RSRC2:TGID_Y_EN: 1
; COMPUTE_PGM_RSRC2:TGID_Z_EN: 1
; COMPUTE_PGM_RSRC2:TIDIG_COMP_CNT: 1
	.section	.text._ZL13mul_mat_vec_qIL9ggml_type8ELi5ELb0ELb0EEvPKvS2_PKi31ggml_cuda_mm_fusion_args_devicePfj15HIP_vector_typeIjLj3EEjjjS8_jjjS8_jjjj,"axG",@progbits,_ZL13mul_mat_vec_qIL9ggml_type8ELi5ELb0ELb0EEvPKvS2_PKi31ggml_cuda_mm_fusion_args_devicePfj15HIP_vector_typeIjLj3EEjjjS8_jjjS8_jjjj,comdat
	.globl	_ZL13mul_mat_vec_qIL9ggml_type8ELi5ELb0ELb0EEvPKvS2_PKi31ggml_cuda_mm_fusion_args_devicePfj15HIP_vector_typeIjLj3EEjjjS8_jjjS8_jjjj ; -- Begin function _ZL13mul_mat_vec_qIL9ggml_type8ELi5ELb0ELb0EEvPKvS2_PKi31ggml_cuda_mm_fusion_args_devicePfj15HIP_vector_typeIjLj3EEjjjS8_jjjS8_jjjj
	.p2align	8
	.type	_ZL13mul_mat_vec_qIL9ggml_type8ELi5ELb0ELb0EEvPKvS2_PKi31ggml_cuda_mm_fusion_args_devicePfj15HIP_vector_typeIjLj3EEjjjS8_jjjS8_jjjj,@function
_ZL13mul_mat_vec_qIL9ggml_type8ELi5ELb0ELb0EEvPKvS2_PKi31ggml_cuda_mm_fusion_args_devicePfj15HIP_vector_typeIjLj3EEjjjS8_jjjS8_jjjj: ; @_ZL13mul_mat_vec_qIL9ggml_type8ELi5ELb0ELb0EEvPKvS2_PKi31ggml_cuda_mm_fusion_args_devicePfj15HIP_vector_typeIjLj3EEjjjS8_jjjS8_jjjj
; %bb.0:
	s_clause 0x5
	s_load_b96 s[16:18], s[0:1], 0x80
	s_load_b32 s2, s[0:1], 0x40
	s_load_b128 s[4:7], s[0:1], 0x50
	s_load_b32 s23, s[0:1], 0x60
	s_load_b128 s[8:11], s[0:1], 0x68
	s_load_b32 s24, s[0:1], 0x78
	v_bfe_u32 v7, v0, 10, 10
	v_dual_mov_b32 v2, 0 :: v_dual_and_b32 v3, 0x3ff, v0
	v_dual_mov_b32 v4, 0 :: v_dual_mov_b32 v5, 0
	v_dual_mov_b32 v6, 0 :: v_dual_mov_b32 v9, 0
	s_delay_alu instid0(VALU_DEP_3) | instskip(SKIP_3) | instid1(VALU_DEP_1)
	v_lshl_or_b32 v0, v7, 5, v3
	s_and_b32 s19, ttmp7, 0xffff
	s_lshr_b32 s20, ttmp7, 16
	s_mov_b32 s21, exec_lo
	v_lshrrev_b32_e32 v8, 2, v0
	s_wait_kmcnt 0x0
	s_lshr_b32 s22, s2, 5
	s_delay_alu instid0(VALU_DEP_1) | instid1(SALU_CYCLE_1)
	v_cmpx_gt_u32_e64 s22, v8
	s_cbranch_execz .LBB68_4
; %bb.1:
	s_load_b128 s[12:15], s[0:1], 0x0
	v_lshlrev_b32_e32 v0, 1, v3
	s_mul_i32 s2, s17, s20
	s_mov_b32 s3, 0
	s_mul_hi_u32 s7, s7, s19
	v_lshl_add_u32 v2, v7, 5, v3
	s_mul_hi_u32 s11, s11, s20
	s_mul_u64 s[26:27], s[2:3], 36
	s_mul_i32 s2, s9, s19
	s_add_co_i32 s7, s19, s7
	v_dual_mov_b32 v9, 0 :: v_dual_and_b32 v4, 6, v0
	s_add_co_i32 s9, s20, s11
	s_mul_u64 s[28:29], s[2:3], 36
	s_lshr_b32 s2, s7, s23
	v_and_b32_e32 v1, 3, v3
	v_lshrrev_b32_e32 v0, 2, v2
	s_lshr_b32 s7, s9, s24
	s_mul_i32 s2, s2, s8
	v_lshlrev_b32_e32 v5, 1, v4
	s_wait_kmcnt 0x0
	s_add_nc_u64 s[8:9], s[14:15], s[26:27]
	v_mov_b32_e32 v2, 0
	s_add_nc_u64 s[8:9], s[8:9], s[28:29]
	v_lshlrev_b32_e32 v10, 3, v1
	v_mad_co_u64_u32 v[0:1], null, v0, 36, s[8:9]
	s_mul_i32 s4, s4, ttmp9
	v_lshlrev_b32_e32 v12, 2, v4
	v_dual_mov_b32 v4, 0 :: v_dual_lshlrev_b32 v11, 1, v5
	v_dual_mov_b32 v6, 0 :: v_dual_mov_b32 v5, 0
	s_mul_i32 s7, s7, s16
	s_add_co_i32 s2, s2, s4
	s_lshl_b32 s4, s5, 1
	s_add_co_i32 s2, s7, s2
	s_mul_i32 s7, s5, 3
	s_lshl_b32 s11, s5, 2
.LBB68_2:                               ; =>This Inner Loop Header: Depth=1
	v_add_nc_u32_e32 v15, s2, v8
	v_add_nc_u32_e32 v17, s5, v8
	;; [unrolled: 1-line block ×5, first 2 shown]
	v_mad_co_i64_i32 v[15:16], null, v15, 34, s[12:13]
	v_mad_co_u64_u32 v[17:18], null, v17, 36, s[8:9]
	v_mad_co_u64_u32 v[19:20], null, v19, 36, s[8:9]
	v_add_co_u32 v13, vcc_lo, v0, v10
	v_mad_co_u64_u32 v[21:22], null, v21, 36, s[8:9]
	s_wait_alu 0xfffd
	v_add_co_ci_u32_e64 v14, null, 0, v1, vcc_lo
	v_mad_co_u64_u32 v[23:24], null, v23, 36, s[8:9]
	v_add_co_u32 v25, vcc_lo, v15, v11
	s_wait_alu 0xfffd
	v_add_co_ci_u32_e64 v26, null, 0, v16, vcc_lo
	v_add_co_u32 v27, vcc_lo, v17, v12
	s_wait_alu 0xfffd
	v_add_co_ci_u32_e64 v28, null, 0, v18, vcc_lo
	;; [unrolled: 3-line block ×3, first 2 shown]
	v_add_co_u32 v31, vcc_lo, v21, v12
	s_clause 0x1
	global_load_b32 v35, v[0:1], off
	global_load_b64 v[13:14], v[13:14], off offset:4
	s_wait_alu 0xfffd
	v_add_co_ci_u32_e64 v32, null, 0, v22, vcc_lo
	v_add_co_u32 v33, vcc_lo, v23, v12
	s_wait_alu 0xfffd
	v_add_co_ci_u32_e64 v34, null, 0, v24, vcc_lo
	s_clause 0x1
	global_load_b64 v[25:26], v[25:26], off offset:2
	global_load_u16 v36, v[15:16], off
	s_clause 0x7
	global_load_b64 v[15:16], v[27:28], off offset:4
	global_load_b64 v[27:28], v[29:30], off offset:4
	global_load_b32 v29, v[19:20], off
	global_load_b32 v30, v[17:18], off
	global_load_b64 v[17:18], v[31:32], off offset:4
	global_load_b64 v[19:20], v[33:34], off offset:4
	global_load_b32 v23, v[23:24], off
	global_load_b32 v21, v[21:22], off
	v_add_co_u32 v0, vcc_lo, 0x120, v0
	s_wait_alu 0xfffd
	v_add_co_ci_u32_e64 v1, null, 0, v1, vcc_lo
	s_wait_loadcnt 0xb
	v_cvt_f32_f16_e32 v22, v35
	s_wait_loadcnt 0x8
	v_cvt_f32_f16_e32 v24, v36
	v_dot4_i32_iu8 v13, v25, v13, 0 neg_lo:[1,1,0]
	s_wait_loadcnt 0x7
	v_dot4_i32_iu8 v15, v25, v15, 0 neg_lo:[1,1,0]
	s_wait_loadcnt 0x6
	;; [unrolled: 2-line block ×4, first 2 shown]
	v_dot4_i32_iu8 v19, v25, v19, 0 neg_lo:[1,1,0]
	v_cvt_f32_f16_e32 v30, v30
	v_cvt_f32_f16_e32 v29, v29
	s_wait_loadcnt 0x0
	v_cvt_f32_f16_e32 v21, v21
	v_cvt_f32_f16_e32 v23, v23
	v_dot4_i32_iu8 v13, v26, v14, v13 neg_lo:[1,1,0]
	v_mul_f32_e32 v14, v24, v22
	v_dot4_i32_iu8 v15, v26, v16, v15 neg_lo:[1,1,0]
	v_dot4_i32_iu8 v22, v26, v28, v27 neg_lo:[1,1,0]
	;; [unrolled: 1-line block ×4, first 2 shown]
	v_dual_mul_f32 v25, v24, v29 :: v_dual_add_nc_u32 v8, 8, v8
	v_mul_f32_e32 v16, v24, v30
	v_mul_f32_e32 v18, v24, v21
	;; [unrolled: 1-line block ×3, first 2 shown]
	v_cvt_f32_i32_e32 v13, v13
	v_cvt_f32_i32_e32 v15, v15
	;; [unrolled: 1-line block ×5, first 2 shown]
	v_cmp_le_u32_e32 vcc_lo, s22, v8
	v_dual_fmac_f32 v9, v14, v13 :: v_dual_fmac_f32 v6, v16, v15
	v_fmac_f32_e32 v5, v25, v21
	v_fmac_f32_e32 v4, v18, v17
	;; [unrolled: 1-line block ×3, first 2 shown]
	s_or_b32 s3, vcc_lo, s3
	s_wait_alu 0xfffe
	s_and_not1_b32 exec_lo, exec_lo, s3
	s_cbranch_execnz .LBB68_2
; %bb.3:
	s_or_b32 exec_lo, exec_lo, s3
.LBB68_4:
	s_delay_alu instid0(SALU_CYCLE_1)
	s_or_b32 exec_lo, exec_lo, s21
	s_mov_b32 s3, 0
	; wave barrier
	global_inv scope:SCOPE_SE
	s_mov_b32 s2, exec_lo
	v_cmpx_eq_u32_e32 0, v7
	s_cbranch_execz .LBB68_15
; %bb.5:
	v_mbcnt_lo_u32_b32 v10, -1, 0
	s_load_b64 s[0:1], s[0:1], 0x38
	s_mul_i32 s2, s10, s19
	s_mul_i32 s4, s18, s20
	s_wait_alu 0xfffe
	s_add_co_i32 s2, s2, ttmp9
	v_xor_b32_e32 v0, 16, v10
	v_xor_b32_e32 v1, 8, v10
	s_wait_alu 0xfffe
	s_add_co_i32 s2, s2, s4
	s_wait_alu 0xfffe
	s_lshl_b64 s[2:3], s[2:3], 2
	v_cmp_gt_i32_e32 vcc_lo, 32, v0
	s_wait_alu 0xfffd
	v_cndmask_b32_e32 v0, v10, v0, vcc_lo
	v_cmp_gt_i32_e32 vcc_lo, 32, v1
	s_wait_alu 0xfffd
	v_cndmask_b32_e32 v1, v10, v1, vcc_lo
	s_wait_kmcnt 0x0
	s_wait_alu 0xfffe
	s_add_nc_u64 s[0:1], s[0:1], s[2:3]
	s_delay_alu instid0(VALU_DEP_1)
	v_lshlrev_b32_e32 v1, 2, v1
	v_lshlrev_b32_e32 v0, 2, v0
	ds_bpermute_b32 v7, v0, v9
	s_wait_dscnt 0x0
	v_add_f32_e32 v8, v9, v7
	v_xor_b32_e32 v7, 4, v10
	ds_bpermute_b32 v9, v1, v8
	v_cmp_gt_i32_e32 vcc_lo, 32, v7
	s_wait_alu 0xfffd
	v_cndmask_b32_e32 v7, v10, v7, vcc_lo
	s_wait_dscnt 0x0
	v_add_f32_e32 v9, v8, v9
	v_xor_b32_e32 v8, 2, v10
	s_delay_alu instid0(VALU_DEP_1) | instskip(SKIP_2) | instid1(VALU_DEP_1)
	v_cmp_gt_i32_e32 vcc_lo, 32, v8
	s_wait_alu 0xfffd
	v_dual_cndmask_b32 v8, v10, v8 :: v_dual_lshlrev_b32 v7, 2, v7
	v_lshlrev_b32_e32 v8, 2, v8
	ds_bpermute_b32 v11, v7, v9
	s_wait_dscnt 0x0
	v_add_f32_e32 v11, v9, v11
	v_xor_b32_e32 v9, 1, v10
	ds_bpermute_b32 v12, v8, v11
	v_cmp_gt_i32_e32 vcc_lo, 32, v9
	s_wait_alu 0xfffd
	v_cndmask_b32_e32 v9, v10, v9, vcc_lo
	v_cmp_eq_u32_e32 vcc_lo, 0, v3
	s_wait_dscnt 0x0
	s_delay_alu instid0(VALU_DEP_2)
	v_dual_add_f32 v10, v11, v12 :: v_dual_lshlrev_b32 v9, 2, v9
	ds_bpermute_b32 v11, v9, v10
	s_and_saveexec_b32 s2, vcc_lo
	s_cbranch_execz .LBB68_7
; %bb.6:
	s_wait_dscnt 0x0
	v_dual_add_f32 v3, v10, v11 :: v_dual_mov_b32 v10, 0
	global_store_b32 v10, v3, s[0:1]
.LBB68_7:
	s_wait_alu 0xfffe
	s_or_b32 exec_lo, exec_lo, s2
	ds_bpermute_b32 v3, v0, v6
	s_wait_dscnt 0x0
	v_add_f32_e32 v3, v6, v3
	ds_bpermute_b32 v6, v1, v3
	s_wait_dscnt 0x0
	v_add_f32_e32 v3, v3, v6
	;; [unrolled: 3-line block ×4, first 2 shown]
	ds_bpermute_b32 v6, v9, v3
	s_and_saveexec_b32 s2, vcc_lo
	s_cbranch_execz .LBB68_9
; %bb.8:
	s_mov_b32 s7, 0
	s_wait_dscnt 0x0
	v_dual_add_f32 v3, v3, v6 :: v_dual_mov_b32 v6, 0
	s_wait_alu 0xfffe
	s_lshl_b64 s[4:5], s[6:7], 2
	s_wait_alu 0xfffe
	s_add_nc_u64 s[4:5], s[0:1], s[4:5]
	global_store_b32 v6, v3, s[4:5]
.LBB68_9:
	s_wait_alu 0xfffe
	s_or_b32 exec_lo, exec_lo, s2
	ds_bpermute_b32 v3, v0, v5
	s_wait_dscnt 0x0
	v_add_f32_e32 v3, v5, v3
	ds_bpermute_b32 v5, v1, v3
	s_wait_dscnt 0x0
	v_add_f32_e32 v3, v3, v5
	;; [unrolled: 3-line block ×4, first 2 shown]
	ds_bpermute_b32 v5, v9, v3
	s_and_saveexec_b32 s2, vcc_lo
	s_cbranch_execz .LBB68_11
; %bb.10:
	s_lshl_b32 s4, s6, 1
	s_mov_b32 s5, 0
	s_wait_dscnt 0x0
	v_add_f32_e32 v3, v3, v5
	v_mov_b32_e32 v5, 0
	s_wait_alu 0xfffe
	s_lshl_b64 s[4:5], s[4:5], 2
	s_wait_alu 0xfffe
	s_add_nc_u64 s[4:5], s[0:1], s[4:5]
	global_store_b32 v5, v3, s[4:5]
.LBB68_11:
	s_wait_alu 0xfffe
	s_or_b32 exec_lo, exec_lo, s2
	ds_bpermute_b32 v3, v0, v4
	s_wait_dscnt 0x0
	v_add_f32_e32 v3, v4, v3
	ds_bpermute_b32 v4, v1, v3
	s_wait_dscnt 0x0
	v_add_f32_e32 v3, v3, v4
	;; [unrolled: 3-line block ×4, first 2 shown]
	ds_bpermute_b32 v4, v9, v3
	s_and_saveexec_b32 s2, vcc_lo
	s_cbranch_execz .LBB68_13
; %bb.12:
	s_mul_i32 s4, s6, 3
	s_mov_b32 s5, 0
	s_wait_dscnt 0x0
	v_dual_add_f32 v3, v3, v4 :: v_dual_mov_b32 v4, 0
	s_wait_alu 0xfffe
	s_lshl_b64 s[4:5], s[4:5], 2
	s_wait_alu 0xfffe
	s_add_nc_u64 s[4:5], s[0:1], s[4:5]
	global_store_b32 v4, v3, s[4:5]
.LBB68_13:
	s_wait_alu 0xfffe
	s_or_b32 exec_lo, exec_lo, s2
	ds_bpermute_b32 v0, v0, v2
	s_wait_dscnt 0x0
	v_add_f32_e32 v0, v2, v0
	ds_bpermute_b32 v1, v1, v0
	s_wait_dscnt 0x0
	v_add_f32_e32 v0, v0, v1
	;; [unrolled: 3-line block ×4, first 2 shown]
	ds_bpermute_b32 v1, v9, v0
	s_and_b32 exec_lo, exec_lo, vcc_lo
	s_cbranch_execz .LBB68_15
; %bb.14:
	s_lshl_b32 s2, s6, 2
	s_mov_b32 s3, 0
	s_wait_dscnt 0x0
	v_dual_add_f32 v0, v0, v1 :: v_dual_mov_b32 v1, 0
	s_wait_alu 0xfffe
	s_lshl_b64 s[2:3], s[2:3], 2
	s_wait_alu 0xfffe
	s_add_nc_u64 s[0:1], s[0:1], s[2:3]
	global_store_b32 v1, v0, s[0:1]
.LBB68_15:
	s_endpgm
	.section	.rodata,"a",@progbits
	.p2align	6, 0x0
	.amdhsa_kernel _ZL13mul_mat_vec_qIL9ggml_type8ELi5ELb0ELb0EEvPKvS2_PKi31ggml_cuda_mm_fusion_args_devicePfj15HIP_vector_typeIjLj3EEjjjS8_jjjS8_jjjj
		.amdhsa_group_segment_fixed_size 0
		.amdhsa_private_segment_fixed_size 0
		.amdhsa_kernarg_size 144
		.amdhsa_user_sgpr_count 2
		.amdhsa_user_sgpr_dispatch_ptr 0
		.amdhsa_user_sgpr_queue_ptr 0
		.amdhsa_user_sgpr_kernarg_segment_ptr 1
		.amdhsa_user_sgpr_dispatch_id 0
		.amdhsa_user_sgpr_private_segment_size 0
		.amdhsa_wavefront_size32 1
		.amdhsa_uses_dynamic_stack 0
		.amdhsa_enable_private_segment 0
		.amdhsa_system_sgpr_workgroup_id_x 1
		.amdhsa_system_sgpr_workgroup_id_y 1
		.amdhsa_system_sgpr_workgroup_id_z 1
		.amdhsa_system_sgpr_workgroup_info 0
		.amdhsa_system_vgpr_workitem_id 1
		.amdhsa_next_free_vgpr 37
		.amdhsa_next_free_sgpr 30
		.amdhsa_reserve_vcc 1
		.amdhsa_float_round_mode_32 0
		.amdhsa_float_round_mode_16_64 0
		.amdhsa_float_denorm_mode_32 3
		.amdhsa_float_denorm_mode_16_64 3
		.amdhsa_fp16_overflow 0
		.amdhsa_workgroup_processor_mode 1
		.amdhsa_memory_ordered 1
		.amdhsa_forward_progress 1
		.amdhsa_inst_pref_size 14
		.amdhsa_round_robin_scheduling 0
		.amdhsa_exception_fp_ieee_invalid_op 0
		.amdhsa_exception_fp_denorm_src 0
		.amdhsa_exception_fp_ieee_div_zero 0
		.amdhsa_exception_fp_ieee_overflow 0
		.amdhsa_exception_fp_ieee_underflow 0
		.amdhsa_exception_fp_ieee_inexact 0
		.amdhsa_exception_int_div_zero 0
	.end_amdhsa_kernel
	.section	.text._ZL13mul_mat_vec_qIL9ggml_type8ELi5ELb0ELb0EEvPKvS2_PKi31ggml_cuda_mm_fusion_args_devicePfj15HIP_vector_typeIjLj3EEjjjS8_jjjS8_jjjj,"axG",@progbits,_ZL13mul_mat_vec_qIL9ggml_type8ELi5ELb0ELb0EEvPKvS2_PKi31ggml_cuda_mm_fusion_args_devicePfj15HIP_vector_typeIjLj3EEjjjS8_jjjS8_jjjj,comdat
.Lfunc_end68:
	.size	_ZL13mul_mat_vec_qIL9ggml_type8ELi5ELb0ELb0EEvPKvS2_PKi31ggml_cuda_mm_fusion_args_devicePfj15HIP_vector_typeIjLj3EEjjjS8_jjjS8_jjjj, .Lfunc_end68-_ZL13mul_mat_vec_qIL9ggml_type8ELi5ELb0ELb0EEvPKvS2_PKi31ggml_cuda_mm_fusion_args_devicePfj15HIP_vector_typeIjLj3EEjjjS8_jjjS8_jjjj
                                        ; -- End function
	.set _ZL13mul_mat_vec_qIL9ggml_type8ELi5ELb0ELb0EEvPKvS2_PKi31ggml_cuda_mm_fusion_args_devicePfj15HIP_vector_typeIjLj3EEjjjS8_jjjS8_jjjj.num_vgpr, 37
	.set _ZL13mul_mat_vec_qIL9ggml_type8ELi5ELb0ELb0EEvPKvS2_PKi31ggml_cuda_mm_fusion_args_devicePfj15HIP_vector_typeIjLj3EEjjjS8_jjjS8_jjjj.num_agpr, 0
	.set _ZL13mul_mat_vec_qIL9ggml_type8ELi5ELb0ELb0EEvPKvS2_PKi31ggml_cuda_mm_fusion_args_devicePfj15HIP_vector_typeIjLj3EEjjjS8_jjjS8_jjjj.numbered_sgpr, 30
	.set _ZL13mul_mat_vec_qIL9ggml_type8ELi5ELb0ELb0EEvPKvS2_PKi31ggml_cuda_mm_fusion_args_devicePfj15HIP_vector_typeIjLj3EEjjjS8_jjjS8_jjjj.num_named_barrier, 0
	.set _ZL13mul_mat_vec_qIL9ggml_type8ELi5ELb0ELb0EEvPKvS2_PKi31ggml_cuda_mm_fusion_args_devicePfj15HIP_vector_typeIjLj3EEjjjS8_jjjS8_jjjj.private_seg_size, 0
	.set _ZL13mul_mat_vec_qIL9ggml_type8ELi5ELb0ELb0EEvPKvS2_PKi31ggml_cuda_mm_fusion_args_devicePfj15HIP_vector_typeIjLj3EEjjjS8_jjjS8_jjjj.uses_vcc, 1
	.set _ZL13mul_mat_vec_qIL9ggml_type8ELi5ELb0ELb0EEvPKvS2_PKi31ggml_cuda_mm_fusion_args_devicePfj15HIP_vector_typeIjLj3EEjjjS8_jjjS8_jjjj.uses_flat_scratch, 0
	.set _ZL13mul_mat_vec_qIL9ggml_type8ELi5ELb0ELb0EEvPKvS2_PKi31ggml_cuda_mm_fusion_args_devicePfj15HIP_vector_typeIjLj3EEjjjS8_jjjS8_jjjj.has_dyn_sized_stack, 0
	.set _ZL13mul_mat_vec_qIL9ggml_type8ELi5ELb0ELb0EEvPKvS2_PKi31ggml_cuda_mm_fusion_args_devicePfj15HIP_vector_typeIjLj3EEjjjS8_jjjS8_jjjj.has_recursion, 0
	.set _ZL13mul_mat_vec_qIL9ggml_type8ELi5ELb0ELb0EEvPKvS2_PKi31ggml_cuda_mm_fusion_args_devicePfj15HIP_vector_typeIjLj3EEjjjS8_jjjS8_jjjj.has_indirect_call, 0
	.section	.AMDGPU.csdata,"",@progbits
; Kernel info:
; codeLenInByte = 1748
; TotalNumSgprs: 32
; NumVgprs: 37
; ScratchSize: 0
; MemoryBound: 0
; FloatMode: 240
; IeeeMode: 1
; LDSByteSize: 0 bytes/workgroup (compile time only)
; SGPRBlocks: 0
; VGPRBlocks: 4
; NumSGPRsForWavesPerEU: 32
; NumVGPRsForWavesPerEU: 37
; Occupancy: 16
; WaveLimiterHint : 0
; COMPUTE_PGM_RSRC2:SCRATCH_EN: 0
; COMPUTE_PGM_RSRC2:USER_SGPR: 2
; COMPUTE_PGM_RSRC2:TRAP_HANDLER: 0
; COMPUTE_PGM_RSRC2:TGID_X_EN: 1
; COMPUTE_PGM_RSRC2:TGID_Y_EN: 1
; COMPUTE_PGM_RSRC2:TGID_Z_EN: 1
; COMPUTE_PGM_RSRC2:TIDIG_COMP_CNT: 1
	.section	.text._ZL13mul_mat_vec_qIL9ggml_type8ELi6ELb0ELb0EEvPKvS2_PKi31ggml_cuda_mm_fusion_args_devicePfj15HIP_vector_typeIjLj3EEjjjS8_jjjS8_jjjj,"axG",@progbits,_ZL13mul_mat_vec_qIL9ggml_type8ELi6ELb0ELb0EEvPKvS2_PKi31ggml_cuda_mm_fusion_args_devicePfj15HIP_vector_typeIjLj3EEjjjS8_jjjS8_jjjj,comdat
	.globl	_ZL13mul_mat_vec_qIL9ggml_type8ELi6ELb0ELb0EEvPKvS2_PKi31ggml_cuda_mm_fusion_args_devicePfj15HIP_vector_typeIjLj3EEjjjS8_jjjS8_jjjj ; -- Begin function _ZL13mul_mat_vec_qIL9ggml_type8ELi6ELb0ELb0EEvPKvS2_PKi31ggml_cuda_mm_fusion_args_devicePfj15HIP_vector_typeIjLj3EEjjjS8_jjjS8_jjjj
	.p2align	8
	.type	_ZL13mul_mat_vec_qIL9ggml_type8ELi6ELb0ELb0EEvPKvS2_PKi31ggml_cuda_mm_fusion_args_devicePfj15HIP_vector_typeIjLj3EEjjjS8_jjjS8_jjjj,@function
_ZL13mul_mat_vec_qIL9ggml_type8ELi6ELb0ELb0EEvPKvS2_PKi31ggml_cuda_mm_fusion_args_devicePfj15HIP_vector_typeIjLj3EEjjjS8_jjjS8_jjjj: ; @_ZL13mul_mat_vec_qIL9ggml_type8ELi6ELb0ELb0EEvPKvS2_PKi31ggml_cuda_mm_fusion_args_devicePfj15HIP_vector_typeIjLj3EEjjjS8_jjjS8_jjjj
; %bb.0:
	s_clause 0x5
	s_load_b96 s[16:18], s[0:1], 0x80
	s_load_b32 s2, s[0:1], 0x40
	s_load_b128 s[4:7], s[0:1], 0x50
	s_load_b32 s23, s[0:1], 0x60
	s_load_b128 s[8:11], s[0:1], 0x68
	s_load_b32 s24, s[0:1], 0x78
	v_bfe_u32 v8, v0, 10, 10
	v_dual_mov_b32 v3, 0 :: v_dual_and_b32 v4, 0x3ff, v0
	v_dual_mov_b32 v2, 0 :: v_dual_mov_b32 v5, 0
	v_dual_mov_b32 v6, 0 :: v_dual_mov_b32 v7, 0
	s_delay_alu instid0(VALU_DEP_3)
	v_lshl_or_b32 v0, v8, 5, v4
	v_mov_b32_e32 v10, 0
	s_and_b32 s19, ttmp7, 0xffff
	s_lshr_b32 s20, ttmp7, 16
	s_mov_b32 s21, exec_lo
	v_lshrrev_b32_e32 v9, 2, v0
	s_wait_kmcnt 0x0
	s_lshr_b32 s22, s2, 5
	s_delay_alu instid0(VALU_DEP_1) | instid1(SALU_CYCLE_1)
	v_cmpx_gt_u32_e64 s22, v9
	s_cbranch_execz .LBB69_4
; %bb.1:
	s_load_b128 s[12:15], s[0:1], 0x0
	v_lshlrev_b32_e32 v0, 1, v4
	s_mul_i32 s2, s17, s20
	s_mov_b32 s3, 0
	s_mul_hi_u32 s7, s7, s19
	v_lshl_add_u32 v2, v8, 5, v4
	s_mul_hi_u32 s11, s11, s20
	s_mul_u64 s[26:27], s[2:3], 36
	s_mul_i32 s2, s9, s19
	s_add_co_i32 s7, s19, s7
	v_dual_mov_b32 v10, 0 :: v_dual_and_b32 v3, 6, v0
	s_add_co_i32 s9, s20, s11
	s_mul_u64 s[28:29], s[2:3], 36
	s_lshr_b32 s2, s7, s23
	v_and_b32_e32 v1, 3, v4
	v_lshrrev_b32_e32 v0, 2, v2
	s_lshr_b32 s7, s9, s24
	s_mul_i32 s2, s2, s8
	v_dual_mov_b32 v6, 0 :: v_dual_lshlrev_b32 v5, 1, v3
	s_wait_kmcnt 0x0
	s_add_nc_u64 s[8:9], s[14:15], s[26:27]
	v_mov_b32_e32 v2, 0
	s_add_nc_u64 s[8:9], s[8:9], s[28:29]
	v_lshlrev_b32_e32 v11, 3, v1
	v_mad_co_u64_u32 v[0:1], null, v0, 36, s[8:9]
	s_mul_i32 s4, s4, ttmp9
	v_dual_mov_b32 v7, 0 :: v_dual_lshlrev_b32 v12, 1, v5
	v_lshlrev_b32_e32 v13, 2, v3
	v_mov_b32_e32 v3, 0
	v_mov_b32_e32 v5, 0
	s_mul_i32 s7, s7, s16
	s_add_co_i32 s2, s2, s4
	s_lshl_b32 s4, s5, 1
	s_add_co_i32 s2, s7, s2
	s_mul_i32 s7, s5, 3
	s_lshl_b32 s11, s5, 2
	s_mul_i32 s14, s5, 5
.LBB69_2:                               ; =>This Inner Loop Header: Depth=1
	v_add_nc_u32_e32 v16, s2, v9
	v_add_nc_u32_e32 v18, s5, v9
	;; [unrolled: 1-line block ×5, first 2 shown]
	v_mad_co_i64_i32 v[16:17], null, v16, 34, s[12:13]
	v_mad_co_u64_u32 v[18:19], null, v18, 36, s[8:9]
	v_mad_co_u64_u32 v[20:21], null, v20, 36, s[8:9]
	v_add_nc_u32_e32 v26, s14, v9
	v_add_co_u32 v14, vcc_lo, v0, v11
	v_mad_co_u64_u32 v[22:23], null, v22, 36, s[8:9]
	s_wait_alu 0xfffd
	v_add_co_ci_u32_e64 v15, null, 0, v1, vcc_lo
	v_mad_co_u64_u32 v[24:25], null, v24, 36, s[8:9]
	v_add_co_u32 v28, vcc_lo, v16, v12
	v_mad_co_u64_u32 v[26:27], null, v26, 36, s[8:9]
	s_wait_alu 0xfffd
	v_add_co_ci_u32_e64 v29, null, 0, v17, vcc_lo
	v_add_co_u32 v30, vcc_lo, v18, v13
	s_wait_alu 0xfffd
	v_add_co_ci_u32_e64 v31, null, 0, v19, vcc_lo
	v_add_co_u32 v32, vcc_lo, v20, v13
	;; [unrolled: 3-line block ×4, first 2 shown]
	s_clause 0x1
	global_load_b32 v40, v[0:1], off
	global_load_b64 v[14:15], v[14:15], off offset:4
	s_wait_alu 0xfffd
	v_add_co_ci_u32_e64 v37, null, 0, v25, vcc_lo
	v_add_co_u32 v38, vcc_lo, v26, v13
	s_wait_alu 0xfffd
	v_add_co_ci_u32_e64 v39, null, 0, v27, vcc_lo
	s_clause 0x1
	global_load_b64 v[28:29], v[28:29], off offset:2
	global_load_u16 v41, v[16:17], off
	s_clause 0x9
	global_load_b32 v42, v[20:21], off
	global_load_b32 v43, v[18:19], off
	global_load_b64 v[16:17], v[30:31], off offset:4
	global_load_b64 v[18:19], v[32:33], off offset:4
	global_load_b32 v30, v[24:25], off
	global_load_b32 v31, v[22:23], off
	global_load_b64 v[20:21], v[34:35], off offset:4
	global_load_b64 v[22:23], v[36:37], off offset:4
	;; [unrolled: 1-line block ×3, first 2 shown]
	global_load_b32 v26, v[26:27], off
	v_add_co_u32 v0, vcc_lo, 0x120, v0
	s_wait_alu 0xfffd
	v_add_co_ci_u32_e64 v1, null, 0, v1, vcc_lo
	s_wait_loadcnt 0xa
	v_cvt_f32_f16_e32 v32, v41
	s_wait_loadcnt 0x9
	v_cvt_f32_f16_e32 v34, v42
	v_cvt_f32_f16_e32 v27, v40
	v_dot4_i32_iu8 v14, v28, v14, 0 neg_lo:[1,1,0]
	s_wait_loadcnt 0x7
	v_dot4_i32_iu8 v16, v28, v16, 0 neg_lo:[1,1,0]
	s_wait_loadcnt 0x6
	v_dot4_i32_iu8 v18, v28, v18, 0 neg_lo:[1,1,0]
	v_cvt_f32_f16_e32 v33, v43
	s_wait_loadcnt 0x3
	v_dot4_i32_iu8 v20, v28, v20, 0 neg_lo:[1,1,0]
	s_wait_loadcnt 0x2
	v_dot4_i32_iu8 v22, v28, v22, 0 neg_lo:[1,1,0]
	;; [unrolled: 2-line block ×3, first 2 shown]
	v_dot4_i32_iu8 v14, v29, v15, v14 neg_lo:[1,1,0]
	v_cvt_f32_f16_e32 v31, v31
	v_cvt_f32_f16_e32 v30, v30
	s_wait_loadcnt 0x0
	v_cvt_f32_f16_e32 v26, v26
	v_dot4_i32_iu8 v16, v29, v17, v16 neg_lo:[1,1,0]
	v_dot4_i32_iu8 v18, v29, v19, v18 neg_lo:[1,1,0]
	;; [unrolled: 1-line block ×5, first 2 shown]
	v_mul_f32_e32 v15, v32, v27
	v_cvt_f32_i32_e32 v14, v14
	v_add_nc_u32_e32 v9, 8, v9
	v_mul_f32_e32 v19, v32, v34
	v_mul_f32_e32 v21, v32, v31
	;; [unrolled: 1-line block ×4, first 2 shown]
	v_cvt_f32_i32_e32 v16, v16
	v_cvt_f32_i32_e32 v18, v18
	v_mul_f32_e32 v17, v32, v33
	v_cvt_f32_i32_e32 v20, v20
	v_cvt_f32_i32_e32 v22, v22
	;; [unrolled: 1-line block ×3, first 2 shown]
	v_fmac_f32_e32 v10, v15, v14
	v_cmp_le_u32_e32 vcc_lo, s22, v9
	v_dual_fmac_f32 v6, v19, v18 :: v_dual_fmac_f32 v7, v17, v16
	v_fmac_f32_e32 v5, v21, v20
	v_dual_fmac_f32 v3, v23, v22 :: v_dual_fmac_f32 v2, v25, v24
	s_or_b32 s3, vcc_lo, s3
	s_wait_alu 0xfffe
	s_and_not1_b32 exec_lo, exec_lo, s3
	s_cbranch_execnz .LBB69_2
; %bb.3:
	s_or_b32 exec_lo, exec_lo, s3
.LBB69_4:
	s_delay_alu instid0(SALU_CYCLE_1)
	s_or_b32 exec_lo, exec_lo, s21
	s_mov_b32 s3, 0
	; wave barrier
	global_inv scope:SCOPE_SE
	s_mov_b32 s2, exec_lo
	v_cmpx_eq_u32_e32 0, v8
	s_cbranch_execz .LBB69_17
; %bb.5:
	v_mbcnt_lo_u32_b32 v11, -1, 0
	s_load_b64 s[0:1], s[0:1], 0x38
	s_mul_i32 s2, s10, s19
	s_mul_i32 s4, s18, s20
	s_wait_alu 0xfffe
	s_add_co_i32 s2, s2, ttmp9
	v_xor_b32_e32 v0, 16, v11
	v_xor_b32_e32 v1, 8, v11
	s_wait_alu 0xfffe
	s_add_co_i32 s2, s2, s4
	s_wait_alu 0xfffe
	s_lshl_b64 s[2:3], s[2:3], 2
	v_cmp_gt_i32_e32 vcc_lo, 32, v0
	s_wait_alu 0xfffd
	v_cndmask_b32_e32 v0, v11, v0, vcc_lo
	v_cmp_gt_i32_e32 vcc_lo, 32, v1
	s_wait_alu 0xfffd
	v_cndmask_b32_e32 v1, v11, v1, vcc_lo
	s_wait_kmcnt 0x0
	s_wait_alu 0xfffe
	s_add_nc_u64 s[0:1], s[0:1], s[2:3]
	s_delay_alu instid0(VALU_DEP_1)
	v_lshlrev_b32_e32 v1, 2, v1
	v_lshlrev_b32_e32 v0, 2, v0
	ds_bpermute_b32 v8, v0, v10
	s_wait_dscnt 0x0
	v_add_f32_e32 v9, v10, v8
	v_xor_b32_e32 v8, 4, v11
	ds_bpermute_b32 v10, v1, v9
	v_cmp_gt_i32_e32 vcc_lo, 32, v8
	s_wait_alu 0xfffd
	v_cndmask_b32_e32 v8, v11, v8, vcc_lo
	s_wait_dscnt 0x0
	v_add_f32_e32 v10, v9, v10
	v_xor_b32_e32 v9, 2, v11
	s_delay_alu instid0(VALU_DEP_1) | instskip(SKIP_2) | instid1(VALU_DEP_1)
	v_cmp_gt_i32_e32 vcc_lo, 32, v9
	s_wait_alu 0xfffd
	v_cndmask_b32_e32 v9, v11, v9, vcc_lo
	v_lshlrev_b32_e32 v9, 2, v9
	v_lshlrev_b32_e32 v8, 2, v8
	ds_bpermute_b32 v12, v8, v10
	s_wait_dscnt 0x0
	v_add_f32_e32 v12, v10, v12
	v_xor_b32_e32 v10, 1, v11
	ds_bpermute_b32 v13, v9, v12
	v_cmp_gt_i32_e32 vcc_lo, 32, v10
	s_wait_alu 0xfffd
	v_cndmask_b32_e32 v10, v11, v10, vcc_lo
	v_cmp_eq_u32_e32 vcc_lo, 0, v4
	s_wait_dscnt 0x0
	s_delay_alu instid0(VALU_DEP_2)
	v_dual_add_f32 v11, v12, v13 :: v_dual_lshlrev_b32 v10, 2, v10
	ds_bpermute_b32 v12, v10, v11
	s_and_saveexec_b32 s2, vcc_lo
	s_cbranch_execz .LBB69_7
; %bb.6:
	s_wait_dscnt 0x0
	v_dual_add_f32 v4, v11, v12 :: v_dual_mov_b32 v11, 0
	global_store_b32 v11, v4, s[0:1]
.LBB69_7:
	s_wait_alu 0xfffe
	s_or_b32 exec_lo, exec_lo, s2
	ds_bpermute_b32 v4, v0, v7
	s_wait_dscnt 0x0
	v_add_f32_e32 v4, v7, v4
	ds_bpermute_b32 v7, v1, v4
	s_wait_dscnt 0x0
	v_add_f32_e32 v4, v4, v7
	ds_bpermute_b32 v7, v8, v4
	s_wait_dscnt 0x0
	v_add_f32_e32 v4, v4, v7
	ds_bpermute_b32 v7, v9, v4
	s_wait_dscnt 0x0
	v_add_f32_e32 v4, v4, v7
	ds_bpermute_b32 v7, v10, v4
	s_and_saveexec_b32 s2, vcc_lo
	s_cbranch_execz .LBB69_9
; %bb.8:
	s_mov_b32 s7, 0
	s_wait_dscnt 0x0
	v_dual_add_f32 v4, v4, v7 :: v_dual_mov_b32 v7, 0
	s_wait_alu 0xfffe
	s_lshl_b64 s[4:5], s[6:7], 2
	s_wait_alu 0xfffe
	s_add_nc_u64 s[4:5], s[0:1], s[4:5]
	global_store_b32 v7, v4, s[4:5]
.LBB69_9:
	s_wait_alu 0xfffe
	s_or_b32 exec_lo, exec_lo, s2
	ds_bpermute_b32 v4, v0, v6
	s_wait_dscnt 0x0
	v_add_f32_e32 v4, v6, v4
	ds_bpermute_b32 v6, v1, v4
	s_wait_dscnt 0x0
	v_add_f32_e32 v4, v4, v6
	;; [unrolled: 3-line block ×4, first 2 shown]
	ds_bpermute_b32 v6, v10, v4
	s_and_saveexec_b32 s2, vcc_lo
	s_cbranch_execz .LBB69_11
; %bb.10:
	s_lshl_b32 s4, s6, 1
	s_mov_b32 s5, 0
	s_wait_dscnt 0x0
	v_add_f32_e32 v4, v4, v6
	v_mov_b32_e32 v6, 0
	s_wait_alu 0xfffe
	s_lshl_b64 s[4:5], s[4:5], 2
	s_wait_alu 0xfffe
	s_add_nc_u64 s[4:5], s[0:1], s[4:5]
	global_store_b32 v6, v4, s[4:5]
.LBB69_11:
	s_wait_alu 0xfffe
	s_or_b32 exec_lo, exec_lo, s2
	ds_bpermute_b32 v4, v0, v5
	s_wait_dscnt 0x0
	v_add_f32_e32 v4, v5, v4
	ds_bpermute_b32 v5, v1, v4
	s_wait_dscnt 0x0
	v_add_f32_e32 v4, v4, v5
	;; [unrolled: 3-line block ×4, first 2 shown]
	ds_bpermute_b32 v5, v10, v4
	s_and_saveexec_b32 s2, vcc_lo
	s_cbranch_execz .LBB69_13
; %bb.12:
	s_mul_i32 s4, s6, 3
	s_mov_b32 s5, 0
	s_wait_dscnt 0x0
	v_dual_add_f32 v4, v4, v5 :: v_dual_mov_b32 v5, 0
	s_wait_alu 0xfffe
	s_lshl_b64 s[4:5], s[4:5], 2
	s_wait_alu 0xfffe
	s_add_nc_u64 s[4:5], s[0:1], s[4:5]
	global_store_b32 v5, v4, s[4:5]
.LBB69_13:
	s_wait_alu 0xfffe
	s_or_b32 exec_lo, exec_lo, s2
	ds_bpermute_b32 v4, v0, v3
	s_wait_dscnt 0x0
	v_add_f32_e32 v3, v3, v4
	ds_bpermute_b32 v4, v1, v3
	s_wait_dscnt 0x0
	v_add_f32_e32 v3, v3, v4
	;; [unrolled: 3-line block ×4, first 2 shown]
	ds_bpermute_b32 v4, v10, v3
	s_and_saveexec_b32 s2, vcc_lo
	s_cbranch_execz .LBB69_15
; %bb.14:
	s_lshl_b32 s4, s6, 2
	s_mov_b32 s5, 0
	s_wait_dscnt 0x0
	v_dual_add_f32 v3, v3, v4 :: v_dual_mov_b32 v4, 0
	s_wait_alu 0xfffe
	s_lshl_b64 s[4:5], s[4:5], 2
	s_wait_alu 0xfffe
	s_add_nc_u64 s[4:5], s[0:1], s[4:5]
	global_store_b32 v4, v3, s[4:5]
.LBB69_15:
	s_wait_alu 0xfffe
	s_or_b32 exec_lo, exec_lo, s2
	ds_bpermute_b32 v0, v0, v2
	s_wait_dscnt 0x0
	v_add_f32_e32 v0, v2, v0
	ds_bpermute_b32 v1, v1, v0
	s_wait_dscnt 0x0
	v_add_f32_e32 v0, v0, v1
	;; [unrolled: 3-line block ×4, first 2 shown]
	ds_bpermute_b32 v1, v10, v0
	s_and_b32 exec_lo, exec_lo, vcc_lo
	s_cbranch_execz .LBB69_17
; %bb.16:
	s_mul_i32 s2, s6, 5
	s_mov_b32 s3, 0
	s_wait_dscnt 0x0
	v_dual_add_f32 v0, v0, v1 :: v_dual_mov_b32 v1, 0
	s_wait_alu 0xfffe
	s_lshl_b64 s[2:3], s[2:3], 2
	s_wait_alu 0xfffe
	s_add_nc_u64 s[0:1], s[0:1], s[2:3]
	global_store_b32 v1, v0, s[0:1]
.LBB69_17:
	s_endpgm
	.section	.rodata,"a",@progbits
	.p2align	6, 0x0
	.amdhsa_kernel _ZL13mul_mat_vec_qIL9ggml_type8ELi6ELb0ELb0EEvPKvS2_PKi31ggml_cuda_mm_fusion_args_devicePfj15HIP_vector_typeIjLj3EEjjjS8_jjjS8_jjjj
		.amdhsa_group_segment_fixed_size 0
		.amdhsa_private_segment_fixed_size 0
		.amdhsa_kernarg_size 144
		.amdhsa_user_sgpr_count 2
		.amdhsa_user_sgpr_dispatch_ptr 0
		.amdhsa_user_sgpr_queue_ptr 0
		.amdhsa_user_sgpr_kernarg_segment_ptr 1
		.amdhsa_user_sgpr_dispatch_id 0
		.amdhsa_user_sgpr_private_segment_size 0
		.amdhsa_wavefront_size32 1
		.amdhsa_uses_dynamic_stack 0
		.amdhsa_enable_private_segment 0
		.amdhsa_system_sgpr_workgroup_id_x 1
		.amdhsa_system_sgpr_workgroup_id_y 1
		.amdhsa_system_sgpr_workgroup_id_z 1
		.amdhsa_system_sgpr_workgroup_info 0
		.amdhsa_system_vgpr_workitem_id 1
		.amdhsa_next_free_vgpr 44
		.amdhsa_next_free_sgpr 30
		.amdhsa_reserve_vcc 1
		.amdhsa_float_round_mode_32 0
		.amdhsa_float_round_mode_16_64 0
		.amdhsa_float_denorm_mode_32 3
		.amdhsa_float_denorm_mode_16_64 3
		.amdhsa_fp16_overflow 0
		.amdhsa_workgroup_processor_mode 1
		.amdhsa_memory_ordered 1
		.amdhsa_forward_progress 1
		.amdhsa_inst_pref_size 16
		.amdhsa_round_robin_scheduling 0
		.amdhsa_exception_fp_ieee_invalid_op 0
		.amdhsa_exception_fp_denorm_src 0
		.amdhsa_exception_fp_ieee_div_zero 0
		.amdhsa_exception_fp_ieee_overflow 0
		.amdhsa_exception_fp_ieee_underflow 0
		.amdhsa_exception_fp_ieee_inexact 0
		.amdhsa_exception_int_div_zero 0
	.end_amdhsa_kernel
	.section	.text._ZL13mul_mat_vec_qIL9ggml_type8ELi6ELb0ELb0EEvPKvS2_PKi31ggml_cuda_mm_fusion_args_devicePfj15HIP_vector_typeIjLj3EEjjjS8_jjjS8_jjjj,"axG",@progbits,_ZL13mul_mat_vec_qIL9ggml_type8ELi6ELb0ELb0EEvPKvS2_PKi31ggml_cuda_mm_fusion_args_devicePfj15HIP_vector_typeIjLj3EEjjjS8_jjjS8_jjjj,comdat
.Lfunc_end69:
	.size	_ZL13mul_mat_vec_qIL9ggml_type8ELi6ELb0ELb0EEvPKvS2_PKi31ggml_cuda_mm_fusion_args_devicePfj15HIP_vector_typeIjLj3EEjjjS8_jjjS8_jjjj, .Lfunc_end69-_ZL13mul_mat_vec_qIL9ggml_type8ELi6ELb0ELb0EEvPKvS2_PKi31ggml_cuda_mm_fusion_args_devicePfj15HIP_vector_typeIjLj3EEjjjS8_jjjS8_jjjj
                                        ; -- End function
	.set _ZL13mul_mat_vec_qIL9ggml_type8ELi6ELb0ELb0EEvPKvS2_PKi31ggml_cuda_mm_fusion_args_devicePfj15HIP_vector_typeIjLj3EEjjjS8_jjjS8_jjjj.num_vgpr, 44
	.set _ZL13mul_mat_vec_qIL9ggml_type8ELi6ELb0ELb0EEvPKvS2_PKi31ggml_cuda_mm_fusion_args_devicePfj15HIP_vector_typeIjLj3EEjjjS8_jjjS8_jjjj.num_agpr, 0
	.set _ZL13mul_mat_vec_qIL9ggml_type8ELi6ELb0ELb0EEvPKvS2_PKi31ggml_cuda_mm_fusion_args_devicePfj15HIP_vector_typeIjLj3EEjjjS8_jjjS8_jjjj.numbered_sgpr, 30
	.set _ZL13mul_mat_vec_qIL9ggml_type8ELi6ELb0ELb0EEvPKvS2_PKi31ggml_cuda_mm_fusion_args_devicePfj15HIP_vector_typeIjLj3EEjjjS8_jjjS8_jjjj.num_named_barrier, 0
	.set _ZL13mul_mat_vec_qIL9ggml_type8ELi6ELb0ELb0EEvPKvS2_PKi31ggml_cuda_mm_fusion_args_devicePfj15HIP_vector_typeIjLj3EEjjjS8_jjjS8_jjjj.private_seg_size, 0
	.set _ZL13mul_mat_vec_qIL9ggml_type8ELi6ELb0ELb0EEvPKvS2_PKi31ggml_cuda_mm_fusion_args_devicePfj15HIP_vector_typeIjLj3EEjjjS8_jjjS8_jjjj.uses_vcc, 1
	.set _ZL13mul_mat_vec_qIL9ggml_type8ELi6ELb0ELb0EEvPKvS2_PKi31ggml_cuda_mm_fusion_args_devicePfj15HIP_vector_typeIjLj3EEjjjS8_jjjS8_jjjj.uses_flat_scratch, 0
	.set _ZL13mul_mat_vec_qIL9ggml_type8ELi6ELb0ELb0EEvPKvS2_PKi31ggml_cuda_mm_fusion_args_devicePfj15HIP_vector_typeIjLj3EEjjjS8_jjjS8_jjjj.has_dyn_sized_stack, 0
	.set _ZL13mul_mat_vec_qIL9ggml_type8ELi6ELb0ELb0EEvPKvS2_PKi31ggml_cuda_mm_fusion_args_devicePfj15HIP_vector_typeIjLj3EEjjjS8_jjjS8_jjjj.has_recursion, 0
	.set _ZL13mul_mat_vec_qIL9ggml_type8ELi6ELb0ELb0EEvPKvS2_PKi31ggml_cuda_mm_fusion_args_devicePfj15HIP_vector_typeIjLj3EEjjjS8_jjjS8_jjjj.has_indirect_call, 0
	.section	.AMDGPU.csdata,"",@progbits
; Kernel info:
; codeLenInByte = 1988
; TotalNumSgprs: 32
; NumVgprs: 44
; ScratchSize: 0
; MemoryBound: 0
; FloatMode: 240
; IeeeMode: 1
; LDSByteSize: 0 bytes/workgroup (compile time only)
; SGPRBlocks: 0
; VGPRBlocks: 5
; NumSGPRsForWavesPerEU: 32
; NumVGPRsForWavesPerEU: 44
; Occupancy: 16
; WaveLimiterHint : 0
; COMPUTE_PGM_RSRC2:SCRATCH_EN: 0
; COMPUTE_PGM_RSRC2:USER_SGPR: 2
; COMPUTE_PGM_RSRC2:TRAP_HANDLER: 0
; COMPUTE_PGM_RSRC2:TGID_X_EN: 1
; COMPUTE_PGM_RSRC2:TGID_Y_EN: 1
; COMPUTE_PGM_RSRC2:TGID_Z_EN: 1
; COMPUTE_PGM_RSRC2:TIDIG_COMP_CNT: 1
	.section	.text._ZL13mul_mat_vec_qIL9ggml_type8ELi7ELb0ELb0EEvPKvS2_PKi31ggml_cuda_mm_fusion_args_devicePfj15HIP_vector_typeIjLj3EEjjjS8_jjjS8_jjjj,"axG",@progbits,_ZL13mul_mat_vec_qIL9ggml_type8ELi7ELb0ELb0EEvPKvS2_PKi31ggml_cuda_mm_fusion_args_devicePfj15HIP_vector_typeIjLj3EEjjjS8_jjjS8_jjjj,comdat
	.globl	_ZL13mul_mat_vec_qIL9ggml_type8ELi7ELb0ELb0EEvPKvS2_PKi31ggml_cuda_mm_fusion_args_devicePfj15HIP_vector_typeIjLj3EEjjjS8_jjjS8_jjjj ; -- Begin function _ZL13mul_mat_vec_qIL9ggml_type8ELi7ELb0ELb0EEvPKvS2_PKi31ggml_cuda_mm_fusion_args_devicePfj15HIP_vector_typeIjLj3EEjjjS8_jjjS8_jjjj
	.p2align	8
	.type	_ZL13mul_mat_vec_qIL9ggml_type8ELi7ELb0ELb0EEvPKvS2_PKi31ggml_cuda_mm_fusion_args_devicePfj15HIP_vector_typeIjLj3EEjjjS8_jjjS8_jjjj,@function
_ZL13mul_mat_vec_qIL9ggml_type8ELi7ELb0ELb0EEvPKvS2_PKi31ggml_cuda_mm_fusion_args_devicePfj15HIP_vector_typeIjLj3EEjjjS8_jjjS8_jjjj: ; @_ZL13mul_mat_vec_qIL9ggml_type8ELi7ELb0ELb0EEvPKvS2_PKi31ggml_cuda_mm_fusion_args_devicePfj15HIP_vector_typeIjLj3EEjjjS8_jjjS8_jjjj
; %bb.0:
	s_clause 0x5
	s_load_b96 s[16:18], s[0:1], 0x80
	s_load_b32 s2, s[0:1], 0x40
	s_load_b128 s[4:7], s[0:1], 0x50
	s_load_b32 s23, s[0:1], 0x60
	s_load_b128 s[8:11], s[0:1], 0x68
	s_load_b32 s24, s[0:1], 0x78
	v_bfe_u32 v9, v0, 10, 10
	v_dual_mov_b32 v2, 0 :: v_dual_and_b32 v5, 0x3ff, v0
	v_dual_mov_b32 v3, 0 :: v_dual_mov_b32 v4, 0
	v_dual_mov_b32 v6, 0 :: v_dual_mov_b32 v7, 0
	s_delay_alu instid0(VALU_DEP_3) | instskip(SKIP_3) | instid1(VALU_DEP_2)
	v_lshl_or_b32 v0, v9, 5, v5
	v_dual_mov_b32 v8, 0 :: v_dual_mov_b32 v11, 0
	s_and_b32 s19, ttmp7, 0xffff
	s_lshr_b32 s20, ttmp7, 16
	v_lshrrev_b32_e32 v10, 2, v0
	s_mov_b32 s21, exec_lo
	s_wait_kmcnt 0x0
	s_lshr_b32 s22, s2, 5
	s_delay_alu instid0(VALU_DEP_1) | instid1(SALU_CYCLE_1)
	v_cmpx_gt_u32_e64 s22, v10
	s_cbranch_execz .LBB70_4
; %bb.1:
	s_load_b128 s[12:15], s[0:1], 0x0
	v_lshlrev_b32_e32 v0, 1, v5
	s_mul_i32 s2, s17, s20
	s_mov_b32 s3, 0
	s_mul_hi_u32 s7, s7, s19
	v_lshl_add_u32 v2, v9, 5, v5
	s_mul_hi_u32 s11, s11, s20
	s_mul_u64 s[26:27], s[2:3], 36
	s_mul_i32 s2, s9, s19
	s_add_co_i32 s7, s19, s7
	v_and_b32_e32 v3, 6, v0
	s_add_co_i32 s9, s20, s11
	s_mul_u64 s[28:29], s[2:3], 36
	s_lshr_b32 s2, s7, s23
	v_and_b32_e32 v1, 3, v5
	v_lshrrev_b32_e32 v0, 2, v2
	s_lshr_b32 s7, s9, s24
	s_mul_i32 s2, s2, s8
	v_dual_mov_b32 v7, 0 :: v_dual_lshlrev_b32 v4, 1, v3
	s_wait_kmcnt 0x0
	s_add_nc_u64 s[8:9], s[14:15], s[26:27]
	v_mov_b32_e32 v2, 0
	s_add_nc_u64 s[8:9], s[8:9], s[28:29]
	v_dual_mov_b32 v11, 0 :: v_dual_lshlrev_b32 v12, 3, v1
	v_mad_co_u64_u32 v[0:1], null, v0, 36, s[8:9]
	s_mul_i32 s4, s4, ttmp9
	v_dual_mov_b32 v8, 0 :: v_dual_lshlrev_b32 v13, 1, v4
	v_mov_b32_e32 v4, 0
	v_dual_mov_b32 v3, 0 :: v_dual_lshlrev_b32 v14, 2, v3
	v_mov_b32_e32 v6, 0
	s_mul_i32 s7, s7, s16
	s_add_co_i32 s2, s2, s4
	s_lshl_b32 s4, s5, 1
	s_add_co_i32 s2, s7, s2
	s_mul_i32 s7, s5, 3
	s_lshl_b32 s11, s5, 2
	s_mul_i32 s14, s5, 5
	s_mul_i32 s15, s5, 6
.LBB70_2:                               ; =>This Inner Loop Header: Depth=1
	v_add_nc_u32_e32 v17, s2, v10
	v_add_nc_u32_e32 v19, s5, v10
	v_add_nc_u32_e32 v21, s4, v10
	v_add_nc_u32_e32 v23, s7, v10
	v_add_nc_u32_e32 v25, s11, v10
	v_mad_co_i64_i32 v[17:18], null, v17, 34, s[12:13]
	v_mad_co_u64_u32 v[19:20], null, v19, 36, s[8:9]
	v_mad_co_u64_u32 v[21:22], null, v21, 36, s[8:9]
	v_add_nc_u32_e32 v27, s14, v10
	v_add_co_u32 v15, vcc_lo, v0, v12
	v_mad_co_u64_u32 v[23:24], null, v23, 36, s[8:9]
	v_add_nc_u32_e32 v29, s15, v10
	s_wait_alu 0xfffd
	v_add_co_ci_u32_e64 v16, null, 0, v1, vcc_lo
	v_mad_co_u64_u32 v[25:26], null, v25, 36, s[8:9]
	v_add_co_u32 v31, vcc_lo, v17, v13
	v_mad_co_u64_u32 v[27:28], null, v27, 36, s[8:9]
	s_wait_alu 0xfffd
	v_add_co_ci_u32_e64 v32, null, 0, v18, vcc_lo
	v_add_co_u32 v33, vcc_lo, v19, v14
	v_mad_co_u64_u32 v[29:30], null, v29, 36, s[8:9]
	s_wait_alu 0xfffd
	v_add_co_ci_u32_e64 v34, null, 0, v20, vcc_lo
	v_add_co_u32 v35, vcc_lo, v21, v14
	s_wait_alu 0xfffd
	v_add_co_ci_u32_e64 v36, null, 0, v22, vcc_lo
	v_add_co_u32 v37, vcc_lo, v23, v14
	;; [unrolled: 3-line block ×4, first 2 shown]
	s_clause 0x1
	global_load_b32 v45, v[0:1], off
	global_load_b64 v[15:16], v[15:16], off offset:4
	s_wait_alu 0xfffd
	v_add_co_ci_u32_e64 v42, null, 0, v28, vcc_lo
	v_add_co_u32 v43, vcc_lo, v29, v14
	s_wait_alu 0xfffd
	v_add_co_ci_u32_e64 v44, null, 0, v30, vcc_lo
	s_clause 0x1
	global_load_b64 v[31:32], v[31:32], off offset:2
	global_load_u16 v46, v[17:18], off
	s_clause 0xb
	global_load_b64 v[17:18], v[33:34], off offset:4
	global_load_b64 v[33:34], v[35:36], off offset:4
	global_load_b32 v35, v[21:22], off
	global_load_b32 v36, v[19:20], off
	global_load_b64 v[19:20], v[37:38], off offset:4
	global_load_b64 v[21:22], v[39:40], off offset:4
	global_load_b32 v37, v[25:26], off
	global_load_b32 v38, v[23:24], off
	;; [unrolled: 4-line block ×3, first 2 shown]
	v_add_co_u32 v0, vcc_lo, 0x120, v0
	s_wait_alu 0xfffd
	v_add_co_ci_u32_e64 v1, null, 0, v1, vcc_lo
	s_wait_loadcnt 0xc
	v_cvt_f32_f16_e32 v30, v46
	s_wait_loadcnt 0xb
	v_dot4_i32_iu8 v17, v31, v17, 0 neg_lo:[1,1,0]
	s_wait_loadcnt 0xa
	v_dot4_i32_iu8 v33, v31, v33, 0 neg_lo:[1,1,0]
	s_wait_loadcnt 0x9
	v_cvt_f32_f16_e32 v35, v35
	v_cvt_f32_f16_e32 v28, v45
	v_dot4_i32_iu8 v15, v31, v15, 0 neg_lo:[1,1,0]
	s_wait_loadcnt 0x7
	v_dot4_i32_iu8 v19, v31, v19, 0 neg_lo:[1,1,0]
	s_wait_loadcnt 0x6
	v_dot4_i32_iu8 v21, v31, v21, 0 neg_lo:[1,1,0]
	v_cvt_f32_f16_e32 v36, v36
	s_wait_loadcnt 0x3
	v_dot4_i32_iu8 v23, v31, v23, 0 neg_lo:[1,1,0]
	s_wait_loadcnt 0x2
	v_dot4_i32_iu8 v25, v31, v25, 0 neg_lo:[1,1,0]
	v_cvt_f32_f16_e32 v38, v38
	v_cvt_f32_f16_e32 v37, v37
	s_wait_loadcnt 0x0
	v_cvt_f32_f16_e32 v27, v27
	v_cvt_f32_f16_e32 v29, v29
	v_dot4_i32_iu8 v15, v32, v16, v15 neg_lo:[1,1,0]
	v_mul_f32_e32 v16, v30, v28
	v_dot4_i32_iu8 v17, v32, v18, v17 neg_lo:[1,1,0]
	v_dot4_i32_iu8 v28, v32, v34, v33 neg_lo:[1,1,0]
	;; [unrolled: 1-line block ×6, first 2 shown]
	v_dual_mul_f32 v31, v30, v35 :: v_dual_add_nc_u32 v10, 8, v10
	v_mul_f32_e32 v18, v30, v36
	v_mul_f32_e32 v22, v30, v37
	;; [unrolled: 1-line block ×4, first 2 shown]
	v_cvt_f32_i32_e32 v15, v15
	v_mul_f32_e32 v20, v30, v38
	v_cvt_f32_i32_e32 v17, v17
	v_cvt_f32_i32_e32 v27, v28
	;; [unrolled: 1-line block ×6, first 2 shown]
	v_cmp_le_u32_e32 vcc_lo, s22, v10
	v_dual_fmac_f32 v11, v16, v15 :: v_dual_fmac_f32 v8, v18, v17
	v_dual_fmac_f32 v7, v31, v27 :: v_dual_fmac_f32 v4, v22, v21
	v_fmac_f32_e32 v6, v20, v19
	v_dual_fmac_f32 v3, v24, v23 :: v_dual_fmac_f32 v2, v26, v25
	s_or_b32 s3, vcc_lo, s3
	s_wait_alu 0xfffe
	s_and_not1_b32 exec_lo, exec_lo, s3
	s_cbranch_execnz .LBB70_2
; %bb.3:
	s_or_b32 exec_lo, exec_lo, s3
.LBB70_4:
	s_delay_alu instid0(SALU_CYCLE_1)
	s_or_b32 exec_lo, exec_lo, s21
	s_mov_b32 s3, 0
	; wave barrier
	global_inv scope:SCOPE_SE
	s_mov_b32 s2, exec_lo
	v_cmpx_eq_u32_e32 0, v9
	s_cbranch_execz .LBB70_19
; %bb.5:
	v_mbcnt_lo_u32_b32 v12, -1, 0
	s_load_b64 s[0:1], s[0:1], 0x38
	s_mul_i32 s2, s10, s19
	s_mul_i32 s4, s18, s20
	s_wait_alu 0xfffe
	s_add_co_i32 s2, s2, ttmp9
	v_xor_b32_e32 v0, 16, v12
	v_xor_b32_e32 v1, 8, v12
	s_wait_alu 0xfffe
	s_add_co_i32 s2, s2, s4
	s_wait_alu 0xfffe
	s_lshl_b64 s[2:3], s[2:3], 2
	v_cmp_gt_i32_e32 vcc_lo, 32, v0
	s_wait_alu 0xfffd
	v_cndmask_b32_e32 v0, v12, v0, vcc_lo
	v_cmp_gt_i32_e32 vcc_lo, 32, v1
	s_wait_alu 0xfffd
	v_cndmask_b32_e32 v1, v12, v1, vcc_lo
	s_wait_kmcnt 0x0
	s_wait_alu 0xfffe
	s_add_nc_u64 s[0:1], s[0:1], s[2:3]
	s_delay_alu instid0(VALU_DEP_1)
	v_lshlrev_b32_e32 v1, 2, v1
	v_lshlrev_b32_e32 v0, 2, v0
	ds_bpermute_b32 v9, v0, v11
	s_wait_dscnt 0x0
	v_add_f32_e32 v10, v11, v9
	v_xor_b32_e32 v9, 4, v12
	ds_bpermute_b32 v11, v1, v10
	v_cmp_gt_i32_e32 vcc_lo, 32, v9
	s_wait_alu 0xfffd
	v_cndmask_b32_e32 v9, v12, v9, vcc_lo
	s_wait_dscnt 0x0
	v_add_f32_e32 v11, v10, v11
	v_xor_b32_e32 v10, 2, v12
	s_delay_alu instid0(VALU_DEP_1)
	v_cmp_gt_i32_e32 vcc_lo, 32, v10
	s_wait_alu 0xfffd
	v_dual_cndmask_b32 v10, v12, v10 :: v_dual_lshlrev_b32 v9, 2, v9
	ds_bpermute_b32 v13, v9, v11
	s_wait_dscnt 0x0
	v_dual_add_f32 v13, v11, v13 :: v_dual_lshlrev_b32 v10, 2, v10
	v_xor_b32_e32 v11, 1, v12
	ds_bpermute_b32 v14, v10, v13
	v_cmp_gt_i32_e32 vcc_lo, 32, v11
	s_wait_alu 0xfffd
	v_cndmask_b32_e32 v11, v12, v11, vcc_lo
	v_cmp_eq_u32_e32 vcc_lo, 0, v5
	s_wait_dscnt 0x0
	s_delay_alu instid0(VALU_DEP_2)
	v_dual_add_f32 v12, v13, v14 :: v_dual_lshlrev_b32 v11, 2, v11
	ds_bpermute_b32 v13, v11, v12
	s_and_saveexec_b32 s2, vcc_lo
	s_cbranch_execz .LBB70_7
; %bb.6:
	s_wait_dscnt 0x0
	v_dual_add_f32 v5, v12, v13 :: v_dual_mov_b32 v12, 0
	global_store_b32 v12, v5, s[0:1]
.LBB70_7:
	s_wait_alu 0xfffe
	s_or_b32 exec_lo, exec_lo, s2
	ds_bpermute_b32 v5, v0, v8
	s_wait_dscnt 0x0
	v_add_f32_e32 v5, v8, v5
	ds_bpermute_b32 v8, v1, v5
	s_wait_dscnt 0x0
	v_add_f32_e32 v5, v5, v8
	;; [unrolled: 3-line block ×4, first 2 shown]
	ds_bpermute_b32 v8, v11, v5
	s_and_saveexec_b32 s2, vcc_lo
	s_cbranch_execz .LBB70_9
; %bb.8:
	s_mov_b32 s7, 0
	s_wait_dscnt 0x0
	v_dual_add_f32 v5, v5, v8 :: v_dual_mov_b32 v8, 0
	s_wait_alu 0xfffe
	s_lshl_b64 s[4:5], s[6:7], 2
	s_wait_alu 0xfffe
	s_add_nc_u64 s[4:5], s[0:1], s[4:5]
	global_store_b32 v8, v5, s[4:5]
.LBB70_9:
	s_wait_alu 0xfffe
	s_or_b32 exec_lo, exec_lo, s2
	ds_bpermute_b32 v5, v0, v7
	s_wait_dscnt 0x0
	v_add_f32_e32 v5, v7, v5
	ds_bpermute_b32 v7, v1, v5
	s_wait_dscnt 0x0
	v_add_f32_e32 v5, v5, v7
	;; [unrolled: 3-line block ×4, first 2 shown]
	ds_bpermute_b32 v7, v11, v5
	s_and_saveexec_b32 s2, vcc_lo
	s_cbranch_execz .LBB70_11
; %bb.10:
	s_lshl_b32 s4, s6, 1
	s_mov_b32 s5, 0
	s_wait_dscnt 0x0
	v_add_f32_e32 v5, v5, v7
	v_mov_b32_e32 v7, 0
	s_wait_alu 0xfffe
	s_lshl_b64 s[4:5], s[4:5], 2
	s_wait_alu 0xfffe
	s_add_nc_u64 s[4:5], s[0:1], s[4:5]
	global_store_b32 v7, v5, s[4:5]
.LBB70_11:
	s_wait_alu 0xfffe
	s_or_b32 exec_lo, exec_lo, s2
	ds_bpermute_b32 v5, v0, v6
	s_wait_dscnt 0x0
	v_add_f32_e32 v5, v6, v5
	ds_bpermute_b32 v6, v1, v5
	s_wait_dscnt 0x0
	v_add_f32_e32 v5, v5, v6
	;; [unrolled: 3-line block ×4, first 2 shown]
	ds_bpermute_b32 v6, v11, v5
	s_and_saveexec_b32 s2, vcc_lo
	s_cbranch_execz .LBB70_13
; %bb.12:
	s_mul_i32 s4, s6, 3
	s_mov_b32 s5, 0
	s_wait_dscnt 0x0
	v_dual_add_f32 v5, v5, v6 :: v_dual_mov_b32 v6, 0
	s_wait_alu 0xfffe
	s_lshl_b64 s[4:5], s[4:5], 2
	s_wait_alu 0xfffe
	s_add_nc_u64 s[4:5], s[0:1], s[4:5]
	global_store_b32 v6, v5, s[4:5]
.LBB70_13:
	s_wait_alu 0xfffe
	s_or_b32 exec_lo, exec_lo, s2
	ds_bpermute_b32 v5, v0, v4
	s_wait_dscnt 0x0
	v_add_f32_e32 v4, v4, v5
	ds_bpermute_b32 v5, v1, v4
	s_wait_dscnt 0x0
	v_add_f32_e32 v4, v4, v5
	;; [unrolled: 3-line block ×4, first 2 shown]
	ds_bpermute_b32 v5, v11, v4
	s_and_saveexec_b32 s2, vcc_lo
	s_cbranch_execz .LBB70_15
; %bb.14:
	s_lshl_b32 s4, s6, 2
	s_mov_b32 s5, 0
	s_wait_dscnt 0x0
	v_dual_add_f32 v4, v4, v5 :: v_dual_mov_b32 v5, 0
	s_wait_alu 0xfffe
	s_lshl_b64 s[4:5], s[4:5], 2
	s_wait_alu 0xfffe
	s_add_nc_u64 s[4:5], s[0:1], s[4:5]
	global_store_b32 v5, v4, s[4:5]
.LBB70_15:
	s_wait_alu 0xfffe
	s_or_b32 exec_lo, exec_lo, s2
	ds_bpermute_b32 v4, v0, v3
	s_wait_dscnt 0x0
	v_add_f32_e32 v3, v3, v4
	ds_bpermute_b32 v4, v1, v3
	s_wait_dscnt 0x0
	v_add_f32_e32 v3, v3, v4
	;; [unrolled: 3-line block ×4, first 2 shown]
	ds_bpermute_b32 v4, v11, v3
	s_and_saveexec_b32 s2, vcc_lo
	s_cbranch_execz .LBB70_17
; %bb.16:
	s_mul_i32 s4, s6, 5
	s_mov_b32 s5, 0
	s_wait_dscnt 0x0
	v_dual_add_f32 v3, v3, v4 :: v_dual_mov_b32 v4, 0
	s_wait_alu 0xfffe
	s_lshl_b64 s[4:5], s[4:5], 2
	s_wait_alu 0xfffe
	s_add_nc_u64 s[4:5], s[0:1], s[4:5]
	global_store_b32 v4, v3, s[4:5]
.LBB70_17:
	s_wait_alu 0xfffe
	s_or_b32 exec_lo, exec_lo, s2
	ds_bpermute_b32 v0, v0, v2
	s_wait_dscnt 0x0
	v_add_f32_e32 v0, v2, v0
	ds_bpermute_b32 v1, v1, v0
	s_wait_dscnt 0x0
	v_add_f32_e32 v0, v0, v1
	;; [unrolled: 3-line block ×4, first 2 shown]
	ds_bpermute_b32 v1, v11, v0
	s_and_b32 exec_lo, exec_lo, vcc_lo
	s_cbranch_execz .LBB70_19
; %bb.18:
	s_mul_i32 s2, s6, 6
	s_mov_b32 s3, 0
	s_wait_dscnt 0x0
	v_dual_add_f32 v0, v0, v1 :: v_dual_mov_b32 v1, 0
	s_wait_alu 0xfffe
	s_lshl_b64 s[2:3], s[2:3], 2
	s_wait_alu 0xfffe
	s_add_nc_u64 s[0:1], s[0:1], s[2:3]
	global_store_b32 v1, v0, s[0:1]
.LBB70_19:
	s_endpgm
	.section	.rodata,"a",@progbits
	.p2align	6, 0x0
	.amdhsa_kernel _ZL13mul_mat_vec_qIL9ggml_type8ELi7ELb0ELb0EEvPKvS2_PKi31ggml_cuda_mm_fusion_args_devicePfj15HIP_vector_typeIjLj3EEjjjS8_jjjS8_jjjj
		.amdhsa_group_segment_fixed_size 0
		.amdhsa_private_segment_fixed_size 0
		.amdhsa_kernarg_size 144
		.amdhsa_user_sgpr_count 2
		.amdhsa_user_sgpr_dispatch_ptr 0
		.amdhsa_user_sgpr_queue_ptr 0
		.amdhsa_user_sgpr_kernarg_segment_ptr 1
		.amdhsa_user_sgpr_dispatch_id 0
		.amdhsa_user_sgpr_private_segment_size 0
		.amdhsa_wavefront_size32 1
		.amdhsa_uses_dynamic_stack 0
		.amdhsa_enable_private_segment 0
		.amdhsa_system_sgpr_workgroup_id_x 1
		.amdhsa_system_sgpr_workgroup_id_y 1
		.amdhsa_system_sgpr_workgroup_id_z 1
		.amdhsa_system_sgpr_workgroup_info 0
		.amdhsa_system_vgpr_workitem_id 1
		.amdhsa_next_free_vgpr 47
		.amdhsa_next_free_sgpr 30
		.amdhsa_reserve_vcc 1
		.amdhsa_float_round_mode_32 0
		.amdhsa_float_round_mode_16_64 0
		.amdhsa_float_denorm_mode_32 3
		.amdhsa_float_denorm_mode_16_64 3
		.amdhsa_fp16_overflow 0
		.amdhsa_workgroup_processor_mode 1
		.amdhsa_memory_ordered 1
		.amdhsa_forward_progress 1
		.amdhsa_inst_pref_size 18
		.amdhsa_round_robin_scheduling 0
		.amdhsa_exception_fp_ieee_invalid_op 0
		.amdhsa_exception_fp_denorm_src 0
		.amdhsa_exception_fp_ieee_div_zero 0
		.amdhsa_exception_fp_ieee_overflow 0
		.amdhsa_exception_fp_ieee_underflow 0
		.amdhsa_exception_fp_ieee_inexact 0
		.amdhsa_exception_int_div_zero 0
	.end_amdhsa_kernel
	.section	.text._ZL13mul_mat_vec_qIL9ggml_type8ELi7ELb0ELb0EEvPKvS2_PKi31ggml_cuda_mm_fusion_args_devicePfj15HIP_vector_typeIjLj3EEjjjS8_jjjS8_jjjj,"axG",@progbits,_ZL13mul_mat_vec_qIL9ggml_type8ELi7ELb0ELb0EEvPKvS2_PKi31ggml_cuda_mm_fusion_args_devicePfj15HIP_vector_typeIjLj3EEjjjS8_jjjS8_jjjj,comdat
.Lfunc_end70:
	.size	_ZL13mul_mat_vec_qIL9ggml_type8ELi7ELb0ELb0EEvPKvS2_PKi31ggml_cuda_mm_fusion_args_devicePfj15HIP_vector_typeIjLj3EEjjjS8_jjjS8_jjjj, .Lfunc_end70-_ZL13mul_mat_vec_qIL9ggml_type8ELi7ELb0ELb0EEvPKvS2_PKi31ggml_cuda_mm_fusion_args_devicePfj15HIP_vector_typeIjLj3EEjjjS8_jjjS8_jjjj
                                        ; -- End function
	.set _ZL13mul_mat_vec_qIL9ggml_type8ELi7ELb0ELb0EEvPKvS2_PKi31ggml_cuda_mm_fusion_args_devicePfj15HIP_vector_typeIjLj3EEjjjS8_jjjS8_jjjj.num_vgpr, 47
	.set _ZL13mul_mat_vec_qIL9ggml_type8ELi7ELb0ELb0EEvPKvS2_PKi31ggml_cuda_mm_fusion_args_devicePfj15HIP_vector_typeIjLj3EEjjjS8_jjjS8_jjjj.num_agpr, 0
	.set _ZL13mul_mat_vec_qIL9ggml_type8ELi7ELb0ELb0EEvPKvS2_PKi31ggml_cuda_mm_fusion_args_devicePfj15HIP_vector_typeIjLj3EEjjjS8_jjjS8_jjjj.numbered_sgpr, 30
	.set _ZL13mul_mat_vec_qIL9ggml_type8ELi7ELb0ELb0EEvPKvS2_PKi31ggml_cuda_mm_fusion_args_devicePfj15HIP_vector_typeIjLj3EEjjjS8_jjjS8_jjjj.num_named_barrier, 0
	.set _ZL13mul_mat_vec_qIL9ggml_type8ELi7ELb0ELb0EEvPKvS2_PKi31ggml_cuda_mm_fusion_args_devicePfj15HIP_vector_typeIjLj3EEjjjS8_jjjS8_jjjj.private_seg_size, 0
	.set _ZL13mul_mat_vec_qIL9ggml_type8ELi7ELb0ELb0EEvPKvS2_PKi31ggml_cuda_mm_fusion_args_devicePfj15HIP_vector_typeIjLj3EEjjjS8_jjjS8_jjjj.uses_vcc, 1
	.set _ZL13mul_mat_vec_qIL9ggml_type8ELi7ELb0ELb0EEvPKvS2_PKi31ggml_cuda_mm_fusion_args_devicePfj15HIP_vector_typeIjLj3EEjjjS8_jjjS8_jjjj.uses_flat_scratch, 0
	.set _ZL13mul_mat_vec_qIL9ggml_type8ELi7ELb0ELb0EEvPKvS2_PKi31ggml_cuda_mm_fusion_args_devicePfj15HIP_vector_typeIjLj3EEjjjS8_jjjS8_jjjj.has_dyn_sized_stack, 0
	.set _ZL13mul_mat_vec_qIL9ggml_type8ELi7ELb0ELb0EEvPKvS2_PKi31ggml_cuda_mm_fusion_args_devicePfj15HIP_vector_typeIjLj3EEjjjS8_jjjS8_jjjj.has_recursion, 0
	.set _ZL13mul_mat_vec_qIL9ggml_type8ELi7ELb0ELb0EEvPKvS2_PKi31ggml_cuda_mm_fusion_args_devicePfj15HIP_vector_typeIjLj3EEjjjS8_jjjS8_jjjj.has_indirect_call, 0
	.section	.AMDGPU.csdata,"",@progbits
; Kernel info:
; codeLenInByte = 2228
; TotalNumSgprs: 32
; NumVgprs: 47
; ScratchSize: 0
; MemoryBound: 0
; FloatMode: 240
; IeeeMode: 1
; LDSByteSize: 0 bytes/workgroup (compile time only)
; SGPRBlocks: 0
; VGPRBlocks: 5
; NumSGPRsForWavesPerEU: 32
; NumVGPRsForWavesPerEU: 47
; Occupancy: 16
; WaveLimiterHint : 0
; COMPUTE_PGM_RSRC2:SCRATCH_EN: 0
; COMPUTE_PGM_RSRC2:USER_SGPR: 2
; COMPUTE_PGM_RSRC2:TRAP_HANDLER: 0
; COMPUTE_PGM_RSRC2:TGID_X_EN: 1
; COMPUTE_PGM_RSRC2:TGID_Y_EN: 1
; COMPUTE_PGM_RSRC2:TGID_Z_EN: 1
; COMPUTE_PGM_RSRC2:TIDIG_COMP_CNT: 1
	.section	.text._ZL13mul_mat_vec_qIL9ggml_type8ELi8ELb0ELb0EEvPKvS2_PKi31ggml_cuda_mm_fusion_args_devicePfj15HIP_vector_typeIjLj3EEjjjS8_jjjS8_jjjj,"axG",@progbits,_ZL13mul_mat_vec_qIL9ggml_type8ELi8ELb0ELb0EEvPKvS2_PKi31ggml_cuda_mm_fusion_args_devicePfj15HIP_vector_typeIjLj3EEjjjS8_jjjS8_jjjj,comdat
	.globl	_ZL13mul_mat_vec_qIL9ggml_type8ELi8ELb0ELb0EEvPKvS2_PKi31ggml_cuda_mm_fusion_args_devicePfj15HIP_vector_typeIjLj3EEjjjS8_jjjS8_jjjj ; -- Begin function _ZL13mul_mat_vec_qIL9ggml_type8ELi8ELb0ELb0EEvPKvS2_PKi31ggml_cuda_mm_fusion_args_devicePfj15HIP_vector_typeIjLj3EEjjjS8_jjjS8_jjjj
	.p2align	8
	.type	_ZL13mul_mat_vec_qIL9ggml_type8ELi8ELb0ELb0EEvPKvS2_PKi31ggml_cuda_mm_fusion_args_devicePfj15HIP_vector_typeIjLj3EEjjjS8_jjjS8_jjjj,@function
_ZL13mul_mat_vec_qIL9ggml_type8ELi8ELb0ELb0EEvPKvS2_PKi31ggml_cuda_mm_fusion_args_devicePfj15HIP_vector_typeIjLj3EEjjjS8_jjjS8_jjjj: ; @_ZL13mul_mat_vec_qIL9ggml_type8ELi8ELb0ELb0EEvPKvS2_PKi31ggml_cuda_mm_fusion_args_devicePfj15HIP_vector_typeIjLj3EEjjjS8_jjjS8_jjjj
; %bb.0:
	s_clause 0x5
	s_load_b96 s[16:18], s[0:1], 0x80
	s_load_b32 s2, s[0:1], 0x40
	s_load_b128 s[4:7], s[0:1], 0x50
	s_load_b32 s23, s[0:1], 0x60
	s_load_b128 s[8:11], s[0:1], 0x68
	s_load_b32 s24, s[0:1], 0x78
	v_bfe_u32 v9, v0, 10, 10
	v_dual_mov_b32 v3, 0 :: v_dual_and_b32 v6, 0x3ff, v0
	v_dual_mov_b32 v2, 0 :: v_dual_mov_b32 v5, 0
	v_dual_mov_b32 v4, 0 :: v_dual_mov_b32 v7, 0
	s_delay_alu instid0(VALU_DEP_3)
	v_lshl_or_b32 v0, v9, 5, v6
	v_mov_b32_e32 v8, 0
	v_mov_b32_e32 v10, 0
	;; [unrolled: 1-line block ×3, first 2 shown]
	s_and_b32 s19, ttmp7, 0xffff
	v_lshrrev_b32_e32 v11, 2, v0
	s_lshr_b32 s20, ttmp7, 16
	s_mov_b32 s21, exec_lo
	s_wait_kmcnt 0x0
	s_lshr_b32 s22, s2, 5
	s_delay_alu instid0(SALU_CYCLE_1)
	v_cmpx_gt_u32_e64 s22, v11
	s_cbranch_execz .LBB71_4
; %bb.1:
	s_load_b128 s[12:15], s[0:1], 0x0
	v_lshlrev_b32_e32 v0, 1, v6
	s_mul_i32 s2, s17, s20
	s_mov_b32 s3, 0
	s_mul_hi_u32 s7, s7, s19
	v_lshl_add_u32 v2, v9, 5, v6
	s_mul_hi_u32 s11, s11, s20
	s_mul_u64 s[26:27], s[2:3], 36
	s_mul_i32 s2, s9, s19
	s_add_co_i32 s7, s19, s7
	v_and_b32_e32 v3, 6, v0
	s_add_co_i32 s9, s20, s11
	s_mul_u64 s[28:29], s[2:3], 36
	s_lshr_b32 s2, s7, s23
	v_and_b32_e32 v1, 3, v6
	v_lshrrev_b32_e32 v0, 2, v2
	s_lshr_b32 s7, s9, s24
	s_mul_i32 s2, s2, s8
	v_dual_mov_b32 v5, 0 :: v_dual_lshlrev_b32 v4, 1, v3
	s_wait_kmcnt 0x0
	s_add_nc_u64 s[8:9], s[14:15], s[26:27]
	v_mov_b32_e32 v2, 0
	s_add_nc_u64 s[8:9], s[8:9], s[28:29]
	v_dual_mov_b32 v8, 0 :: v_dual_lshlrev_b32 v13, 3, v1
	v_mad_co_u64_u32 v[0:1], null, v0, 36, s[8:9]
	s_mul_i32 s4, s4, ttmp9
	v_dual_mov_b32 v7, 0 :: v_dual_lshlrev_b32 v14, 1, v4
	v_dual_mov_b32 v4, 0 :: v_dual_lshlrev_b32 v15, 2, v3
	v_dual_mov_b32 v10, 0 :: v_dual_mov_b32 v3, 0
	v_mov_b32_e32 v12, 0
	s_mul_i32 s7, s7, s16
	s_add_co_i32 s2, s2, s4
	s_lshl_b32 s4, s5, 1
	s_add_co_i32 s2, s7, s2
	s_mul_i32 s7, s5, 3
	s_lshl_b32 s11, s5, 2
	s_mul_i32 s14, s5, 5
	s_mul_i32 s15, s5, 6
	;; [unrolled: 1-line block ×3, first 2 shown]
.LBB71_2:                               ; =>This Inner Loop Header: Depth=1
	v_add_nc_u32_e32 v18, s2, v11
	v_add_nc_u32_e32 v20, s5, v11
	;; [unrolled: 1-line block ×5, first 2 shown]
	v_mad_co_i64_i32 v[18:19], null, v18, 34, s[12:13]
	v_mad_co_u64_u32 v[20:21], null, v20, 36, s[8:9]
	v_mad_co_u64_u32 v[22:23], null, v22, 36, s[8:9]
	v_add_nc_u32_e32 v28, s14, v11
	v_add_co_u32 v16, vcc_lo, v0, v13
	v_mad_co_u64_u32 v[24:25], null, v24, 36, s[8:9]
	v_add_nc_u32_e32 v30, s15, v11
	s_wait_alu 0xfffd
	v_add_co_ci_u32_e64 v17, null, 0, v1, vcc_lo
	v_mad_co_u64_u32 v[26:27], null, v26, 36, s[8:9]
	v_add_co_u32 v34, vcc_lo, v18, v14
	v_add_nc_u32_e32 v32, s16, v11
	v_mad_co_u64_u32 v[28:29], null, v28, 36, s[8:9]
	s_wait_alu 0xfffd
	v_add_co_ci_u32_e64 v35, null, 0, v19, vcc_lo
	v_add_co_u32 v36, vcc_lo, v20, v15
	v_mad_co_u64_u32 v[30:31], null, v30, 36, s[8:9]
	s_wait_alu 0xfffd
	v_add_co_ci_u32_e64 v37, null, 0, v21, vcc_lo
	v_add_co_u32 v38, vcc_lo, v22, v15
	;; [unrolled: 4-line block ×3, first 2 shown]
	s_wait_alu 0xfffd
	v_add_co_ci_u32_e64 v41, null, 0, v25, vcc_lo
	v_add_co_u32 v42, vcc_lo, v26, v15
	s_wait_alu 0xfffd
	v_add_co_ci_u32_e64 v43, null, 0, v27, vcc_lo
	v_add_co_u32 v44, vcc_lo, v28, v15
	;; [unrolled: 3-line block ×3, first 2 shown]
	s_clause 0x1
	global_load_b32 v50, v[0:1], off
	global_load_b64 v[16:17], v[16:17], off offset:4
	s_wait_alu 0xfffd
	v_add_co_ci_u32_e64 v47, null, 0, v31, vcc_lo
	v_add_co_u32 v48, vcc_lo, v32, v15
	s_wait_alu 0xfffd
	v_add_co_ci_u32_e64 v49, null, 0, v33, vcc_lo
	s_clause 0x1
	global_load_b64 v[34:35], v[34:35], off offset:2
	global_load_u16 v51, v[18:19], off
	s_clause 0xd
	global_load_b32 v52, v[22:23], off
	global_load_b32 v53, v[20:21], off
	global_load_b64 v[18:19], v[36:37], off offset:4
	global_load_b64 v[20:21], v[38:39], off offset:4
	global_load_b32 v36, v[26:27], off
	global_load_b32 v37, v[24:25], off
	global_load_b64 v[22:23], v[40:41], off offset:4
	global_load_b64 v[24:25], v[42:43], off offset:4
	global_load_b32 v38, v[30:31], off
	global_load_b32 v39, v[28:29], off
	global_load_b64 v[26:27], v[44:45], off offset:4
	global_load_b64 v[28:29], v[46:47], off offset:4
	global_load_b64 v[30:31], v[48:49], off offset:4
	global_load_b32 v32, v[32:33], off
	v_add_co_u32 v0, vcc_lo, 0x120, v0
	s_wait_alu 0xfffd
	v_add_co_ci_u32_e64 v1, null, 0, v1, vcc_lo
	s_wait_loadcnt 0xe
	v_cvt_f32_f16_e32 v40, v51
	s_wait_loadcnt 0xd
	v_cvt_f32_f16_e32 v42, v52
	;; [unrolled: 2-line block ×3, first 2 shown]
	s_wait_loadcnt 0xb
	v_dot4_i32_iu8 v18, v34, v18, 0 neg_lo:[1,1,0]
	s_wait_loadcnt 0xa
	v_dot4_i32_iu8 v20, v34, v20, 0 neg_lo:[1,1,0]
	s_wait_loadcnt 0x9
	v_cvt_f32_f16_e32 v36, v36
	v_cvt_f32_f16_e32 v33, v50
	v_dot4_i32_iu8 v16, v34, v16, 0 neg_lo:[1,1,0]
	s_wait_loadcnt 0x7
	v_dot4_i32_iu8 v22, v34, v22, 0 neg_lo:[1,1,0]
	s_wait_loadcnt 0x6
	v_dot4_i32_iu8 v24, v34, v24, 0 neg_lo:[1,1,0]
	v_cvt_f32_f16_e32 v37, v37
	s_wait_loadcnt 0x3
	v_dot4_i32_iu8 v26, v34, v26, 0 neg_lo:[1,1,0]
	s_wait_loadcnt 0x2
	v_dot4_i32_iu8 v28, v34, v28, 0 neg_lo:[1,1,0]
	;; [unrolled: 2-line block ×3, first 2 shown]
	v_dot4_i32_iu8 v16, v35, v17, v16 neg_lo:[1,1,0]
	v_cvt_f32_f16_e32 v39, v39
	v_cvt_f32_f16_e32 v38, v38
	s_wait_loadcnt 0x0
	v_cvt_f32_f16_e32 v32, v32
	v_dot4_i32_iu8 v18, v35, v19, v18 neg_lo:[1,1,0]
	v_dot4_i32_iu8 v20, v35, v21, v20 neg_lo:[1,1,0]
	;; [unrolled: 1-line block ×7, first 2 shown]
	v_mul_f32_e32 v17, v40, v33
	v_cvt_f32_i32_e32 v16, v16
	v_add_nc_u32_e32 v11, 8, v11
	v_mul_f32_e32 v19, v40, v41
	v_mul_f32_e32 v21, v40, v42
	;; [unrolled: 1-line block ×6, first 2 shown]
	v_cvt_f32_i32_e32 v18, v18
	v_mul_f32_e32 v27, v40, v39
	v_cvt_f32_i32_e32 v20, v20
	v_cvt_f32_i32_e32 v22, v22
	;; [unrolled: 1-line block ×6, first 2 shown]
	v_fmac_f32_e32 v12, v17, v16
	v_cmp_le_u32_e32 vcc_lo, s22, v11
	v_fmac_f32_e32 v10, v19, v18
	v_dual_fmac_f32 v8, v21, v20 :: v_dual_fmac_f32 v7, v23, v22
	v_dual_fmac_f32 v5, v25, v24 :: v_dual_fmac_f32 v4, v27, v26
	;; [unrolled: 1-line block ×3, first 2 shown]
	s_or_b32 s3, vcc_lo, s3
	s_wait_alu 0xfffe
	s_and_not1_b32 exec_lo, exec_lo, s3
	s_cbranch_execnz .LBB71_2
; %bb.3:
	s_or_b32 exec_lo, exec_lo, s3
.LBB71_4:
	s_delay_alu instid0(SALU_CYCLE_1)
	s_or_b32 exec_lo, exec_lo, s21
	s_mov_b32 s3, 0
	; wave barrier
	global_inv scope:SCOPE_SE
	s_mov_b32 s2, exec_lo
	v_cmpx_eq_u32_e32 0, v9
	s_cbranch_execz .LBB71_21
; %bb.5:
	v_mbcnt_lo_u32_b32 v13, -1, 0
	s_load_b64 s[0:1], s[0:1], 0x38
	s_mul_i32 s2, s10, s19
	s_mul_i32 s4, s18, s20
	s_wait_alu 0xfffe
	s_add_co_i32 s2, s2, ttmp9
	v_xor_b32_e32 v0, 16, v13
	v_xor_b32_e32 v1, 8, v13
	s_wait_alu 0xfffe
	s_add_co_i32 s2, s2, s4
	s_wait_alu 0xfffe
	s_lshl_b64 s[2:3], s[2:3], 2
	v_cmp_gt_i32_e32 vcc_lo, 32, v0
	s_wait_alu 0xfffd
	v_cndmask_b32_e32 v0, v13, v0, vcc_lo
	v_cmp_gt_i32_e32 vcc_lo, 32, v1
	s_wait_alu 0xfffd
	v_cndmask_b32_e32 v1, v13, v1, vcc_lo
	s_wait_kmcnt 0x0
	s_wait_alu 0xfffe
	s_add_nc_u64 s[0:1], s[0:1], s[2:3]
	s_delay_alu instid0(VALU_DEP_1)
	v_lshlrev_b32_e32 v1, 2, v1
	v_lshlrev_b32_e32 v0, 2, v0
	ds_bpermute_b32 v9, v0, v12
	s_wait_dscnt 0x0
	v_add_f32_e32 v11, v12, v9
	v_xor_b32_e32 v9, 4, v13
	ds_bpermute_b32 v12, v1, v11
	v_cmp_gt_i32_e32 vcc_lo, 32, v9
	s_wait_dscnt 0x0
	s_wait_alu 0xfffd
	v_dual_add_f32 v12, v11, v12 :: v_dual_cndmask_b32 v9, v13, v9
	v_xor_b32_e32 v11, 2, v13
	s_delay_alu instid0(VALU_DEP_2) | instskip(NEXT) | instid1(VALU_DEP_2)
	v_lshlrev_b32_e32 v9, 2, v9
	v_cmp_gt_i32_e32 vcc_lo, 32, v11
	ds_bpermute_b32 v14, v9, v12
	s_wait_dscnt 0x0
	s_wait_alu 0xfffd
	v_dual_cndmask_b32 v11, v13, v11 :: v_dual_add_f32 v14, v12, v14
	v_xor_b32_e32 v12, 1, v13
	s_delay_alu instid0(VALU_DEP_1) | instskip(SKIP_3) | instid1(VALU_DEP_2)
	v_cmp_gt_i32_e32 vcc_lo, 32, v12
	s_wait_alu 0xfffd
	v_cndmask_b32_e32 v12, v13, v12, vcc_lo
	v_cmp_eq_u32_e32 vcc_lo, 0, v6
	v_lshlrev_b32_e32 v12, 2, v12
	v_lshlrev_b32_e32 v11, 2, v11
	ds_bpermute_b32 v15, v11, v14
	s_wait_dscnt 0x0
	v_add_f32_e32 v13, v14, v15
	ds_bpermute_b32 v14, v12, v13
	s_and_saveexec_b32 s2, vcc_lo
	s_cbranch_execz .LBB71_7
; %bb.6:
	s_wait_dscnt 0x0
	v_dual_add_f32 v6, v13, v14 :: v_dual_mov_b32 v13, 0
	global_store_b32 v13, v6, s[0:1]
.LBB71_7:
	s_wait_alu 0xfffe
	s_or_b32 exec_lo, exec_lo, s2
	ds_bpermute_b32 v6, v0, v10
	s_wait_dscnt 0x0
	v_add_f32_e32 v6, v10, v6
	ds_bpermute_b32 v10, v1, v6
	s_wait_dscnt 0x0
	v_add_f32_e32 v6, v6, v10
	;; [unrolled: 3-line block ×4, first 2 shown]
	ds_bpermute_b32 v10, v12, v6
	s_and_saveexec_b32 s2, vcc_lo
	s_cbranch_execz .LBB71_9
; %bb.8:
	s_mov_b32 s7, 0
	s_wait_dscnt 0x0
	v_add_f32_e32 v6, v6, v10
	v_mov_b32_e32 v10, 0
	s_wait_alu 0xfffe
	s_lshl_b64 s[4:5], s[6:7], 2
	s_wait_alu 0xfffe
	s_add_nc_u64 s[4:5], s[0:1], s[4:5]
	global_store_b32 v10, v6, s[4:5]
.LBB71_9:
	s_wait_alu 0xfffe
	s_or_b32 exec_lo, exec_lo, s2
	ds_bpermute_b32 v6, v0, v8
	s_wait_dscnt 0x0
	v_add_f32_e32 v6, v8, v6
	ds_bpermute_b32 v8, v1, v6
	s_wait_dscnt 0x0
	v_add_f32_e32 v6, v6, v8
	;; [unrolled: 3-line block ×4, first 2 shown]
	ds_bpermute_b32 v8, v12, v6
	s_and_saveexec_b32 s2, vcc_lo
	s_cbranch_execz .LBB71_11
; %bb.10:
	s_lshl_b32 s4, s6, 1
	s_mov_b32 s5, 0
	s_wait_dscnt 0x0
	v_add_f32_e32 v6, v6, v8
	v_mov_b32_e32 v8, 0
	s_wait_alu 0xfffe
	s_lshl_b64 s[4:5], s[4:5], 2
	s_wait_alu 0xfffe
	s_add_nc_u64 s[4:5], s[0:1], s[4:5]
	global_store_b32 v8, v6, s[4:5]
.LBB71_11:
	s_wait_alu 0xfffe
	s_or_b32 exec_lo, exec_lo, s2
	ds_bpermute_b32 v6, v0, v7
	s_wait_dscnt 0x0
	v_add_f32_e32 v6, v7, v6
	ds_bpermute_b32 v7, v1, v6
	s_wait_dscnt 0x0
	v_add_f32_e32 v6, v6, v7
	;; [unrolled: 3-line block ×4, first 2 shown]
	ds_bpermute_b32 v7, v12, v6
	s_and_saveexec_b32 s2, vcc_lo
	s_cbranch_execz .LBB71_13
; %bb.12:
	s_mul_i32 s4, s6, 3
	s_mov_b32 s5, 0
	s_wait_dscnt 0x0
	v_dual_add_f32 v6, v6, v7 :: v_dual_mov_b32 v7, 0
	s_wait_alu 0xfffe
	s_lshl_b64 s[4:5], s[4:5], 2
	s_wait_alu 0xfffe
	s_add_nc_u64 s[4:5], s[0:1], s[4:5]
	global_store_b32 v7, v6, s[4:5]
.LBB71_13:
	s_wait_alu 0xfffe
	s_or_b32 exec_lo, exec_lo, s2
	ds_bpermute_b32 v6, v0, v5
	s_wait_dscnt 0x0
	v_add_f32_e32 v5, v5, v6
	ds_bpermute_b32 v6, v1, v5
	s_wait_dscnt 0x0
	v_add_f32_e32 v5, v5, v6
	;; [unrolled: 3-line block ×4, first 2 shown]
	ds_bpermute_b32 v6, v12, v5
	s_and_saveexec_b32 s2, vcc_lo
	s_cbranch_execz .LBB71_15
; %bb.14:
	s_lshl_b32 s4, s6, 2
	s_mov_b32 s5, 0
	s_wait_dscnt 0x0
	v_dual_add_f32 v5, v5, v6 :: v_dual_mov_b32 v6, 0
	s_wait_alu 0xfffe
	s_lshl_b64 s[4:5], s[4:5], 2
	s_wait_alu 0xfffe
	s_add_nc_u64 s[4:5], s[0:1], s[4:5]
	global_store_b32 v6, v5, s[4:5]
.LBB71_15:
	s_wait_alu 0xfffe
	s_or_b32 exec_lo, exec_lo, s2
	ds_bpermute_b32 v5, v0, v4
	s_wait_dscnt 0x0
	v_add_f32_e32 v4, v4, v5
	ds_bpermute_b32 v5, v1, v4
	s_wait_dscnt 0x0
	v_add_f32_e32 v4, v4, v5
	;; [unrolled: 3-line block ×4, first 2 shown]
	ds_bpermute_b32 v5, v12, v4
	s_and_saveexec_b32 s2, vcc_lo
	s_cbranch_execz .LBB71_17
; %bb.16:
	s_mul_i32 s4, s6, 5
	s_mov_b32 s5, 0
	s_wait_dscnt 0x0
	v_dual_add_f32 v4, v4, v5 :: v_dual_mov_b32 v5, 0
	s_wait_alu 0xfffe
	s_lshl_b64 s[4:5], s[4:5], 2
	s_wait_alu 0xfffe
	s_add_nc_u64 s[4:5], s[0:1], s[4:5]
	global_store_b32 v5, v4, s[4:5]
.LBB71_17:
	s_wait_alu 0xfffe
	s_or_b32 exec_lo, exec_lo, s2
	ds_bpermute_b32 v4, v0, v3
	s_wait_dscnt 0x0
	v_add_f32_e32 v3, v3, v4
	ds_bpermute_b32 v4, v1, v3
	s_wait_dscnt 0x0
	v_add_f32_e32 v3, v3, v4
	;; [unrolled: 3-line block ×4, first 2 shown]
	ds_bpermute_b32 v4, v12, v3
	s_and_saveexec_b32 s2, vcc_lo
	s_cbranch_execz .LBB71_19
; %bb.18:
	s_mul_i32 s4, s6, 6
	s_mov_b32 s5, 0
	s_wait_dscnt 0x0
	v_dual_add_f32 v3, v3, v4 :: v_dual_mov_b32 v4, 0
	s_wait_alu 0xfffe
	s_lshl_b64 s[4:5], s[4:5], 2
	s_wait_alu 0xfffe
	s_add_nc_u64 s[4:5], s[0:1], s[4:5]
	global_store_b32 v4, v3, s[4:5]
.LBB71_19:
	s_wait_alu 0xfffe
	s_or_b32 exec_lo, exec_lo, s2
	ds_bpermute_b32 v0, v0, v2
	s_wait_dscnt 0x0
	v_add_f32_e32 v0, v2, v0
	ds_bpermute_b32 v1, v1, v0
	s_wait_dscnt 0x0
	v_add_f32_e32 v0, v0, v1
	;; [unrolled: 3-line block ×4, first 2 shown]
	ds_bpermute_b32 v1, v12, v0
	s_and_b32 exec_lo, exec_lo, vcc_lo
	s_cbranch_execz .LBB71_21
; %bb.20:
	s_mul_i32 s2, s6, 7
	s_mov_b32 s3, 0
	s_wait_dscnt 0x0
	v_dual_add_f32 v0, v0, v1 :: v_dual_mov_b32 v1, 0
	s_wait_alu 0xfffe
	s_lshl_b64 s[2:3], s[2:3], 2
	s_wait_alu 0xfffe
	s_add_nc_u64 s[0:1], s[0:1], s[2:3]
	global_store_b32 v1, v0, s[0:1]
.LBB71_21:
	s_endpgm
	.section	.rodata,"a",@progbits
	.p2align	6, 0x0
	.amdhsa_kernel _ZL13mul_mat_vec_qIL9ggml_type8ELi8ELb0ELb0EEvPKvS2_PKi31ggml_cuda_mm_fusion_args_devicePfj15HIP_vector_typeIjLj3EEjjjS8_jjjS8_jjjj
		.amdhsa_group_segment_fixed_size 0
		.amdhsa_private_segment_fixed_size 0
		.amdhsa_kernarg_size 144
		.amdhsa_user_sgpr_count 2
		.amdhsa_user_sgpr_dispatch_ptr 0
		.amdhsa_user_sgpr_queue_ptr 0
		.amdhsa_user_sgpr_kernarg_segment_ptr 1
		.amdhsa_user_sgpr_dispatch_id 0
		.amdhsa_user_sgpr_private_segment_size 0
		.amdhsa_wavefront_size32 1
		.amdhsa_uses_dynamic_stack 0
		.amdhsa_enable_private_segment 0
		.amdhsa_system_sgpr_workgroup_id_x 1
		.amdhsa_system_sgpr_workgroup_id_y 1
		.amdhsa_system_sgpr_workgroup_id_z 1
		.amdhsa_system_sgpr_workgroup_info 0
		.amdhsa_system_vgpr_workitem_id 1
		.amdhsa_next_free_vgpr 54
		.amdhsa_next_free_sgpr 30
		.amdhsa_reserve_vcc 1
		.amdhsa_float_round_mode_32 0
		.amdhsa_float_round_mode_16_64 0
		.amdhsa_float_denorm_mode_32 3
		.amdhsa_float_denorm_mode_16_64 3
		.amdhsa_fp16_overflow 0
		.amdhsa_workgroup_processor_mode 1
		.amdhsa_memory_ordered 1
		.amdhsa_forward_progress 1
		.amdhsa_inst_pref_size 20
		.amdhsa_round_robin_scheduling 0
		.amdhsa_exception_fp_ieee_invalid_op 0
		.amdhsa_exception_fp_denorm_src 0
		.amdhsa_exception_fp_ieee_div_zero 0
		.amdhsa_exception_fp_ieee_overflow 0
		.amdhsa_exception_fp_ieee_underflow 0
		.amdhsa_exception_fp_ieee_inexact 0
		.amdhsa_exception_int_div_zero 0
	.end_amdhsa_kernel
	.section	.text._ZL13mul_mat_vec_qIL9ggml_type8ELi8ELb0ELb0EEvPKvS2_PKi31ggml_cuda_mm_fusion_args_devicePfj15HIP_vector_typeIjLj3EEjjjS8_jjjS8_jjjj,"axG",@progbits,_ZL13mul_mat_vec_qIL9ggml_type8ELi8ELb0ELb0EEvPKvS2_PKi31ggml_cuda_mm_fusion_args_devicePfj15HIP_vector_typeIjLj3EEjjjS8_jjjS8_jjjj,comdat
.Lfunc_end71:
	.size	_ZL13mul_mat_vec_qIL9ggml_type8ELi8ELb0ELb0EEvPKvS2_PKi31ggml_cuda_mm_fusion_args_devicePfj15HIP_vector_typeIjLj3EEjjjS8_jjjS8_jjjj, .Lfunc_end71-_ZL13mul_mat_vec_qIL9ggml_type8ELi8ELb0ELb0EEvPKvS2_PKi31ggml_cuda_mm_fusion_args_devicePfj15HIP_vector_typeIjLj3EEjjjS8_jjjS8_jjjj
                                        ; -- End function
	.set _ZL13mul_mat_vec_qIL9ggml_type8ELi8ELb0ELb0EEvPKvS2_PKi31ggml_cuda_mm_fusion_args_devicePfj15HIP_vector_typeIjLj3EEjjjS8_jjjS8_jjjj.num_vgpr, 54
	.set _ZL13mul_mat_vec_qIL9ggml_type8ELi8ELb0ELb0EEvPKvS2_PKi31ggml_cuda_mm_fusion_args_devicePfj15HIP_vector_typeIjLj3EEjjjS8_jjjS8_jjjj.num_agpr, 0
	.set _ZL13mul_mat_vec_qIL9ggml_type8ELi8ELb0ELb0EEvPKvS2_PKi31ggml_cuda_mm_fusion_args_devicePfj15HIP_vector_typeIjLj3EEjjjS8_jjjS8_jjjj.numbered_sgpr, 30
	.set _ZL13mul_mat_vec_qIL9ggml_type8ELi8ELb0ELb0EEvPKvS2_PKi31ggml_cuda_mm_fusion_args_devicePfj15HIP_vector_typeIjLj3EEjjjS8_jjjS8_jjjj.num_named_barrier, 0
	.set _ZL13mul_mat_vec_qIL9ggml_type8ELi8ELb0ELb0EEvPKvS2_PKi31ggml_cuda_mm_fusion_args_devicePfj15HIP_vector_typeIjLj3EEjjjS8_jjjS8_jjjj.private_seg_size, 0
	.set _ZL13mul_mat_vec_qIL9ggml_type8ELi8ELb0ELb0EEvPKvS2_PKi31ggml_cuda_mm_fusion_args_devicePfj15HIP_vector_typeIjLj3EEjjjS8_jjjS8_jjjj.uses_vcc, 1
	.set _ZL13mul_mat_vec_qIL9ggml_type8ELi8ELb0ELb0EEvPKvS2_PKi31ggml_cuda_mm_fusion_args_devicePfj15HIP_vector_typeIjLj3EEjjjS8_jjjS8_jjjj.uses_flat_scratch, 0
	.set _ZL13mul_mat_vec_qIL9ggml_type8ELi8ELb0ELb0EEvPKvS2_PKi31ggml_cuda_mm_fusion_args_devicePfj15HIP_vector_typeIjLj3EEjjjS8_jjjS8_jjjj.has_dyn_sized_stack, 0
	.set _ZL13mul_mat_vec_qIL9ggml_type8ELi8ELb0ELb0EEvPKvS2_PKi31ggml_cuda_mm_fusion_args_devicePfj15HIP_vector_typeIjLj3EEjjjS8_jjjS8_jjjj.has_recursion, 0
	.set _ZL13mul_mat_vec_qIL9ggml_type8ELi8ELb0ELb0EEvPKvS2_PKi31ggml_cuda_mm_fusion_args_devicePfj15HIP_vector_typeIjLj3EEjjjS8_jjjS8_jjjj.has_indirect_call, 0
	.section	.AMDGPU.csdata,"",@progbits
; Kernel info:
; codeLenInByte = 2476
; TotalNumSgprs: 32
; NumVgprs: 54
; ScratchSize: 0
; MemoryBound: 0
; FloatMode: 240
; IeeeMode: 1
; LDSByteSize: 0 bytes/workgroup (compile time only)
; SGPRBlocks: 0
; VGPRBlocks: 6
; NumSGPRsForWavesPerEU: 32
; NumVGPRsForWavesPerEU: 54
; Occupancy: 16
; WaveLimiterHint : 0
; COMPUTE_PGM_RSRC2:SCRATCH_EN: 0
; COMPUTE_PGM_RSRC2:USER_SGPR: 2
; COMPUTE_PGM_RSRC2:TRAP_HANDLER: 0
; COMPUTE_PGM_RSRC2:TGID_X_EN: 1
; COMPUTE_PGM_RSRC2:TGID_Y_EN: 1
; COMPUTE_PGM_RSRC2:TGID_Z_EN: 1
; COMPUTE_PGM_RSRC2:TIDIG_COMP_CNT: 1
	.section	.text._ZL17mul_mat_vec_q_moeIL9ggml_type39ELi2EEvPKvS2_PKiPfj15HIP_vector_typeIjLj3EEjjjjjjjjj,"axG",@progbits,_ZL17mul_mat_vec_q_moeIL9ggml_type39ELi2EEvPKvS2_PKiPfj15HIP_vector_typeIjLj3EEjjjjjjjjj,comdat
	.globl	_ZL17mul_mat_vec_q_moeIL9ggml_type39ELi2EEvPKvS2_PKiPfj15HIP_vector_typeIjLj3EEjjjjjjjjj ; -- Begin function _ZL17mul_mat_vec_q_moeIL9ggml_type39ELi2EEvPKvS2_PKiPfj15HIP_vector_typeIjLj3EEjjjjjjjjj
	.p2align	8
	.type	_ZL17mul_mat_vec_q_moeIL9ggml_type39ELi2EEvPKvS2_PKiPfj15HIP_vector_typeIjLj3EEjjjjjjjjj,@function
_ZL17mul_mat_vec_q_moeIL9ggml_type39ELi2EEvPKvS2_PKiPfj15HIP_vector_typeIjLj3EEjjjjjjjjj: ; @_ZL17mul_mat_vec_q_moeIL9ggml_type39ELi2EEvPKvS2_PKiPfj15HIP_vector_typeIjLj3EEjjjjjjjjj
; %bb.0:
	s_load_b256 s[4:11], s[0:1], 0x30
	v_bfe_u32 v6, v0, 10, 10
	s_mov_b32 s2, exec_lo
	s_wait_kmcnt 0x0
	s_delay_alu instid0(VALU_DEP_1)
	v_cmpx_gt_u32_e64 s11, v6
	s_cbranch_execz .LBB72_7
; %bb.1:
	s_clause 0x2
	s_load_b32 s2, s[0:1], 0x20
	s_load_b32 s20, s[0:1], 0x50
	s_load_b256 s[12:19], s[0:1], 0x0
	v_bfe_u32 v8, v0, 1, 9
	v_dual_mov_b32 v0, 0 :: v_dual_and_b32 v7, 0x3ff, v0
	v_mov_b32_e32 v1, 0
	s_mov_b32 s11, exec_lo
	s_wait_kmcnt 0x0
	s_lshr_b32 s3, s2, 5
	s_lshl_b32 s2, ttmp9, 1
	v_cmpx_gt_u32_e64 s3, v8
	s_cbranch_execz .LBB72_5
; %bb.2:
	s_mov_b32 s22, ttmp7
	v_lshrrev_b32_e32 v10, 1, v7
	v_mad_co_u64_u32 v[0:1], null, s20, v6, s[22:23]
	v_dual_mov_b32 v1, 0 :: v_dual_lshlrev_b32 v4, 3, v7
	s_load_b96 s[20:22], s[0:1], 0x24
	s_mov_b32 s1, 0
	v_and_b32_e32 v5, 1, v7
	s_delay_alu instid0(VALU_DEP_2) | instskip(NEXT) | instid1(VALU_DEP_4)
	v_and_b32_e32 v9, 8, v4
	v_lshlrev_b64_e32 v[2:3], 2, v[0:1]
	s_delay_alu instid0(VALU_DEP_1) | instskip(NEXT) | instid1(VALU_DEP_1)
	v_add_co_u32 v2, vcc_lo, s16, v2
	v_add_co_ci_u32_e64 v3, null, s17, v3, vcc_lo
	global_load_b32 v0, v[2:3], off
	v_mul_lo_u32 v2, s6, v6
	s_wait_kmcnt 0x0
	s_mul_hi_u32 s0, s20, ttmp7
	s_add_co_i32 s6, s2, 1
	s_add_co_i32 s0, ttmp7, s0
	s_delay_alu instid0(SALU_CYCLE_1) | instskip(NEXT) | instid1(SALU_CYCLE_1)
	s_lshr_b32 s0, s0, s21
	s_mul_i32 s0, s0, s22
	s_delay_alu instid0(VALU_DEP_1) | instskip(SKIP_1) | instid1(SALU_CYCLE_1)
	v_mad_co_u64_u32 v[2:3], null, v2, 36, 0
	s_sub_co_i32 s0, ttmp7, s0
	s_mul_i32 s0, s0, s9
	v_mad_co_u64_u32 v[11:12], null, v10, 36, v[2:3]
	s_wait_loadcnt 0x0
	v_mul_lo_u32 v0, v0, s8
	s_mul_u64 s[8:9], s[0:1], 36
	s_wait_alu 0xfffe
	s_add_nc_u64 s[8:9], s[14:15], s[8:9]
	s_delay_alu instid0(VALU_DEP_1)
	v_mad_co_u64_u32 v[2:3], null, s2, s5, v[0:1]
	v_mad_co_u64_u32 v[3:4], null, s5, s6, v[0:1]
	s_wait_alu 0xfffe
	v_add_co_u32 v4, vcc_lo, s8, v11
	v_mov_b32_e32 v0, v1
	v_lshlrev_b32_e32 v10, 3, v5
	s_wait_alu 0xfffd
	v_add_co_ci_u32_e64 v5, null, s9, v12, vcc_lo
	s_mov_b32 s5, 0xc080604
	s_mov_b32 s6, 0xf4f8fafc
	;; [unrolled: 1-line block ×3, first 2 shown]
.LBB72_3:                               ; =>This Inner Loop Header: Depth=1
	v_add_nc_u32_e32 v13, v2, v8
	v_add_nc_u32_e32 v15, v3, v8
	v_add_co_u32 v11, vcc_lo, v4, v10
	s_wait_alu 0xfffd
	v_add_co_ci_u32_e64 v12, null, 0, v5, vcc_lo
	v_mad_co_i64_i32 v[13:14], null, v13, 17, s[12:13]
	v_mad_co_i64_i32 v[15:16], null, v15, 17, s[12:13]
	s_clause 0x1
	global_load_b64 v[17:18], v[11:12], off offset:4
	global_load_b64 v[11:12], v[11:12], off offset:20
	v_add_co_u32 v19, vcc_lo, v13, v9
	s_wait_alu 0xfffd
	v_add_co_ci_u32_e64 v20, null, 0, v14, vcc_lo
	v_add_co_u32 v21, vcc_lo, v15, v9
	s_wait_alu 0xfffd
	v_add_co_ci_u32_e64 v22, null, 0, v16, vcc_lo
	s_clause 0x3
	global_load_b64 v[19:20], v[19:20], off offset:1
	global_load_b64 v[21:22], v[21:22], off offset:1
	global_load_u8 v15, v[15:16], off
	global_load_u8 v13, v[13:14], off
	global_load_b32 v14, v[4:5], off
	s_wait_loadcnt 0x4
	v_ashrrev_i32_e32 v16, 4, v19
	v_ashrrev_i32_e32 v24, 4, v20
	v_and_b32_e32 v25, 0x7070707, v20
	v_lshrrev_b32_e32 v20, 1, v20
	s_wait_loadcnt 0x0
	v_cvt_f32_f16_e32 v14, v14
	v_and_b32_e32 v23, 0x7070707, v19
	v_lshrrev_b32_e32 v19, 1, v19
	v_ashrrev_i32_e32 v27, 4, v21
	v_and_b32_e32 v28, 0x7070707, v21
	v_lshrrev_b32_e32 v21, 1, v21
	s_wait_alu 0xfffe
	v_perm_b32 v32, s5, 0x3020100, v23
	v_and_b32_e32 v33, 0x7070707, v16
	v_perm_b32 v23, s6, 0xfdfeff00, v23
	v_and_or_b32 v19, v19, s8, 0x3020100
	v_lshrrev_b32_e32 v16, 1, v16
	v_lshlrev_b32_e32 v26, 23, v13
	v_lshlrev_b32_e32 v31, 23, v15
	v_perm_b32 v34, s5, 0x3020100, v25
	v_perm_b32 v25, s6, 0xfdfeff00, v25
	v_and_or_b32 v20, v20, s8, 0x3020100
	v_cmp_ne_u32_e32 vcc_lo, 0, v13
	v_perm_b32 v13, s5, 0x3020100, v28
	v_and_b32_e32 v36, 0x7070707, v27
	v_perm_b32 v28, s6, 0xfdfeff00, v28
	v_and_or_b32 v21, v21, s8, 0x3020100
	v_lshrrev_b32_e32 v27, 1, v27
	v_cmp_ne_u32_e64 s0, 0, v15
	v_perm_b32 v15, s5, 0x3020100, v33
	v_perm_b32 v33, s6, 0xfdfeff00, v33
	;; [unrolled: 1-line block ×3, first 2 shown]
	v_and_or_b32 v16, v16, s8, 0x3020100
	v_and_b32_e32 v35, 0x7070707, v24
	v_lshrrev_b32_e32 v24, 1, v24
	v_perm_b32 v20, v25, v34, v20
	v_perm_b32 v25, s5, 0x3020100, v36
	;; [unrolled: 1-line block ×4, first 2 shown]
	v_and_or_b32 v21, v27, s8, 0x3020100
	v_perm_b32 v15, v33, v15, v16
	v_dot4_i32_iu8 v16, v19, v17, 0 neg_lo:[1,1,0]
	v_perm_b32 v23, s5, 0x3020100, v35
	v_perm_b32 v32, s6, 0xfdfeff00, v35
	v_and_or_b32 v24, v24, s8, 0x3020100
	v_perm_b32 v19, v34, v25, v21
	v_dot4_i32_iu8 v13, v13, v17, 0 neg_lo:[1,1,0]
	v_dot4_i32_iu8 v15, v15, v11, v16 neg_lo:[1,1,0]
	v_ashrrev_i32_e32 v29, 4, v22
	v_dual_mul_f32 v31, 0.5, v31 :: v_dual_add_nc_u32 v8, 16, v8
	s_delay_alu instid0(VALU_DEP_4)
	v_dot4_i32_iu8 v11, v19, v11, v13 neg_lo:[1,1,0]
	v_perm_b32 v13, v32, v23, v24
	v_dot4_i32_iu8 v15, v20, v18, v15 neg_lo:[1,1,0]
	v_and_b32_e32 v38, 0x7070707, v29
	v_lshrrev_b32_e32 v29, 1, v29
	v_mul_f32_e32 v26, 0.5, v26
	s_delay_alu instid0(VALU_DEP_4) | instskip(NEXT) | instid1(VALU_DEP_4)
	v_dot4_i32_iu8 v13, v13, v12, v15 neg_lo:[1,1,0]
	v_perm_b32 v27, s5, 0x3020100, v38
	v_perm_b32 v28, s6, 0xfdfeff00, v38
	v_and_or_b32 v21, v29, s8, 0x3020100
	s_delay_alu instid0(VALU_DEP_4) | instskip(SKIP_2) | instid1(VALU_DEP_4)
	v_cvt_f32_i32_e32 v13, v13
	v_and_b32_e32 v30, 0x7070707, v22
	v_lshrrev_b32_e32 v22, 1, v22
	v_perm_b32 v16, v28, v27, v21
	s_delay_alu instid0(VALU_DEP_3) | instskip(SKIP_1) | instid1(VALU_DEP_4)
	v_perm_b32 v37, s5, 0x3020100, v30
	v_perm_b32 v30, s6, 0xfdfeff00, v30
	v_and_or_b32 v22, v22, s8, 0x3020100
	s_delay_alu instid0(VALU_DEP_1) | instskip(NEXT) | instid1(VALU_DEP_1)
	v_perm_b32 v17, v30, v37, v22
	v_dot4_i32_iu8 v11, v17, v18, v11 neg_lo:[1,1,0]
	s_wait_alu 0xfffd
	v_cndmask_b32_e32 v17, 0x200000, v26, vcc_lo
	s_wait_alu 0xf1ff
	v_cndmask_b32_e64 v18, 0x200000, v31, s0
	v_add_co_u32 v4, vcc_lo, 0x240, v4
	v_dot4_i32_iu8 v11, v16, v12, v11 neg_lo:[1,1,0]
	v_mul_f32_e32 v12, v17, v14
	s_delay_alu instid0(VALU_DEP_4)
	v_mul_f32_e32 v14, v18, v14
	v_cmp_le_u32_e64 s0, s3, v8
	s_wait_alu 0xfffd
	v_add_co_ci_u32_e64 v5, null, 0, v5, vcc_lo
	v_cvt_f32_i32_e32 v11, v11
	v_fmac_f32_e32 v1, v12, v13
	s_or_b32 s1, s0, s1
	s_delay_alu instid0(VALU_DEP_2)
	v_fmac_f32_e32 v0, v14, v11
	s_wait_alu 0xfffe
	s_and_not1_b32 exec_lo, exec_lo, s1
	s_cbranch_execnz .LBB72_3
; %bb.4:
	s_or_b32 exec_lo, exec_lo, s1
.LBB72_5:
	s_wait_alu 0xfffe
	s_or_b32 exec_lo, exec_lo, s11
	v_mbcnt_lo_u32_b32 v2, -1, 0
	s_delay_alu instid0(VALU_DEP_1) | instskip(SKIP_1) | instid1(VALU_DEP_2)
	v_xor_b32_e32 v3, 16, v2
	v_xor_b32_e32 v5, 8, v2
	v_cmp_gt_i32_e32 vcc_lo, 32, v3
	s_wait_alu 0xfffd
	v_cndmask_b32_e32 v3, v2, v3, vcc_lo
	s_delay_alu instid0(VALU_DEP_3) | instskip(NEXT) | instid1(VALU_DEP_2)
	v_cmp_gt_i32_e32 vcc_lo, 32, v5
	v_lshlrev_b32_e32 v3, 2, v3
	ds_bpermute_b32 v4, v3, v1
	ds_bpermute_b32 v3, v3, v0
	s_wait_alu 0xfffd
	v_cndmask_b32_e32 v5, v2, v5, vcc_lo
	s_wait_dscnt 0x0
	v_dual_add_f32 v1, v1, v4 :: v_dual_add_f32 v0, v0, v3
	s_delay_alu instid0(VALU_DEP_2) | instskip(SKIP_3) | instid1(VALU_DEP_1)
	v_lshlrev_b32_e32 v5, 2, v5
	ds_bpermute_b32 v3, v5, v1
	ds_bpermute_b32 v4, v5, v0
	v_xor_b32_e32 v5, 4, v2
	v_cmp_gt_i32_e32 vcc_lo, 32, v5
	s_wait_alu 0xfffd
	v_cndmask_b32_e32 v5, v2, v5, vcc_lo
	s_delay_alu instid0(VALU_DEP_1)
	v_lshlrev_b32_e32 v5, 2, v5
	s_wait_dscnt 0x0
	v_dual_add_f32 v1, v1, v3 :: v_dual_add_f32 v0, v0, v4
	ds_bpermute_b32 v3, v5, v1
	ds_bpermute_b32 v4, v5, v0
	v_xor_b32_e32 v5, 2, v2
	s_delay_alu instid0(VALU_DEP_1) | instskip(SKIP_2) | instid1(VALU_DEP_1)
	v_cmp_gt_i32_e32 vcc_lo, 32, v5
	s_wait_alu 0xfffd
	v_cndmask_b32_e32 v5, v2, v5, vcc_lo
	v_lshlrev_b32_e32 v5, 2, v5
	s_wait_dscnt 0x1
	v_add_f32_e32 v1, v1, v3
	s_wait_dscnt 0x0
	v_add_f32_e32 v3, v0, v4
	ds_bpermute_b32 v0, v5, v1
	ds_bpermute_b32 v4, v5, v3
	v_xor_b32_e32 v5, 1, v2
	s_delay_alu instid0(VALU_DEP_1) | instskip(SKIP_4) | instid1(VALU_DEP_2)
	v_cmp_gt_i32_e32 vcc_lo, 32, v5
	s_wait_alu 0xfffd
	v_cndmask_b32_e32 v2, v2, v5, vcc_lo
	v_cmp_gt_u32_e32 vcc_lo, 2, v7
	s_wait_dscnt 0x1
	v_dual_add_f32 v0, v1, v0 :: v_dual_lshlrev_b32 v5, 2, v2
	s_wait_dscnt 0x0
	v_dual_add_f32 v1, v3, v4 :: v_dual_add_nc_u32 v4, s2, v7
	ds_bpermute_b32 v2, v5, v0
	ds_bpermute_b32 v3, v5, v1
	v_cmp_gt_u32_e64 s0, s4, v4
	s_and_b32 s0, vcc_lo, s0
	s_wait_alu 0xfffe
	s_and_b32 exec_lo, exec_lo, s0
	s_cbranch_execz .LBB72_7
; %bb.6:
	v_mul_lo_u32 v4, s7, v6
	v_or_b32_e32 v6, s2, v7
	s_mul_i32 s0, s10, ttmp7
	s_wait_dscnt 0x1
	v_dual_mov_b32 v5, 0 :: v_dual_add_f32 v2, v0, v2
	s_wait_dscnt 0x0
	v_add_f32_e32 v3, v1, v3
	v_cmp_eq_u32_e32 vcc_lo, 1, v7
	s_wait_alu 0xfffe
	v_add3_u32 v4, v6, v4, s0
	s_wait_alu 0xfffd
	v_cndmask_b32_e32 v2, v2, v3, vcc_lo
	s_delay_alu instid0(VALU_DEP_2) | instskip(NEXT) | instid1(VALU_DEP_1)
	v_lshlrev_b64_e32 v[0:1], 2, v[4:5]
	v_add_co_u32 v0, vcc_lo, s18, v0
	s_wait_alu 0xfffd
	s_delay_alu instid0(VALU_DEP_2)
	v_add_co_ci_u32_e64 v1, null, s19, v1, vcc_lo
	global_store_b32 v[0:1], v2, off
.LBB72_7:
	s_endpgm
	.section	.rodata,"a",@progbits
	.p2align	6, 0x0
	.amdhsa_kernel _ZL17mul_mat_vec_q_moeIL9ggml_type39ELi2EEvPKvS2_PKiPfj15HIP_vector_typeIjLj3EEjjjjjjjjj
		.amdhsa_group_segment_fixed_size 0
		.amdhsa_private_segment_fixed_size 0
		.amdhsa_kernarg_size 84
		.amdhsa_user_sgpr_count 2
		.amdhsa_user_sgpr_dispatch_ptr 0
		.amdhsa_user_sgpr_queue_ptr 0
		.amdhsa_user_sgpr_kernarg_segment_ptr 1
		.amdhsa_user_sgpr_dispatch_id 0
		.amdhsa_user_sgpr_private_segment_size 0
		.amdhsa_wavefront_size32 1
		.amdhsa_uses_dynamic_stack 0
		.amdhsa_enable_private_segment 0
		.amdhsa_system_sgpr_workgroup_id_x 1
		.amdhsa_system_sgpr_workgroup_id_y 1
		.amdhsa_system_sgpr_workgroup_id_z 0
		.amdhsa_system_sgpr_workgroup_info 0
		.amdhsa_system_vgpr_workitem_id 1
		.amdhsa_next_free_vgpr 39
		.amdhsa_next_free_sgpr 24
		.amdhsa_reserve_vcc 1
		.amdhsa_float_round_mode_32 0
		.amdhsa_float_round_mode_16_64 0
		.amdhsa_float_denorm_mode_32 3
		.amdhsa_float_denorm_mode_16_64 3
		.amdhsa_fp16_overflow 0
		.amdhsa_workgroup_processor_mode 1
		.amdhsa_memory_ordered 1
		.amdhsa_forward_progress 1
		.amdhsa_inst_pref_size 14
		.amdhsa_round_robin_scheduling 0
		.amdhsa_exception_fp_ieee_invalid_op 0
		.amdhsa_exception_fp_denorm_src 0
		.amdhsa_exception_fp_ieee_div_zero 0
		.amdhsa_exception_fp_ieee_overflow 0
		.amdhsa_exception_fp_ieee_underflow 0
		.amdhsa_exception_fp_ieee_inexact 0
		.amdhsa_exception_int_div_zero 0
	.end_amdhsa_kernel
	.section	.text._ZL17mul_mat_vec_q_moeIL9ggml_type39ELi2EEvPKvS2_PKiPfj15HIP_vector_typeIjLj3EEjjjjjjjjj,"axG",@progbits,_ZL17mul_mat_vec_q_moeIL9ggml_type39ELi2EEvPKvS2_PKiPfj15HIP_vector_typeIjLj3EEjjjjjjjjj,comdat
.Lfunc_end72:
	.size	_ZL17mul_mat_vec_q_moeIL9ggml_type39ELi2EEvPKvS2_PKiPfj15HIP_vector_typeIjLj3EEjjjjjjjjj, .Lfunc_end72-_ZL17mul_mat_vec_q_moeIL9ggml_type39ELi2EEvPKvS2_PKiPfj15HIP_vector_typeIjLj3EEjjjjjjjjj
                                        ; -- End function
	.set _ZL17mul_mat_vec_q_moeIL9ggml_type39ELi2EEvPKvS2_PKiPfj15HIP_vector_typeIjLj3EEjjjjjjjjj.num_vgpr, 39
	.set _ZL17mul_mat_vec_q_moeIL9ggml_type39ELi2EEvPKvS2_PKiPfj15HIP_vector_typeIjLj3EEjjjjjjjjj.num_agpr, 0
	.set _ZL17mul_mat_vec_q_moeIL9ggml_type39ELi2EEvPKvS2_PKiPfj15HIP_vector_typeIjLj3EEjjjjjjjjj.numbered_sgpr, 24
	.set _ZL17mul_mat_vec_q_moeIL9ggml_type39ELi2EEvPKvS2_PKiPfj15HIP_vector_typeIjLj3EEjjjjjjjjj.num_named_barrier, 0
	.set _ZL17mul_mat_vec_q_moeIL9ggml_type39ELi2EEvPKvS2_PKiPfj15HIP_vector_typeIjLj3EEjjjjjjjjj.private_seg_size, 0
	.set _ZL17mul_mat_vec_q_moeIL9ggml_type39ELi2EEvPKvS2_PKiPfj15HIP_vector_typeIjLj3EEjjjjjjjjj.uses_vcc, 1
	.set _ZL17mul_mat_vec_q_moeIL9ggml_type39ELi2EEvPKvS2_PKiPfj15HIP_vector_typeIjLj3EEjjjjjjjjj.uses_flat_scratch, 0
	.set _ZL17mul_mat_vec_q_moeIL9ggml_type39ELi2EEvPKvS2_PKiPfj15HIP_vector_typeIjLj3EEjjjjjjjjj.has_dyn_sized_stack, 0
	.set _ZL17mul_mat_vec_q_moeIL9ggml_type39ELi2EEvPKvS2_PKiPfj15HIP_vector_typeIjLj3EEjjjjjjjjj.has_recursion, 0
	.set _ZL17mul_mat_vec_q_moeIL9ggml_type39ELi2EEvPKvS2_PKiPfj15HIP_vector_typeIjLj3EEjjjjjjjjj.has_indirect_call, 0
	.section	.AMDGPU.csdata,"",@progbits
; Kernel info:
; codeLenInByte = 1668
; TotalNumSgprs: 26
; NumVgprs: 39
; ScratchSize: 0
; MemoryBound: 0
; FloatMode: 240
; IeeeMode: 1
; LDSByteSize: 0 bytes/workgroup (compile time only)
; SGPRBlocks: 0
; VGPRBlocks: 4
; NumSGPRsForWavesPerEU: 26
; NumVGPRsForWavesPerEU: 39
; Occupancy: 16
; WaveLimiterHint : 1
; COMPUTE_PGM_RSRC2:SCRATCH_EN: 0
; COMPUTE_PGM_RSRC2:USER_SGPR: 2
; COMPUTE_PGM_RSRC2:TRAP_HANDLER: 0
; COMPUTE_PGM_RSRC2:TGID_X_EN: 1
; COMPUTE_PGM_RSRC2:TGID_Y_EN: 1
; COMPUTE_PGM_RSRC2:TGID_Z_EN: 0
; COMPUTE_PGM_RSRC2:TIDIG_COMP_CNT: 1
	.section	.text._ZL13mul_mat_vec_qIL9ggml_type39ELi1ELb1ELb1EEvPKvS2_PKi31ggml_cuda_mm_fusion_args_devicePfj15HIP_vector_typeIjLj3EEjjjS8_jjjS8_jjjj,"axG",@progbits,_ZL13mul_mat_vec_qIL9ggml_type39ELi1ELb1ELb1EEvPKvS2_PKi31ggml_cuda_mm_fusion_args_devicePfj15HIP_vector_typeIjLj3EEjjjS8_jjjS8_jjjj,comdat
	.globl	_ZL13mul_mat_vec_qIL9ggml_type39ELi1ELb1ELb1EEvPKvS2_PKi31ggml_cuda_mm_fusion_args_devicePfj15HIP_vector_typeIjLj3EEjjjS8_jjjS8_jjjj ; -- Begin function _ZL13mul_mat_vec_qIL9ggml_type39ELi1ELb1ELb1EEvPKvS2_PKi31ggml_cuda_mm_fusion_args_devicePfj15HIP_vector_typeIjLj3EEjjjS8_jjjS8_jjjj
	.p2align	8
	.type	_ZL13mul_mat_vec_qIL9ggml_type39ELi1ELb1ELb1EEvPKvS2_PKi31ggml_cuda_mm_fusion_args_devicePfj15HIP_vector_typeIjLj3EEjjjS8_jjjS8_jjjj,@function
_ZL13mul_mat_vec_qIL9ggml_type39ELi1ELb1ELb1EEvPKvS2_PKi31ggml_cuda_mm_fusion_args_devicePfj15HIP_vector_typeIjLj3EEjjjS8_jjjS8_jjjj: ; @_ZL13mul_mat_vec_qIL9ggml_type39ELi1ELb1ELb1EEvPKvS2_PKi31ggml_cuda_mm_fusion_args_devicePfj15HIP_vector_typeIjLj3EEjjjS8_jjjS8_jjjj
; %bb.0:
	s_clause 0x3
	s_load_b256 s[8:15], s[0:1], 0x0
	s_load_b128 s[16:19], s[0:1], 0x20
	s_load_b128 s[20:23], s[0:1], 0x40
	;; [unrolled: 1-line block ×3, first 2 shown]
	s_and_b32 s27, ttmp7, 0xffff
	s_wait_kmcnt 0x0
	s_cmp_lg_u64 s[12:13], 0
	s_cselect_b32 s2, -1, 0
	s_cmp_eq_u64 s[12:13], 0
	s_cbranch_scc1 .LBB73_24
; %bb.1:
	s_lshl_b32 s3, s27, 2
	s_load_b32 s28, s[12:13], s3 offset:0x0
	s_clause 0x1
	s_load_b32 s29, s[0:1], 0x50
	s_load_b32 s30, s[0:1], 0x78
	s_cbranch_execnz .LBB73_3
.LBB73_2:
	s_load_b64 s[12:13], s[0:1], 0x5c
	s_wait_kmcnt 0x0
	s_mul_hi_u32 s3, s12, s27
	s_delay_alu instid0(SALU_CYCLE_1) | instskip(NEXT) | instid1(SALU_CYCLE_1)
	s_add_co_i32 s3, s27, s3
	s_lshr_b32 s28, s3, s13
.LBB73_3:
	s_and_not1_b32 vcc_lo, exec_lo, s2
	s_mov_b32 s3, s27
	s_mov_b32 s31, s27
	s_cbranch_vccnz .LBB73_5
; %bb.4:
	s_mul_hi_u32 s2, s21, s27
	s_wait_kmcnt 0x0
	s_mov_b32 s3, s28
	s_add_co_i32 s2, s27, s2
	s_delay_alu instid0(SALU_CYCLE_1) | instskip(NEXT) | instid1(SALU_CYCLE_1)
	s_lshr_b32 s2, s2, s22
	s_mul_i32 s2, s2, s23
	s_delay_alu instid0(SALU_CYCLE_1)
	s_sub_co_i32 s31, s27, s2
.LBB73_5:
	s_load_b96 s[24:26], s[0:1], 0x80
	v_bfe_u32 v11, v0, 10, 10
	v_dual_mov_b32 v9, 0 :: v_dual_and_b32 v8, 0x3ff, v0
	s_lshr_b32 s21, ttmp7, 16
	s_cmp_lg_u64 s[14:15], 0
	v_mov_b32_e32 v10, 0
	s_delay_alu instid0(VALU_DEP_2) | instskip(SKIP_3) | instid1(VALU_DEP_1)
	v_or_b32_e32 v0, v8, v11
	s_cselect_b32 s2, -1, 0
	s_mov_b32 s23, 0
	s_mul_i32 s12, s3, s6
	v_cmp_eq_u32_e32 vcc_lo, 0, v0
	s_and_b32 s13, s2, vcc_lo
	s_delay_alu instid0(SALU_CYCLE_1)
	s_and_saveexec_b32 s3, s13
	s_cbranch_execz .LBB73_7
; %bb.6:
	s_wait_kmcnt 0x0
	s_mul_i32 s22, s26, s21
	s_mov_b32 s13, s23
	s_lshl_b64 s[22:23], s[22:23], 2
	s_mov_b32 s34, ttmp9
	s_lshl_b64 s[36:37], s[12:13], 2
	s_add_nc_u64 s[14:15], s[14:15], s[22:23]
	s_ashr_i32 s35, ttmp9, 31
	v_lshlrev_b32_e32 v0, 2, v8
	s_add_nc_u64 s[14:15], s[14:15], s[36:37]
	s_lshl_b64 s[22:23], s[34:35], 2
	s_delay_alu instid0(SALU_CYCLE_1)
	s_add_nc_u64 s[14:15], s[14:15], s[22:23]
	global_load_b32 v10, v0, s[14:15]
.LBB73_7:
	s_or_b32 exec_lo, exec_lo, s3
	s_cmp_lg_u64 s[16:17], 0
	s_cselect_b32 s14, -1, 0
	s_cmp_lg_u64 s[18:19], 0
	s_cselect_b32 s3, -1, 0
	s_delay_alu instid0(SALU_CYCLE_1) | instskip(NEXT) | instid1(SALU_CYCLE_1)
	s_and_b32 s13, s3, s14
	s_and_b32 s13, s13, vcc_lo
	s_delay_alu instid0(SALU_CYCLE_1)
	s_and_saveexec_b32 s15, s13
	s_cbranch_execz .LBB73_9
; %bb.8:
	s_wait_kmcnt 0x0
	s_mul_i32 s34, s26, s21
	s_mov_b32 s35, 0
	s_mov_b32 s22, ttmp9
	s_lshl_b64 s[36:37], s[34:35], 2
	s_mov_b32 s13, s35
	s_add_nc_u64 s[18:19], s[18:19], s[36:37]
	s_lshl_b64 s[12:13], s[12:13], 2
	s_ashr_i32 s23, ttmp9, 31
	v_lshlrev_b32_e32 v0, 2, v8
	s_add_nc_u64 s[12:13], s[18:19], s[12:13]
	s_lshl_b64 s[18:19], s[22:23], 2
	s_delay_alu instid0(SALU_CYCLE_1)
	s_add_nc_u64 s[12:13], s[12:13], s[18:19]
	global_load_b32 v9, v0, s[12:13]
.LBB73_9:
	s_or_b32 exec_lo, exec_lo, s15
	v_dual_mov_b32 v13, 0 :: v_dual_lshlrev_b32 v0, 5, v11
	v_cndmask_b32_e64 v12, 0, 1, s14
	s_lshr_b32 s15, s20, 5
	s_mov_b32 s18, exec_lo
	s_delay_alu instid0(VALU_DEP_2) | instskip(SKIP_1) | instid1(VALU_DEP_2)
	v_add_nc_u16 v1, v0, v8
	v_mov_b32_e32 v14, 0
	v_lshrrev_b16 v1, 1, v1
	s_delay_alu instid0(VALU_DEP_1) | instskip(SKIP_1) | instid1(VALU_DEP_1)
	v_and_b32_e32 v15, 0xffff, v1
	s_wait_alu 0xfffe
	v_cmpx_gt_u32_e64 s15, v15
	s_cbranch_execz .LBB73_15
; %bb.10:
	s_mul_hi_u32 s7, s7, s21
	v_dual_mov_b32 v13, 0 :: v_dual_add_nc_u32 v0, v0, v8
	s_mul_i32 s22, s31, s5
	s_add_co_i32 s5, s21, s7
	s_wait_kmcnt 0x0
	s_mul_i32 s12, s25, s21
	s_mov_b32 s13, 0
	s_lshr_b32 s5, s5, s30
	s_mov_b32 s23, s13
	s_mul_i32 s5, s5, s24
	s_mul_u64 s[24:25], s[12:13], 36
	v_dual_mov_b32 v14, 0 :: v_dual_lshlrev_b32 v1, 3, v8
	v_lshrrev_b32_e32 v0, 1, v0
	s_mul_u64 s[22:23], s[22:23], 36
	s_add_nc_u64 s[10:11], s[10:11], s[24:25]
	v_and_b32_e32 v2, 1, v8
	s_add_nc_u64 s[10:11], s[10:11], s[22:23]
	v_and_b32_e32 v16, 8, v1
	v_mad_co_u64_u32 v[0:1], null, v0, 36, s[10:11]
	s_mul_i32 s29, s29, ttmp9
	v_lshlrev_b32_e32 v17, 3, v2
	s_mul_i32 s4, s28, s4
	s_add_co_i32 s5, s5, s29
	s_mov_b32 s7, 0xc080604
	s_add_co_i32 s5, s4, s5
	s_mov_b32 s10, 0xf4f8fafc
	s_mov_b32 s11, 0x4040404
	s_branch .LBB73_12
.LBB73_11:                              ;   in Loop: Header=BB73_12 Depth=1
	s_wait_loadcnt 0x1
	v_and_b32_e32 v20, 0x7070707, v6
	v_ashrrev_i32_e32 v21, 4, v6
	v_lshrrev_b32_e32 v6, 1, v6
	v_add_nc_u32_e32 v15, 16, v15
	v_add_co_u32 v0, s4, 0x240, v0
	v_perm_b32 v22, s7, 0x3020100, v20
	v_and_b32_e32 v23, 0x7070707, v21
	v_perm_b32 v20, s10, 0xfdfeff00, v20
	v_lshrrev_b32_e32 v21, 1, v21
	v_and_or_b32 v6, v6, s11, 0x3020100
	s_wait_alu 0xf1ff
	v_add_co_ci_u32_e64 v1, null, 0, v1, s4
	v_perm_b32 v24, s7, 0x3020100, v23
	v_perm_b32 v23, s10, 0xfdfeff00, v23
	v_and_or_b32 v21, v21, s11, 0x3020100
	v_perm_b32 v6, v20, v22, v6
	v_and_b32_e32 v20, 0x7070707, v7
	v_ashrrev_i32_e32 v22, 4, v7
	s_delay_alu instid0(VALU_DEP_4) | instskip(NEXT) | instid1(VALU_DEP_4)
	v_perm_b32 v21, v23, v24, v21
	v_dot4_i32_iu8 v4, v6, v4, 0 neg_lo:[1,1,0]
	v_lshrrev_b32_e32 v6, 1, v7
	v_perm_b32 v7, s7, 0x3020100, v20
	v_and_b32_e32 v23, 0x7070707, v22
	v_perm_b32 v20, s10, 0xfdfeff00, v20
	v_dot4_i32_iu8 v2, v21, v2, v4 neg_lo:[1,1,0]
	s_wait_loadcnt 0x0
	v_and_b32_e32 v4, 0xff, v19
	v_lshrrev_b32_e32 v19, 1, v22
	v_and_or_b32 v6, v6, s11, 0x3020100
	v_perm_b32 v21, s7, 0x3020100, v23
	v_perm_b32 v22, s10, 0xfdfeff00, v23
	v_cmp_ne_u16_e32 vcc_lo, 0, v4
	v_lshlrev_b32_e32 v23, 23, v4
	v_and_or_b32 v19, v19, s11, 0x3020100
	v_perm_b32 v6, v20, v7, v6
	s_delay_alu instid0(VALU_DEP_3) | instskip(NEXT) | instid1(VALU_DEP_3)
	v_mul_f32_e32 v7, 0.5, v23
	v_perm_b32 v19, v22, v21, v19
	s_delay_alu instid0(VALU_DEP_3) | instskip(SKIP_1) | instid1(VALU_DEP_3)
	v_dot4_i32_iu8 v2, v6, v5, v2 neg_lo:[1,1,0]
	s_wait_alu 0xfffd
	v_cndmask_b32_e32 v4, 0x200000, v7, vcc_lo
	v_cmp_le_u32_e32 vcc_lo, s15, v15
	s_delay_alu instid0(VALU_DEP_3) | instskip(NEXT) | instid1(VALU_DEP_3)
	v_dot4_i32_iu8 v2, v19, v3, v2 neg_lo:[1,1,0]
	v_mul_f32_e32 v3, v4, v18
	s_or_b32 s13, vcc_lo, s13
	s_delay_alu instid0(VALU_DEP_2) | instskip(NEXT) | instid1(VALU_DEP_1)
	v_cvt_f32_i32_e32 v2, v2
	v_fmac_f32_e32 v14, v3, v2
	s_and_not1_b32 exec_lo, exec_lo, s13
	s_cbranch_execz .LBB73_14
.LBB73_12:                              ; =>This Inner Loop Header: Depth=1
	v_add_nc_u32_e32 v20, s5, v15
	v_add_co_u32 v2, vcc_lo, v0, v17
	s_wait_alu 0xfffd
	v_add_co_ci_u32_e64 v3, null, 0, v1, vcc_lo
	s_delay_alu instid0(VALU_DEP_3) | instskip(NEXT) | instid1(VALU_DEP_1)
	v_mad_co_i64_i32 v[18:19], null, v20, 17, s[8:9]
	v_add_co_u32 v6, vcc_lo, v18, v16
	s_wait_alu 0xfffd
	s_delay_alu instid0(VALU_DEP_2)
	v_add_co_ci_u32_e64 v7, null, 0, v19, vcc_lo
	s_clause 0x2
	global_load_b32 v21, v[0:1], off
	global_load_b64 v[4:5], v[2:3], off offset:4
	global_load_b64 v[2:3], v[2:3], off offset:20
	s_clause 0x1
	global_load_b64 v[6:7], v[6:7], off offset:1
	global_load_u8 v19, v[18:19], off
	s_and_not1_b32 vcc_lo, exec_lo, s14
	s_wait_loadcnt 0x4
	v_cvt_f32_f16_e32 v18, v21
	s_wait_alu 0xfffe
	s_cbranch_vccnz .LBB73_11
; %bb.13:                               ;   in Loop: Header=BB73_12 Depth=1
	v_mad_co_i64_i32 v[20:21], null, v20, 17, s[16:17]
	s_delay_alu instid0(VALU_DEP_1) | instskip(SKIP_1) | instid1(VALU_DEP_2)
	v_add_co_u32 v22, vcc_lo, v20, v16
	s_wait_alu 0xfffd
	v_add_co_ci_u32_e64 v23, null, 0, v21, vcc_lo
	s_clause 0x1
	global_load_b64 v[22:23], v[22:23], off offset:1
	global_load_u8 v20, v[20:21], off
	s_wait_loadcnt 0x1
	v_ashrrev_i32_e32 v21, 4, v22
	v_and_b32_e32 v24, 0x7070707, v22
	v_lshrrev_b32_e32 v22, 1, v22
	s_wait_loadcnt 0x0
	v_lshlrev_b32_e32 v27, 23, v20
	v_ashrrev_i32_e32 v25, 4, v23
	v_and_b32_e32 v29, 0x7070707, v21
	v_perm_b32 v28, s7, 0x3020100, v24
	v_perm_b32 v24, s10, 0xfdfeff00, v24
	v_lshrrev_b32_e32 v21, 1, v21
	v_and_or_b32 v22, v22, s11, 0x3020100
	v_and_b32_e32 v26, 0x7070707, v23
	v_lshrrev_b32_e32 v23, 1, v23
	v_perm_b32 v31, s7, 0x3020100, v29
	v_perm_b32 v29, s10, 0xfdfeff00, v29
	v_and_or_b32 v21, v21, s11, 0x3020100
	v_perm_b32 v22, v24, v28, v22
	v_perm_b32 v30, s7, 0x3020100, v26
	v_and_b32_e32 v24, 0x7070707, v25
	v_perm_b32 v26, s10, 0xfdfeff00, v26
	v_lshrrev_b32_e32 v25, 1, v25
	v_perm_b32 v21, v29, v31, v21
	v_dot4_i32_iu8 v22, v22, v4, 0 neg_lo:[1,1,0]
	v_and_or_b32 v23, v23, s11, 0x3020100
	v_perm_b32 v28, s7, 0x3020100, v24
	v_perm_b32 v24, s10, 0xfdfeff00, v24
	v_and_or_b32 v25, v25, s11, 0x3020100
	v_dot4_i32_iu8 v21, v21, v2, v22 neg_lo:[1,1,0]
	v_perm_b32 v22, v26, v30, v23
	v_cmp_ne_u32_e32 vcc_lo, 0, v20
	s_delay_alu instid0(VALU_DEP_4) | instskip(SKIP_1) | instid1(VALU_DEP_4)
	v_perm_b32 v23, v24, v28, v25
	v_mul_f32_e32 v24, 0.5, v27
	v_dot4_i32_iu8 v21, v22, v5, v21 neg_lo:[1,1,0]
	s_wait_alu 0xfffd
	s_delay_alu instid0(VALU_DEP_2) | instskip(NEXT) | instid1(VALU_DEP_2)
	v_cndmask_b32_e32 v20, 0x200000, v24, vcc_lo
	v_dot4_i32_iu8 v21, v23, v3, v21 neg_lo:[1,1,0]
	s_delay_alu instid0(VALU_DEP_2) | instskip(NEXT) | instid1(VALU_DEP_2)
	v_mul_f32_e32 v20, v20, v18
	v_cvt_f32_i32_e32 v21, v21
	s_delay_alu instid0(VALU_DEP_1)
	v_fmac_f32_e32 v13, v20, v21
	s_branch .LBB73_11
.LBB73_14:
	s_or_b32 exec_lo, exec_lo, s13
.LBB73_15:
	s_delay_alu instid0(SALU_CYCLE_1)
	s_or_b32 exec_lo, exec_lo, s18
	s_load_b32 s4, s[0:1], 0x30
	s_wait_loadcnt 0x0
	; wave barrier
	global_inv scope:SCOPE_SE
	s_mov_b32 s5, exec_lo
	v_cmpx_eq_u32_e32 0, v11
	s_cbranch_execz .LBB73_43
; %bb.16:
	v_mbcnt_lo_u32_b32 v1, -1, 0
	s_delay_alu instid0(VALU_DEP_1) | instskip(SKIP_2) | instid1(VALU_DEP_3)
	v_xor_b32_e32 v0, 16, v1
	v_xor_b32_e32 v3, 8, v1
	;; [unrolled: 1-line block ×3, first 2 shown]
	v_cmp_gt_i32_e32 vcc_lo, 32, v0
	s_wait_alu 0xfffd
	v_cndmask_b32_e32 v0, v1, v0, vcc_lo
	v_cmp_gt_i32_e32 vcc_lo, 32, v3
	s_wait_alu 0xfffd
	v_cndmask_b32_e32 v3, v1, v3, vcc_lo
	v_cmp_gt_i32_e32 vcc_lo, 32, v4
	s_delay_alu instid0(VALU_DEP_2)
	v_lshlrev_b32_e32 v3, 2, v3
	v_lshlrev_b32_e32 v0, 2, v0
	s_wait_alu 0xfffd
	v_cndmask_b32_e32 v4, v1, v4, vcc_lo
	ds_bpermute_b32 v2, v0, v14
	s_wait_dscnt 0x0
	v_add_f32_e32 v2, v14, v2
	ds_bpermute_b32 v5, v3, v2
	s_wait_dscnt 0x0
	v_add_f32_e32 v2, v2, v5
	v_xor_b32_e32 v5, 2, v1
	s_delay_alu instid0(VALU_DEP_1) | instskip(SKIP_2) | instid1(VALU_DEP_1)
	v_cmp_gt_i32_e32 vcc_lo, 32, v5
	s_wait_alu 0xfffd
	v_cndmask_b32_e32 v5, v1, v5, vcc_lo
	v_lshlrev_b32_e32 v5, 2, v5
	v_lshlrev_b32_e32 v4, 2, v4
	ds_bpermute_b32 v6, v4, v2
	s_wait_dscnt 0x0
	v_add_f32_e32 v2, v2, v6
	v_xor_b32_e32 v6, 1, v1
	ds_bpermute_b32 v7, v5, v2
	v_cmp_gt_i32_e32 vcc_lo, 32, v6
	s_wait_alu 0xfffd
	v_cndmask_b32_e32 v1, v1, v6, vcc_lo
	v_cmp_ne_u32_e32 vcc_lo, 1, v12
	s_delay_alu instid0(VALU_DEP_2)
	v_lshlrev_b32_e32 v6, 2, v1
	s_wait_dscnt 0x0
	v_add_f32_e32 v1, v2, v7
	ds_bpermute_b32 v2, v6, v1
	s_cbranch_vccnz .LBB73_18
; %bb.17:
	ds_bpermute_b32 v0, v0, v13
	s_wait_dscnt 0x0
	v_add_f32_e32 v0, v13, v0
	ds_bpermute_b32 v3, v3, v0
	s_wait_dscnt 0x0
	v_add_f32_e32 v0, v0, v3
	;; [unrolled: 3-line block ×5, first 2 shown]
.LBB73_18:
	v_cmp_eq_u32_e32 vcc_lo, 0, v8
	s_and_b32 exec_lo, exec_lo, vcc_lo
	s_cbranch_execz .LBB73_43
; %bb.19:
	s_wait_dscnt 0x0
	v_add_f32_e32 v0, v1, v2
	v_cmp_ne_u32_e32 vcc_lo, 1, v12
	s_delay_alu instid0(VALU_DEP_2) | instskip(NEXT) | instid1(VALU_DEP_1)
	v_add_f32_e32 v1, v10, v0
	v_cndmask_b32_e64 v0, v0, v1, s2
	s_cbranch_vccnz .LBB73_42
; %bb.20:
	v_add_f32_e32 v1, v9, v13
	s_wait_kmcnt 0x0
	s_cmp_lt_i32 s4, 2
	s_mov_b32 s2, 0
	s_delay_alu instid0(VALU_DEP_1)
	v_cndmask_b32_e64 v1, v13, v1, s3
	s_cbranch_scc1 .LBB73_25
; %bb.21:
	s_cmp_gt_i32 s4, 2
	s_cbranch_scc0 .LBB73_26
; %bb.22:
	s_cmp_eq_u32 s4, 3
	s_cbranch_scc0 .LBB73_27
; %bb.23:
	v_max_num_f32_e32 v2, v1, v1
	s_mov_b32 s3, 0xc0e00000
	s_delay_alu instid0(VALU_DEP_1) | instskip(NEXT) | instid1(VALU_DEP_1)
	v_min_num_f32_e32 v2, 0x40e00000, v2
	v_mul_f32_e32 v3, 0xbfd9db23, v2
	s_delay_alu instid0(VALU_DEP_1) | instskip(NEXT) | instid1(VALU_DEP_1)
	v_mul_f32_e32 v4, 0x3fb8aa3b, v3
	v_fma_f32 v5, 0x3fb8aa3b, v3, -v4
	v_rndne_f32_e32 v6, v4
	s_delay_alu instid0(VALU_DEP_1) | instskip(NEXT) | instid1(VALU_DEP_1)
	v_dual_fmamk_f32 v5, v3, 0x32a5705f, v5 :: v_dual_sub_f32 v4, v4, v6
	v_add_f32_e32 v4, v4, v5
	v_cvt_i32_f32_e32 v5, v6
	v_cmp_ngt_f32_e32 vcc_lo, 0xc2ce8ed0, v3
	s_delay_alu instid0(VALU_DEP_3) | instskip(NEXT) | instid1(TRANS32_DEP_1)
	v_exp_f32_e32 v4, v4
	v_ldexp_f32 v4, v4, v5
	s_wait_alu 0xfffd
	s_delay_alu instid0(VALU_DEP_1) | instskip(SKIP_2) | instid1(VALU_DEP_2)
	v_cndmask_b32_e32 v4, 0, v4, vcc_lo
	v_cmp_nlt_f32_e32 vcc_lo, 0x42b17218, v3
	s_wait_alu 0xfffd
	v_cndmask_b32_e32 v3, 0x7f800000, v4, vcc_lo
	s_delay_alu instid0(VALU_DEP_1) | instskip(NEXT) | instid1(VALU_DEP_1)
	v_add_f32_e32 v3, 1.0, v3
	v_div_scale_f32 v4, null, v3, v3, v2
	v_div_scale_f32 v7, vcc_lo, v2, v3, v2
	s_delay_alu instid0(VALU_DEP_2) | instskip(NEXT) | instid1(TRANS32_DEP_1)
	v_rcp_f32_e32 v5, v4
	v_fma_f32 v6, -v4, v5, 1.0
	s_delay_alu instid0(VALU_DEP_1) | instskip(NEXT) | instid1(VALU_DEP_1)
	v_fmac_f32_e32 v5, v6, v5
	v_mul_f32_e32 v6, v7, v5
	s_delay_alu instid0(VALU_DEP_1) | instskip(NEXT) | instid1(VALU_DEP_1)
	v_fma_f32 v9, -v4, v6, v7
	v_fmac_f32_e32 v6, v9, v5
	s_delay_alu instid0(VALU_DEP_1) | instskip(SKIP_2) | instid1(VALU_DEP_2)
	v_fma_f32 v4, -v4, v6, v7
	v_max_num_f32_e32 v7, v0, v0
	s_wait_alu 0xfffd
	v_div_fmas_f32 v4, v4, v5, v6
	s_wait_alu 0xfffe
	s_delay_alu instid0(VALU_DEP_2) | instskip(SKIP_1) | instid1(VALU_DEP_2)
	v_minmax_num_f32 v5, v7, 0x40e00000, s3
	s_mov_b32 s3, 0
	v_div_fixup_f32 v2, v4, v3, v2
	s_delay_alu instid0(VALU_DEP_2) | instskip(NEXT) | instid1(VALU_DEP_1)
	v_add_f32_e32 v3, 1.0, v5
	v_mul_f32_e32 v2, v3, v2
	s_branch .LBB73_28
.LBB73_24:
                                        ; implicit-def: $sgpr28
	s_clause 0x1
	s_load_b32 s29, s[0:1], 0x50
	s_load_b32 s30, s[0:1], 0x78
	s_branch .LBB73_2
.LBB73_25:
	s_mov_b32 s3, 0
                                        ; implicit-def: $vgpr2
	s_cbranch_execnz .LBB73_32
	s_branch .LBB73_33
.LBB73_26:
	s_mov_b32 s5, -1
	s_mov_b32 s3, 0
                                        ; implicit-def: $vgpr2
	s_branch .LBB73_29
.LBB73_27:
	s_mov_b32 s3, -1
                                        ; implicit-def: $vgpr2
.LBB73_28:
	s_mov_b32 s5, 0
.LBB73_29:
	s_wait_alu 0xfffe
	s_and_b32 vcc_lo, exec_lo, s5
	s_wait_alu 0xfffe
	s_cbranch_vccz .LBB73_31
; %bb.30:
	v_mul_f32_e32 v2, 0xbfb8aa3b, v1
	v_cmp_nlt_f32_e32 vcc_lo, 0x42ce8ed0, v1
	s_delay_alu instid0(VALU_DEP_2) | instskip(SKIP_1) | instid1(VALU_DEP_2)
	v_rndne_f32_e32 v3, v2
	v_fma_f32 v4, 0xbfb8aa3b, v1, -v2
	v_sub_f32_e32 v2, v2, v3
	s_delay_alu instid0(VALU_DEP_2) | instskip(SKIP_1) | instid1(VALU_DEP_2)
	v_fmamk_f32 v4, v1, 0xb2a5705f, v4
	v_cvt_i32_f32_e32 v3, v3
	v_add_f32_e32 v2, v2, v4
	s_delay_alu instid0(VALU_DEP_1) | instskip(NEXT) | instid1(TRANS32_DEP_1)
	v_exp_f32_e32 v2, v2
	v_ldexp_f32 v2, v2, v3
	s_wait_alu 0xfffd
	s_delay_alu instid0(VALU_DEP_1) | instskip(SKIP_2) | instid1(VALU_DEP_2)
	v_cndmask_b32_e32 v2, 0, v2, vcc_lo
	v_cmp_ngt_f32_e32 vcc_lo, 0xc2b17218, v1
	s_wait_alu 0xfffd
	v_cndmask_b32_e32 v2, 0x7f800000, v2, vcc_lo
	s_delay_alu instid0(VALU_DEP_1) | instskip(NEXT) | instid1(VALU_DEP_1)
	v_add_f32_e32 v2, 1.0, v2
	v_div_scale_f32 v3, null, v2, v2, v1
	s_delay_alu instid0(VALU_DEP_1) | instskip(NEXT) | instid1(TRANS32_DEP_1)
	v_rcp_f32_e32 v4, v3
	v_fma_f32 v5, -v3, v4, 1.0
	s_delay_alu instid0(VALU_DEP_1) | instskip(SKIP_1) | instid1(VALU_DEP_1)
	v_fmac_f32_e32 v4, v5, v4
	v_div_scale_f32 v5, vcc_lo, v1, v2, v1
	v_mul_f32_e32 v6, v5, v4
	s_delay_alu instid0(VALU_DEP_1) | instskip(NEXT) | instid1(VALU_DEP_1)
	v_fma_f32 v7, -v3, v6, v5
	v_fmac_f32_e32 v6, v7, v4
	s_delay_alu instid0(VALU_DEP_1) | instskip(SKIP_1) | instid1(VALU_DEP_1)
	v_fma_f32 v3, -v3, v6, v5
	s_wait_alu 0xfffd
	v_div_fmas_f32 v3, v3, v4, v6
	s_delay_alu instid0(VALU_DEP_1) | instskip(NEXT) | instid1(VALU_DEP_1)
	v_div_fixup_f32 v2, v3, v2, v1
	v_mul_f32_e32 v2, v0, v2
.LBB73_31:
	s_branch .LBB73_33
.LBB73_32:
	s_cmp_lg_u32 s4, 1
	s_mov_b32 s2, -1
	s_cselect_b32 s3, -1, 0
.LBB73_33:
	s_wait_alu 0xfffe
	s_and_not1_b32 vcc_lo, exec_lo, s3
	s_wait_alu 0xfffe
	s_cbranch_vccz .LBB73_35
; %bb.34:
	s_and_not1_b32 vcc_lo, exec_lo, s2
	s_wait_alu 0xfffe
	s_cbranch_vccz .LBB73_36
	s_branch .LBB73_41
.LBB73_35:
	v_mul_f32_e32 v2, v1, v0
	s_cbranch_execnz .LBB73_41
.LBB73_36:
	v_mul_f32_e32 v2, 0x3d372713, v1
	v_mul_f32_e32 v3, 0x3f4c422a, v1
	s_delay_alu instid0(VALU_DEP_2) | instskip(NEXT) | instid1(VALU_DEP_1)
	v_fma_f32 v2, v1, v2, 1.0
	v_mul_f32_e32 v2, v3, v2
                                        ; implicit-def: $vgpr3
	s_delay_alu instid0(VALU_DEP_1)
	v_cmp_ngt_f32_e64 s2, 0x3f200000, |v2|
	s_and_saveexec_b32 s3, s2
	s_wait_alu 0xfffe
	s_xor_b32 s2, exec_lo, s3
	s_cbranch_execz .LBB73_38
; %bb.37:
	v_add_f32_e64 v3, |v2|, |v2|
	s_delay_alu instid0(VALU_DEP_1) | instskip(SKIP_1) | instid1(VALU_DEP_2)
	v_mul_f32_e32 v4, 0x3fb8aa3b, v3
	v_cmp_ngt_f32_e32 vcc_lo, 0xc2ce8ed0, v3
	v_rndne_f32_e32 v5, v4
	v_fma_f32 v6, 0x3fb8aa3b, v3, -v4
	s_delay_alu instid0(VALU_DEP_2) | instskip(NEXT) | instid1(VALU_DEP_2)
	v_sub_f32_e32 v4, v4, v5
	v_fmamk_f32 v6, v3, 0x32a5705f, v6
	v_cvt_i32_f32_e32 v5, v5
	s_delay_alu instid0(VALU_DEP_2) | instskip(NEXT) | instid1(VALU_DEP_1)
	v_add_f32_e32 v4, v4, v6
	v_exp_f32_e32 v4, v4
	s_delay_alu instid0(TRANS32_DEP_1) | instskip(SKIP_1) | instid1(VALU_DEP_1)
	v_ldexp_f32 v4, v4, v5
	s_wait_alu 0xfffd
	v_cndmask_b32_e32 v4, 0, v4, vcc_lo
	v_cmp_nlt_f32_e32 vcc_lo, 0x42b17218, v3
	s_wait_alu 0xfffd
	s_delay_alu instid0(VALU_DEP_2) | instskip(NEXT) | instid1(VALU_DEP_1)
	v_cndmask_b32_e32 v3, 0x7f800000, v4, vcc_lo
	v_add_f32_e32 v3, 1.0, v3
	s_delay_alu instid0(VALU_DEP_1) | instskip(NEXT) | instid1(TRANS32_DEP_1)
	v_rcp_f32_e32 v3, v3
	v_fma_f32 v3, v3, -2.0, 1.0
.LBB73_38:
	s_wait_alu 0xfffe
	s_and_not1_saveexec_b32 s2, s2
	s_cbranch_execz .LBB73_40
; %bb.39:
	v_mul_f32_e32 v3, v2, v2
	s_mov_b32 s3, 0xbbbac73d
	s_wait_alu 0xfffe
	s_delay_alu instid0(VALU_DEP_1) | instskip(NEXT) | instid1(VALU_DEP_1)
	v_fmaak_f32 v4, s3, v3, 0x3ca908c9
	v_fmaak_f32 v4, v3, v4, 0xbd5c1c4e
	s_delay_alu instid0(VALU_DEP_1) | instskip(NEXT) | instid1(VALU_DEP_1)
	v_fmaak_f32 v4, v3, v4, 0x3e088382
	v_fmaak_f32 v4, v3, v4, 0xbeaaaa99
	s_delay_alu instid0(VALU_DEP_1) | instskip(NEXT) | instid1(VALU_DEP_1)
	v_mul_f32_e64 v4, |v2|, v4
	v_fma_f32 v3, v3, v4, |v2|
.LBB73_40:
	s_wait_alu 0xfffe
	s_or_b32 exec_lo, exec_lo, s2
	s_delay_alu instid0(VALU_DEP_1) | instskip(NEXT) | instid1(VALU_DEP_1)
	v_bfi_b32 v2, 0x7fffffff, v3, v2
	v_dual_mul_f32 v1, 0.5, v1 :: v_dual_add_f32 v2, 1.0, v2
	s_delay_alu instid0(VALU_DEP_1) | instskip(NEXT) | instid1(VALU_DEP_1)
	v_mul_f32_e32 v1, v1, v2
	v_mul_f32_e32 v2, v0, v1
.LBB73_41:
	s_delay_alu instid0(VALU_DEP_1)
	v_mov_b32_e32 v0, v2
.LBB73_42:
	s_load_b64 s[0:1], s[0:1], 0x38
	s_mul_i32 s2, s6, s27
	s_wait_kmcnt 0x0
	s_mul_i32 s3, s26, s21
	s_wait_alu 0xfffe
	s_add_co_i32 s2, s2, ttmp9
	v_lshlrev_b32_e32 v1, 2, v8
	s_wait_alu 0xfffe
	s_add_co_i32 s2, s2, s3
	s_mov_b32 s3, 0
	s_wait_alu 0xfffe
	s_lshl_b64 s[2:3], s[2:3], 2
	s_wait_alu 0xfffe
	s_add_nc_u64 s[0:1], s[0:1], s[2:3]
	global_store_b32 v1, v0, s[0:1]
.LBB73_43:
	s_endpgm
	.section	.rodata,"a",@progbits
	.p2align	6, 0x0
	.amdhsa_kernel _ZL13mul_mat_vec_qIL9ggml_type39ELi1ELb1ELb1EEvPKvS2_PKi31ggml_cuda_mm_fusion_args_devicePfj15HIP_vector_typeIjLj3EEjjjS8_jjjS8_jjjj
		.amdhsa_group_segment_fixed_size 0
		.amdhsa_private_segment_fixed_size 0
		.amdhsa_kernarg_size 144
		.amdhsa_user_sgpr_count 2
		.amdhsa_user_sgpr_dispatch_ptr 0
		.amdhsa_user_sgpr_queue_ptr 0
		.amdhsa_user_sgpr_kernarg_segment_ptr 1
		.amdhsa_user_sgpr_dispatch_id 0
		.amdhsa_user_sgpr_private_segment_size 0
		.amdhsa_wavefront_size32 1
		.amdhsa_uses_dynamic_stack 0
		.amdhsa_enable_private_segment 0
		.amdhsa_system_sgpr_workgroup_id_x 1
		.amdhsa_system_sgpr_workgroup_id_y 1
		.amdhsa_system_sgpr_workgroup_id_z 1
		.amdhsa_system_sgpr_workgroup_info 0
		.amdhsa_system_vgpr_workitem_id 1
		.amdhsa_next_free_vgpr 32
		.amdhsa_next_free_sgpr 38
		.amdhsa_reserve_vcc 1
		.amdhsa_float_round_mode_32 0
		.amdhsa_float_round_mode_16_64 0
		.amdhsa_float_denorm_mode_32 3
		.amdhsa_float_denorm_mode_16_64 3
		.amdhsa_fp16_overflow 0
		.amdhsa_workgroup_processor_mode 1
		.amdhsa_memory_ordered 1
		.amdhsa_forward_progress 1
		.amdhsa_inst_pref_size 24
		.amdhsa_round_robin_scheduling 0
		.amdhsa_exception_fp_ieee_invalid_op 0
		.amdhsa_exception_fp_denorm_src 0
		.amdhsa_exception_fp_ieee_div_zero 0
		.amdhsa_exception_fp_ieee_overflow 0
		.amdhsa_exception_fp_ieee_underflow 0
		.amdhsa_exception_fp_ieee_inexact 0
		.amdhsa_exception_int_div_zero 0
	.end_amdhsa_kernel
	.section	.text._ZL13mul_mat_vec_qIL9ggml_type39ELi1ELb1ELb1EEvPKvS2_PKi31ggml_cuda_mm_fusion_args_devicePfj15HIP_vector_typeIjLj3EEjjjS8_jjjS8_jjjj,"axG",@progbits,_ZL13mul_mat_vec_qIL9ggml_type39ELi1ELb1ELb1EEvPKvS2_PKi31ggml_cuda_mm_fusion_args_devicePfj15HIP_vector_typeIjLj3EEjjjS8_jjjS8_jjjj,comdat
.Lfunc_end73:
	.size	_ZL13mul_mat_vec_qIL9ggml_type39ELi1ELb1ELb1EEvPKvS2_PKi31ggml_cuda_mm_fusion_args_devicePfj15HIP_vector_typeIjLj3EEjjjS8_jjjS8_jjjj, .Lfunc_end73-_ZL13mul_mat_vec_qIL9ggml_type39ELi1ELb1ELb1EEvPKvS2_PKi31ggml_cuda_mm_fusion_args_devicePfj15HIP_vector_typeIjLj3EEjjjS8_jjjS8_jjjj
                                        ; -- End function
	.set _ZL13mul_mat_vec_qIL9ggml_type39ELi1ELb1ELb1EEvPKvS2_PKi31ggml_cuda_mm_fusion_args_devicePfj15HIP_vector_typeIjLj3EEjjjS8_jjjS8_jjjj.num_vgpr, 32
	.set _ZL13mul_mat_vec_qIL9ggml_type39ELi1ELb1ELb1EEvPKvS2_PKi31ggml_cuda_mm_fusion_args_devicePfj15HIP_vector_typeIjLj3EEjjjS8_jjjS8_jjjj.num_agpr, 0
	.set _ZL13mul_mat_vec_qIL9ggml_type39ELi1ELb1ELb1EEvPKvS2_PKi31ggml_cuda_mm_fusion_args_devicePfj15HIP_vector_typeIjLj3EEjjjS8_jjjS8_jjjj.numbered_sgpr, 38
	.set _ZL13mul_mat_vec_qIL9ggml_type39ELi1ELb1ELb1EEvPKvS2_PKi31ggml_cuda_mm_fusion_args_devicePfj15HIP_vector_typeIjLj3EEjjjS8_jjjS8_jjjj.num_named_barrier, 0
	.set _ZL13mul_mat_vec_qIL9ggml_type39ELi1ELb1ELb1EEvPKvS2_PKi31ggml_cuda_mm_fusion_args_devicePfj15HIP_vector_typeIjLj3EEjjjS8_jjjS8_jjjj.private_seg_size, 0
	.set _ZL13mul_mat_vec_qIL9ggml_type39ELi1ELb1ELb1EEvPKvS2_PKi31ggml_cuda_mm_fusion_args_devicePfj15HIP_vector_typeIjLj3EEjjjS8_jjjS8_jjjj.uses_vcc, 1
	.set _ZL13mul_mat_vec_qIL9ggml_type39ELi1ELb1ELb1EEvPKvS2_PKi31ggml_cuda_mm_fusion_args_devicePfj15HIP_vector_typeIjLj3EEjjjS8_jjjS8_jjjj.uses_flat_scratch, 0
	.set _ZL13mul_mat_vec_qIL9ggml_type39ELi1ELb1ELb1EEvPKvS2_PKi31ggml_cuda_mm_fusion_args_devicePfj15HIP_vector_typeIjLj3EEjjjS8_jjjS8_jjjj.has_dyn_sized_stack, 0
	.set _ZL13mul_mat_vec_qIL9ggml_type39ELi1ELb1ELb1EEvPKvS2_PKi31ggml_cuda_mm_fusion_args_devicePfj15HIP_vector_typeIjLj3EEjjjS8_jjjS8_jjjj.has_recursion, 0
	.set _ZL13mul_mat_vec_qIL9ggml_type39ELi1ELb1ELb1EEvPKvS2_PKi31ggml_cuda_mm_fusion_args_devicePfj15HIP_vector_typeIjLj3EEjjjS8_jjjS8_jjjj.has_indirect_call, 0
	.section	.AMDGPU.csdata,"",@progbits
; Kernel info:
; codeLenInByte = 3040
; TotalNumSgprs: 40
; NumVgprs: 32
; ScratchSize: 0
; MemoryBound: 0
; FloatMode: 240
; IeeeMode: 1
; LDSByteSize: 0 bytes/workgroup (compile time only)
; SGPRBlocks: 0
; VGPRBlocks: 3
; NumSGPRsForWavesPerEU: 40
; NumVGPRsForWavesPerEU: 32
; Occupancy: 16
; WaveLimiterHint : 0
; COMPUTE_PGM_RSRC2:SCRATCH_EN: 0
; COMPUTE_PGM_RSRC2:USER_SGPR: 2
; COMPUTE_PGM_RSRC2:TRAP_HANDLER: 0
; COMPUTE_PGM_RSRC2:TGID_X_EN: 1
; COMPUTE_PGM_RSRC2:TGID_Y_EN: 1
; COMPUTE_PGM_RSRC2:TGID_Z_EN: 1
; COMPUTE_PGM_RSRC2:TIDIG_COMP_CNT: 1
	.section	.text._ZL13mul_mat_vec_qIL9ggml_type39ELi1ELb0ELb1EEvPKvS2_PKi31ggml_cuda_mm_fusion_args_devicePfj15HIP_vector_typeIjLj3EEjjjS8_jjjS8_jjjj,"axG",@progbits,_ZL13mul_mat_vec_qIL9ggml_type39ELi1ELb0ELb1EEvPKvS2_PKi31ggml_cuda_mm_fusion_args_devicePfj15HIP_vector_typeIjLj3EEjjjS8_jjjS8_jjjj,comdat
	.globl	_ZL13mul_mat_vec_qIL9ggml_type39ELi1ELb0ELb1EEvPKvS2_PKi31ggml_cuda_mm_fusion_args_devicePfj15HIP_vector_typeIjLj3EEjjjS8_jjjS8_jjjj ; -- Begin function _ZL13mul_mat_vec_qIL9ggml_type39ELi1ELb0ELb1EEvPKvS2_PKi31ggml_cuda_mm_fusion_args_devicePfj15HIP_vector_typeIjLj3EEjjjS8_jjjS8_jjjj
	.p2align	8
	.type	_ZL13mul_mat_vec_qIL9ggml_type39ELi1ELb0ELb1EEvPKvS2_PKi31ggml_cuda_mm_fusion_args_devicePfj15HIP_vector_typeIjLj3EEjjjS8_jjjS8_jjjj,@function
_ZL13mul_mat_vec_qIL9ggml_type39ELi1ELb0ELb1EEvPKvS2_PKi31ggml_cuda_mm_fusion_args_devicePfj15HIP_vector_typeIjLj3EEjjjS8_jjjS8_jjjj: ; @_ZL13mul_mat_vec_qIL9ggml_type39ELi1ELb0ELb1EEvPKvS2_PKi31ggml_cuda_mm_fusion_args_devicePfj15HIP_vector_typeIjLj3EEjjjS8_jjjS8_jjjj
; %bb.0:
	s_clause 0x1
	s_load_b64 s[2:3], s[0:1], 0x10
	s_load_b128 s[8:11], s[0:1], 0x40
	s_and_b32 s15, ttmp7, 0xffff
	s_wait_kmcnt 0x0
	s_cmp_lg_u64 s[2:3], 0
	s_cselect_b32 s12, -1, 0
	s_cmp_eq_u64 s[2:3], 0
	s_cbranch_scc1 .LBB74_13
; %bb.1:
	s_lshl_b32 s4, s15, 2
	s_load_b32 s19, s[2:3], s4 offset:0x0
	s_clause 0x1
	s_load_b128 s[4:7], s[0:1], 0x68
	s_load_b32 s20, s[0:1], 0x50
	s_cbranch_execnz .LBB74_3
.LBB74_2:
	s_load_b64 s[2:3], s[0:1], 0x5c
	s_wait_kmcnt 0x0
	s_mul_hi_u32 s2, s2, s15
	s_delay_alu instid0(SALU_CYCLE_1) | instskip(NEXT) | instid1(SALU_CYCLE_1)
	s_add_co_i32 s2, s15, s2
	s_lshr_b32 s19, s2, s3
.LBB74_3:
	s_load_b32 s21, s[0:1], 0x78
	s_and_not1_b32 vcc_lo, exec_lo, s12
	s_mov_b32 s22, s15
	s_cbranch_vccnz .LBB74_5
; %bb.4:
	s_mul_hi_u32 s2, s9, s15
	s_delay_alu instid0(SALU_CYCLE_1) | instskip(NEXT) | instid1(SALU_CYCLE_1)
	s_add_co_i32 s2, s15, s2
	s_lshr_b32 s2, s2, s10
	s_delay_alu instid0(SALU_CYCLE_1) | instskip(NEXT) | instid1(SALU_CYCLE_1)
	s_mul_i32 s2, s2, s11
	s_sub_co_i32 s22, s15, s2
.LBB74_5:
	v_bfe_u32 v3, v0, 10, 10
	v_dual_mov_b32 v5, 0 :: v_dual_and_b32 v2, 0x3ff, v0
	s_load_b96 s[12:14], s[0:1], 0x80
	s_lshr_b32 s18, s8, 5
	s_delay_alu instid0(VALU_DEP_2) | instskip(SKIP_2) | instid1(VALU_DEP_1)
	v_lshlrev_b32_e32 v0, 5, v3
	s_lshr_b32 s16, ttmp7, 16
	s_mov_b32 s17, exec_lo
	v_add_nc_u16 v1, v0, v2
	s_delay_alu instid0(VALU_DEP_1) | instskip(NEXT) | instid1(VALU_DEP_1)
	v_lshrrev_b16 v1, 1, v1
	v_and_b32_e32 v4, 0xffff, v1
	s_delay_alu instid0(VALU_DEP_1)
	v_cmpx_gt_u32_e64 s18, v4
	s_cbranch_execz .LBB74_9
; %bb.6:
	s_load_b128 s[8:11], s[0:1], 0x0
	s_wait_kmcnt 0x0
	s_mul_hi_u32 s7, s7, s16
	v_or_b32_e32 v0, v0, v2
	s_mul_i32 s22, s22, s5
	s_add_co_i32 s5, s16, s7
	s_mul_i32 s2, s13, s16
	s_mov_b32 s3, 0
	s_lshr_b32 s5, s5, s21
	s_mov_b32 s23, s3
	s_mul_i32 s20, s20, ttmp9
	s_mul_i32 s5, s5, s12
	s_mul_u64 s[12:13], s[2:3], 36
	v_lshrrev_b32_e32 v0, 1, v0
	s_add_co_i32 s5, s5, s20
	s_mul_u64 s[20:21], s[22:23], 36
	v_lshlrev_b32_e32 v5, 3, v2
	v_and_b32_e32 v7, 1, v2
	s_mul_i32 s4, s19, s4
	s_mov_b32 s7, 0xf4f8fafc
	s_add_co_i32 s4, s4, s5
	s_add_nc_u64 s[10:11], s[10:11], s[12:13]
	v_dual_mov_b32 v5, 0 :: v_dual_and_b32 v6, 8, v5
	s_add_nc_u64 s[10:11], s[10:11], s[20:21]
	v_lshlrev_b32_e32 v7, 3, v7
	v_mad_co_u64_u32 v[0:1], null, v0, 36, s[10:11]
	s_mov_b32 s5, 0xc080604
	s_mov_b32 s10, 0x4040404
.LBB74_7:                               ; =>This Inner Loop Header: Depth=1
	v_add_nc_u32_e32 v10, s4, v4
	v_add_co_u32 v8, vcc_lo, v0, v7
	s_wait_alu 0xfffd
	v_add_co_ci_u32_e64 v9, null, 0, v1, vcc_lo
	s_delay_alu instid0(VALU_DEP_3)
	v_mad_co_i64_i32 v[10:11], null, v10, 17, s[8:9]
	s_clause 0x1
	global_load_b64 v[12:13], v[8:9], off offset:4
	global_load_b64 v[8:9], v[8:9], off offset:20
	v_add_nc_u32_e32 v4, 16, v4
	v_add_co_u32 v14, vcc_lo, v10, v6
	s_wait_alu 0xfffd
	v_add_co_ci_u32_e64 v15, null, 0, v11, vcc_lo
	s_delay_alu instid0(VALU_DEP_3)
	v_cmp_le_u32_e64 s2, s18, v4
	s_clause 0x1
	global_load_b64 v[14:15], v[14:15], off offset:1
	global_load_u8 v10, v[10:11], off
	global_load_b32 v11, v[0:1], off
	s_or_b32 s3, s2, s3
	s_wait_loadcnt 0x2
	v_ashrrev_i32_e32 v17, 4, v14
	v_and_b32_e32 v18, 0x7070707, v14
	v_lshrrev_b32_e32 v14, 1, v14
	v_ashrrev_i32_e32 v19, 4, v15
	v_and_b32_e32 v20, 0x7070707, v15
	v_and_b32_e32 v22, 0x7070707, v17
	v_perm_b32 v21, s5, 0x3020100, v18
	v_perm_b32 v18, s7, 0xfdfeff00, v18
	s_wait_alu 0xfffe
	v_and_or_b32 v14, v14, s10, 0x3020100
	v_lshrrev_b32_e32 v17, 1, v17
	v_lshrrev_b32_e32 v15, 1, v15
	v_perm_b32 v25, s5, 0x3020100, v22
	v_perm_b32 v22, s7, 0xfdfeff00, v22
	;; [unrolled: 1-line block ×3, first 2 shown]
	v_and_or_b32 v17, v17, s10, 0x3020100
	v_perm_b32 v23, s5, 0x3020100, v20
	v_and_b32_e32 v24, 0x7070707, v19
	v_perm_b32 v20, s7, 0xfdfeff00, v20
	v_and_or_b32 v15, v15, s10, 0x3020100
	v_lshrrev_b32_e32 v18, 1, v19
	v_perm_b32 v17, v22, v25, v17
	v_dot4_i32_iu8 v12, v14, v12, 0 neg_lo:[1,1,0]
	v_perm_b32 v19, s5, 0x3020100, v24
	v_perm_b32 v14, s7, 0xfdfeff00, v24
	;; [unrolled: 1-line block ×3, first 2 shown]
	v_and_or_b32 v18, v18, s10, 0x3020100
	v_dot4_i32_iu8 v8, v17, v8, v12 neg_lo:[1,1,0]
	s_wait_loadcnt 0x0
	v_cvt_f32_f16_e32 v11, v11
	v_lshlrev_b32_e32 v16, 23, v10
	v_cmp_ne_u32_e32 vcc_lo, 0, v10
	v_perm_b32 v14, v14, v19, v18
	v_dot4_i32_iu8 v8, v15, v13, v8 neg_lo:[1,1,0]
	s_delay_alu instid0(VALU_DEP_4) | instskip(NEXT) | instid1(VALU_DEP_2)
	v_mul_f32_e32 v12, 0.5, v16
	v_dot4_i32_iu8 v8, v14, v9, v8 neg_lo:[1,1,0]
	s_wait_alu 0xfffd
	s_delay_alu instid0(VALU_DEP_2) | instskip(SKIP_1) | instid1(VALU_DEP_3)
	v_cndmask_b32_e32 v10, 0x200000, v12, vcc_lo
	v_add_co_u32 v0, vcc_lo, 0x240, v0
	v_cvt_f32_i32_e32 v8, v8
	s_wait_alu 0xfffd
	v_add_co_ci_u32_e64 v1, null, 0, v1, vcc_lo
	v_mul_f32_e32 v9, v10, v11
	s_delay_alu instid0(VALU_DEP_1)
	v_fmac_f32_e32 v5, v9, v8
	s_and_not1_b32 exec_lo, exec_lo, s3
	s_cbranch_execnz .LBB74_7
; %bb.8:
	s_or_b32 exec_lo, exec_lo, s3
.LBB74_9:
	s_delay_alu instid0(SALU_CYCLE_1)
	s_or_b32 exec_lo, exec_lo, s17
	; wave barrier
	global_inv scope:SCOPE_SE
	s_mov_b32 s2, exec_lo
	v_cmpx_eq_u32_e32 0, v3
	s_cbranch_execz .LBB74_12
; %bb.10:
	v_mbcnt_lo_u32_b32 v0, -1, 0
	s_delay_alu instid0(VALU_DEP_1) | instskip(SKIP_2) | instid1(VALU_DEP_3)
	v_xor_b32_e32 v1, 16, v0
	v_xor_b32_e32 v3, 8, v0
	;; [unrolled: 1-line block ×3, first 2 shown]
	v_cmp_gt_i32_e32 vcc_lo, 32, v1
	s_wait_alu 0xfffd
	v_cndmask_b32_e32 v1, v0, v1, vcc_lo
	v_cmp_gt_i32_e32 vcc_lo, 32, v3
	s_wait_alu 0xfffd
	v_cndmask_b32_e32 v3, v0, v3, vcc_lo
	v_cmp_gt_i32_e32 vcc_lo, 32, v4
	s_wait_alu 0xfffd
	s_delay_alu instid0(VALU_DEP_2) | instskip(NEXT) | instid1(VALU_DEP_1)
	v_dual_cndmask_b32 v4, v0, v4 :: v_dual_lshlrev_b32 v3, 2, v3
	v_lshlrev_b32_e32 v4, 2, v4
	v_lshlrev_b32_e32 v1, 2, v1
	ds_bpermute_b32 v1, v1, v5
	s_wait_dscnt 0x0
	v_add_f32_e32 v1, v5, v1
	ds_bpermute_b32 v3, v3, v1
	s_wait_dscnt 0x0
	v_add_f32_e32 v1, v1, v3
	ds_bpermute_b32 v3, v4, v1
	v_xor_b32_e32 v4, 2, v0
	s_delay_alu instid0(VALU_DEP_1) | instskip(SKIP_3) | instid1(VALU_DEP_1)
	v_cmp_gt_i32_e32 vcc_lo, 32, v4
	s_wait_alu 0xfffd
	v_cndmask_b32_e32 v4, v0, v4, vcc_lo
	s_wait_dscnt 0x0
	v_dual_add_f32 v1, v1, v3 :: v_dual_lshlrev_b32 v4, 2, v4
	ds_bpermute_b32 v3, v4, v1
	v_xor_b32_e32 v4, 1, v0
	s_delay_alu instid0(VALU_DEP_1) | instskip(SKIP_3) | instid1(VALU_DEP_2)
	v_cmp_gt_i32_e32 vcc_lo, 32, v4
	s_wait_alu 0xfffd
	v_cndmask_b32_e32 v0, v0, v4, vcc_lo
	v_cmp_eq_u32_e32 vcc_lo, 0, v2
	v_lshlrev_b32_e32 v4, 2, v0
	s_wait_dscnt 0x0
	v_add_f32_e32 v0, v1, v3
	ds_bpermute_b32 v1, v4, v0
	s_and_b32 exec_lo, exec_lo, vcc_lo
	s_cbranch_execz .LBB74_12
; %bb.11:
	s_load_b64 s[0:1], s[0:1], 0x38
	s_wait_kmcnt 0x0
	s_mul_i32 s2, s6, s15
	s_mul_i32 s3, s14, s16
	s_add_co_i32 s2, s2, ttmp9
	s_wait_dscnt 0x0
	v_dual_add_f32 v0, v0, v1 :: v_dual_mov_b32 v1, 0
	s_add_co_i32 s2, s2, s3
	s_mov_b32 s3, 0
	s_delay_alu instid0(SALU_CYCLE_1) | instskip(NEXT) | instid1(SALU_CYCLE_1)
	s_lshl_b64 s[2:3], s[2:3], 2
	s_add_nc_u64 s[0:1], s[0:1], s[2:3]
	global_store_b32 v1, v0, s[0:1]
.LBB74_12:
	s_endpgm
.LBB74_13:
                                        ; implicit-def: $sgpr19
	s_clause 0x1
	s_load_b128 s[4:7], s[0:1], 0x68
	s_load_b32 s20, s[0:1], 0x50
	s_branch .LBB74_2
	.section	.rodata,"a",@progbits
	.p2align	6, 0x0
	.amdhsa_kernel _ZL13mul_mat_vec_qIL9ggml_type39ELi1ELb0ELb1EEvPKvS2_PKi31ggml_cuda_mm_fusion_args_devicePfj15HIP_vector_typeIjLj3EEjjjS8_jjjS8_jjjj
		.amdhsa_group_segment_fixed_size 0
		.amdhsa_private_segment_fixed_size 0
		.amdhsa_kernarg_size 144
		.amdhsa_user_sgpr_count 2
		.amdhsa_user_sgpr_dispatch_ptr 0
		.amdhsa_user_sgpr_queue_ptr 0
		.amdhsa_user_sgpr_kernarg_segment_ptr 1
		.amdhsa_user_sgpr_dispatch_id 0
		.amdhsa_user_sgpr_private_segment_size 0
		.amdhsa_wavefront_size32 1
		.amdhsa_uses_dynamic_stack 0
		.amdhsa_enable_private_segment 0
		.amdhsa_system_sgpr_workgroup_id_x 1
		.amdhsa_system_sgpr_workgroup_id_y 1
		.amdhsa_system_sgpr_workgroup_id_z 1
		.amdhsa_system_sgpr_workgroup_info 0
		.amdhsa_system_vgpr_workitem_id 1
		.amdhsa_next_free_vgpr 26
		.amdhsa_next_free_sgpr 24
		.amdhsa_reserve_vcc 1
		.amdhsa_float_round_mode_32 0
		.amdhsa_float_round_mode_16_64 0
		.amdhsa_float_denorm_mode_32 3
		.amdhsa_float_denorm_mode_16_64 3
		.amdhsa_fp16_overflow 0
		.amdhsa_workgroup_processor_mode 1
		.amdhsa_memory_ordered 1
		.amdhsa_forward_progress 1
		.amdhsa_inst_pref_size 10
		.amdhsa_round_robin_scheduling 0
		.amdhsa_exception_fp_ieee_invalid_op 0
		.amdhsa_exception_fp_denorm_src 0
		.amdhsa_exception_fp_ieee_div_zero 0
		.amdhsa_exception_fp_ieee_overflow 0
		.amdhsa_exception_fp_ieee_underflow 0
		.amdhsa_exception_fp_ieee_inexact 0
		.amdhsa_exception_int_div_zero 0
	.end_amdhsa_kernel
	.section	.text._ZL13mul_mat_vec_qIL9ggml_type39ELi1ELb0ELb1EEvPKvS2_PKi31ggml_cuda_mm_fusion_args_devicePfj15HIP_vector_typeIjLj3EEjjjS8_jjjS8_jjjj,"axG",@progbits,_ZL13mul_mat_vec_qIL9ggml_type39ELi1ELb0ELb1EEvPKvS2_PKi31ggml_cuda_mm_fusion_args_devicePfj15HIP_vector_typeIjLj3EEjjjS8_jjjS8_jjjj,comdat
.Lfunc_end74:
	.size	_ZL13mul_mat_vec_qIL9ggml_type39ELi1ELb0ELb1EEvPKvS2_PKi31ggml_cuda_mm_fusion_args_devicePfj15HIP_vector_typeIjLj3EEjjjS8_jjjS8_jjjj, .Lfunc_end74-_ZL13mul_mat_vec_qIL9ggml_type39ELi1ELb0ELb1EEvPKvS2_PKi31ggml_cuda_mm_fusion_args_devicePfj15HIP_vector_typeIjLj3EEjjjS8_jjjS8_jjjj
                                        ; -- End function
	.set _ZL13mul_mat_vec_qIL9ggml_type39ELi1ELb0ELb1EEvPKvS2_PKi31ggml_cuda_mm_fusion_args_devicePfj15HIP_vector_typeIjLj3EEjjjS8_jjjS8_jjjj.num_vgpr, 26
	.set _ZL13mul_mat_vec_qIL9ggml_type39ELi1ELb0ELb1EEvPKvS2_PKi31ggml_cuda_mm_fusion_args_devicePfj15HIP_vector_typeIjLj3EEjjjS8_jjjS8_jjjj.num_agpr, 0
	.set _ZL13mul_mat_vec_qIL9ggml_type39ELi1ELb0ELb1EEvPKvS2_PKi31ggml_cuda_mm_fusion_args_devicePfj15HIP_vector_typeIjLj3EEjjjS8_jjjS8_jjjj.numbered_sgpr, 24
	.set _ZL13mul_mat_vec_qIL9ggml_type39ELi1ELb0ELb1EEvPKvS2_PKi31ggml_cuda_mm_fusion_args_devicePfj15HIP_vector_typeIjLj3EEjjjS8_jjjS8_jjjj.num_named_barrier, 0
	.set _ZL13mul_mat_vec_qIL9ggml_type39ELi1ELb0ELb1EEvPKvS2_PKi31ggml_cuda_mm_fusion_args_devicePfj15HIP_vector_typeIjLj3EEjjjS8_jjjS8_jjjj.private_seg_size, 0
	.set _ZL13mul_mat_vec_qIL9ggml_type39ELi1ELb0ELb1EEvPKvS2_PKi31ggml_cuda_mm_fusion_args_devicePfj15HIP_vector_typeIjLj3EEjjjS8_jjjS8_jjjj.uses_vcc, 1
	.set _ZL13mul_mat_vec_qIL9ggml_type39ELi1ELb0ELb1EEvPKvS2_PKi31ggml_cuda_mm_fusion_args_devicePfj15HIP_vector_typeIjLj3EEjjjS8_jjjS8_jjjj.uses_flat_scratch, 0
	.set _ZL13mul_mat_vec_qIL9ggml_type39ELi1ELb0ELb1EEvPKvS2_PKi31ggml_cuda_mm_fusion_args_devicePfj15HIP_vector_typeIjLj3EEjjjS8_jjjS8_jjjj.has_dyn_sized_stack, 0
	.set _ZL13mul_mat_vec_qIL9ggml_type39ELi1ELb0ELb1EEvPKvS2_PKi31ggml_cuda_mm_fusion_args_devicePfj15HIP_vector_typeIjLj3EEjjjS8_jjjS8_jjjj.has_recursion, 0
	.set _ZL13mul_mat_vec_qIL9ggml_type39ELi1ELb0ELb1EEvPKvS2_PKi31ggml_cuda_mm_fusion_args_devicePfj15HIP_vector_typeIjLj3EEjjjS8_jjjS8_jjjj.has_indirect_call, 0
	.section	.AMDGPU.csdata,"",@progbits
; Kernel info:
; codeLenInByte = 1232
; TotalNumSgprs: 26
; NumVgprs: 26
; ScratchSize: 0
; MemoryBound: 0
; FloatMode: 240
; IeeeMode: 1
; LDSByteSize: 0 bytes/workgroup (compile time only)
; SGPRBlocks: 0
; VGPRBlocks: 3
; NumSGPRsForWavesPerEU: 26
; NumVGPRsForWavesPerEU: 26
; Occupancy: 16
; WaveLimiterHint : 0
; COMPUTE_PGM_RSRC2:SCRATCH_EN: 0
; COMPUTE_PGM_RSRC2:USER_SGPR: 2
; COMPUTE_PGM_RSRC2:TRAP_HANDLER: 0
; COMPUTE_PGM_RSRC2:TGID_X_EN: 1
; COMPUTE_PGM_RSRC2:TGID_Y_EN: 1
; COMPUTE_PGM_RSRC2:TGID_Z_EN: 1
; COMPUTE_PGM_RSRC2:TIDIG_COMP_CNT: 1
	.section	.text._ZL13mul_mat_vec_qIL9ggml_type39ELi1ELb1ELb0EEvPKvS2_PKi31ggml_cuda_mm_fusion_args_devicePfj15HIP_vector_typeIjLj3EEjjjS8_jjjS8_jjjj,"axG",@progbits,_ZL13mul_mat_vec_qIL9ggml_type39ELi1ELb1ELb0EEvPKvS2_PKi31ggml_cuda_mm_fusion_args_devicePfj15HIP_vector_typeIjLj3EEjjjS8_jjjS8_jjjj,comdat
	.globl	_ZL13mul_mat_vec_qIL9ggml_type39ELi1ELb1ELb0EEvPKvS2_PKi31ggml_cuda_mm_fusion_args_devicePfj15HIP_vector_typeIjLj3EEjjjS8_jjjS8_jjjj ; -- Begin function _ZL13mul_mat_vec_qIL9ggml_type39ELi1ELb1ELb0EEvPKvS2_PKi31ggml_cuda_mm_fusion_args_devicePfj15HIP_vector_typeIjLj3EEjjjS8_jjjS8_jjjj
	.p2align	8
	.type	_ZL13mul_mat_vec_qIL9ggml_type39ELi1ELb1ELb0EEvPKvS2_PKi31ggml_cuda_mm_fusion_args_devicePfj15HIP_vector_typeIjLj3EEjjjS8_jjjS8_jjjj,@function
_ZL13mul_mat_vec_qIL9ggml_type39ELi1ELb1ELb0EEvPKvS2_PKi31ggml_cuda_mm_fusion_args_devicePfj15HIP_vector_typeIjLj3EEjjjS8_jjjS8_jjjj: ; @_ZL13mul_mat_vec_qIL9ggml_type39ELi1ELb1ELb0EEvPKvS2_PKi31ggml_cuda_mm_fusion_args_devicePfj15HIP_vector_typeIjLj3EEjjjS8_jjjS8_jjjj
; %bb.0:
	s_clause 0x3
	s_load_b256 s[8:15], s[0:1], 0x0
	s_load_b128 s[16:19], s[0:1], 0x20
	s_load_b128 s[20:23], s[0:1], 0x40
	;; [unrolled: 1-line block ×3, first 2 shown]
	s_and_b32 s27, ttmp7, 0xffff
	s_wait_kmcnt 0x0
	s_cmp_lg_u64 s[12:13], 0
	s_cselect_b32 s2, -1, 0
	s_cmp_eq_u64 s[12:13], 0
	s_cbranch_scc1 .LBB75_24
; %bb.1:
	s_lshl_b32 s3, s27, 2
	s_load_b32 s28, s[12:13], s3 offset:0x0
	s_clause 0x1
	s_load_b32 s29, s[0:1], 0x50
	s_load_b32 s30, s[0:1], 0x78
	s_cbranch_execnz .LBB75_3
.LBB75_2:
	s_load_b64 s[12:13], s[0:1], 0x5c
	s_wait_kmcnt 0x0
	s_mul_hi_u32 s3, s12, s27
	s_delay_alu instid0(SALU_CYCLE_1) | instskip(NEXT) | instid1(SALU_CYCLE_1)
	s_add_co_i32 s3, s27, s3
	s_lshr_b32 s28, s3, s13
.LBB75_3:
	s_and_not1_b32 vcc_lo, exec_lo, s2
	s_mov_b32 s3, s27
	s_mov_b32 s31, s27
	s_cbranch_vccnz .LBB75_5
; %bb.4:
	s_mul_hi_u32 s2, s21, s27
	s_wait_kmcnt 0x0
	s_mov_b32 s3, s28
	s_add_co_i32 s2, s27, s2
	s_delay_alu instid0(SALU_CYCLE_1) | instskip(NEXT) | instid1(SALU_CYCLE_1)
	s_lshr_b32 s2, s2, s22
	s_mul_i32 s2, s2, s23
	s_delay_alu instid0(SALU_CYCLE_1)
	s_sub_co_i32 s31, s27, s2
.LBB75_5:
	s_load_b96 s[24:26], s[0:1], 0x80
	v_bfe_u32 v11, v0, 10, 10
	v_dual_mov_b32 v9, 0 :: v_dual_and_b32 v8, 0x3ff, v0
	s_lshr_b32 s21, ttmp7, 16
	s_cmp_lg_u64 s[14:15], 0
	v_mov_b32_e32 v10, 0
	s_delay_alu instid0(VALU_DEP_2) | instskip(SKIP_3) | instid1(VALU_DEP_1)
	v_or_b32_e32 v0, v8, v11
	s_cselect_b32 s2, -1, 0
	s_mov_b32 s23, 0
	s_mul_i32 s12, s3, s6
	v_cmp_eq_u32_e32 vcc_lo, 0, v0
	s_and_b32 s13, s2, vcc_lo
	s_delay_alu instid0(SALU_CYCLE_1)
	s_and_saveexec_b32 s3, s13
	s_cbranch_execz .LBB75_7
; %bb.6:
	s_wait_kmcnt 0x0
	s_mul_i32 s22, s26, s21
	s_mov_b32 s13, s23
	s_lshl_b64 s[22:23], s[22:23], 2
	s_mov_b32 s34, ttmp9
	s_lshl_b64 s[36:37], s[12:13], 2
	s_add_nc_u64 s[14:15], s[14:15], s[22:23]
	s_ashr_i32 s35, ttmp9, 31
	v_lshlrev_b32_e32 v0, 2, v8
	s_add_nc_u64 s[14:15], s[14:15], s[36:37]
	s_lshl_b64 s[22:23], s[34:35], 2
	s_delay_alu instid0(SALU_CYCLE_1)
	s_add_nc_u64 s[14:15], s[14:15], s[22:23]
	global_load_b32 v10, v0, s[14:15]
.LBB75_7:
	s_or_b32 exec_lo, exec_lo, s3
	s_cmp_lg_u64 s[16:17], 0
	s_cselect_b32 s14, -1, 0
	s_cmp_lg_u64 s[18:19], 0
	s_cselect_b32 s3, -1, 0
	s_delay_alu instid0(SALU_CYCLE_1) | instskip(NEXT) | instid1(SALU_CYCLE_1)
	s_and_b32 s13, s3, s14
	s_and_b32 s13, s13, vcc_lo
	s_delay_alu instid0(SALU_CYCLE_1)
	s_and_saveexec_b32 s15, s13
	s_cbranch_execz .LBB75_9
; %bb.8:
	s_wait_kmcnt 0x0
	s_mul_i32 s34, s26, s21
	s_mov_b32 s35, 0
	s_mov_b32 s22, ttmp9
	s_lshl_b64 s[36:37], s[34:35], 2
	s_mov_b32 s13, s35
	s_add_nc_u64 s[18:19], s[18:19], s[36:37]
	s_lshl_b64 s[12:13], s[12:13], 2
	s_ashr_i32 s23, ttmp9, 31
	v_lshlrev_b32_e32 v0, 2, v8
	s_add_nc_u64 s[12:13], s[18:19], s[12:13]
	s_lshl_b64 s[18:19], s[22:23], 2
	s_delay_alu instid0(SALU_CYCLE_1)
	s_add_nc_u64 s[12:13], s[12:13], s[18:19]
	global_load_b32 v9, v0, s[12:13]
.LBB75_9:
	s_or_b32 exec_lo, exec_lo, s15
	v_dual_mov_b32 v13, 0 :: v_dual_lshlrev_b32 v0, 5, v11
	v_cndmask_b32_e64 v12, 0, 1, s14
	s_lshr_b32 s15, s20, 5
	s_mov_b32 s18, exec_lo
	s_delay_alu instid0(VALU_DEP_2) | instskip(SKIP_1) | instid1(VALU_DEP_2)
	v_add_nc_u16 v1, v0, v8
	v_mov_b32_e32 v14, 0
	v_lshrrev_b16 v1, 1, v1
	s_delay_alu instid0(VALU_DEP_1) | instskip(SKIP_1) | instid1(VALU_DEP_1)
	v_and_b32_e32 v15, 0xffff, v1
	s_wait_alu 0xfffe
	v_cmpx_gt_u32_e64 s15, v15
	s_cbranch_execz .LBB75_15
; %bb.10:
	s_mul_hi_u32 s7, s7, s21
	v_dual_mov_b32 v13, 0 :: v_dual_add_nc_u32 v0, v0, v8
	s_mul_i32 s22, s31, s5
	s_add_co_i32 s5, s21, s7
	s_wait_kmcnt 0x0
	s_mul_i32 s12, s25, s21
	s_mov_b32 s13, 0
	s_lshr_b32 s5, s5, s30
	s_mov_b32 s23, s13
	s_mul_i32 s5, s5, s24
	s_mul_u64 s[24:25], s[12:13], 36
	v_dual_mov_b32 v14, 0 :: v_dual_lshlrev_b32 v1, 3, v8
	v_lshrrev_b32_e32 v0, 1, v0
	s_mul_u64 s[22:23], s[22:23], 36
	s_add_nc_u64 s[10:11], s[10:11], s[24:25]
	v_and_b32_e32 v2, 1, v8
	s_add_nc_u64 s[10:11], s[10:11], s[22:23]
	v_and_b32_e32 v16, 8, v1
	v_mad_co_u64_u32 v[0:1], null, v0, 36, s[10:11]
	s_mul_i32 s29, s29, ttmp9
	v_lshlrev_b32_e32 v17, 3, v2
	s_mul_i32 s4, s28, s4
	s_add_co_i32 s5, s5, s29
	s_mov_b32 s7, 0xc080604
	s_add_co_i32 s5, s4, s5
	s_mov_b32 s10, 0xf4f8fafc
	s_mov_b32 s11, 0x4040404
	s_branch .LBB75_12
.LBB75_11:                              ;   in Loop: Header=BB75_12 Depth=1
	s_wait_loadcnt 0x1
	v_and_b32_e32 v20, 0x7070707, v6
	v_ashrrev_i32_e32 v21, 4, v6
	v_lshrrev_b32_e32 v6, 1, v6
	v_add_nc_u32_e32 v15, 16, v15
	v_add_co_u32 v0, s4, 0x240, v0
	v_perm_b32 v22, s7, 0x3020100, v20
	v_and_b32_e32 v23, 0x7070707, v21
	v_perm_b32 v20, s10, 0xfdfeff00, v20
	v_lshrrev_b32_e32 v21, 1, v21
	v_and_or_b32 v6, v6, s11, 0x3020100
	s_wait_alu 0xf1ff
	v_add_co_ci_u32_e64 v1, null, 0, v1, s4
	v_perm_b32 v24, s7, 0x3020100, v23
	v_perm_b32 v23, s10, 0xfdfeff00, v23
	v_and_or_b32 v21, v21, s11, 0x3020100
	v_perm_b32 v6, v20, v22, v6
	v_and_b32_e32 v20, 0x7070707, v7
	v_ashrrev_i32_e32 v22, 4, v7
	s_delay_alu instid0(VALU_DEP_4) | instskip(NEXT) | instid1(VALU_DEP_4)
	v_perm_b32 v21, v23, v24, v21
	v_dot4_i32_iu8 v4, v6, v4, 0 neg_lo:[1,1,0]
	v_lshrrev_b32_e32 v6, 1, v7
	v_perm_b32 v7, s7, 0x3020100, v20
	v_and_b32_e32 v23, 0x7070707, v22
	v_perm_b32 v20, s10, 0xfdfeff00, v20
	v_dot4_i32_iu8 v2, v21, v2, v4 neg_lo:[1,1,0]
	s_wait_loadcnt 0x0
	v_and_b32_e32 v4, 0xff, v19
	v_lshrrev_b32_e32 v19, 1, v22
	v_and_or_b32 v6, v6, s11, 0x3020100
	v_perm_b32 v21, s7, 0x3020100, v23
	v_perm_b32 v22, s10, 0xfdfeff00, v23
	v_cmp_ne_u16_e32 vcc_lo, 0, v4
	v_lshlrev_b32_e32 v23, 23, v4
	v_and_or_b32 v19, v19, s11, 0x3020100
	v_perm_b32 v6, v20, v7, v6
	s_delay_alu instid0(VALU_DEP_3) | instskip(NEXT) | instid1(VALU_DEP_3)
	v_mul_f32_e32 v7, 0.5, v23
	v_perm_b32 v19, v22, v21, v19
	s_delay_alu instid0(VALU_DEP_3) | instskip(SKIP_1) | instid1(VALU_DEP_3)
	v_dot4_i32_iu8 v2, v6, v5, v2 neg_lo:[1,1,0]
	s_wait_alu 0xfffd
	v_cndmask_b32_e32 v4, 0x200000, v7, vcc_lo
	v_cmp_le_u32_e32 vcc_lo, s15, v15
	s_delay_alu instid0(VALU_DEP_3) | instskip(NEXT) | instid1(VALU_DEP_3)
	v_dot4_i32_iu8 v2, v19, v3, v2 neg_lo:[1,1,0]
	v_mul_f32_e32 v3, v4, v18
	s_or_b32 s13, vcc_lo, s13
	s_delay_alu instid0(VALU_DEP_2) | instskip(NEXT) | instid1(VALU_DEP_1)
	v_cvt_f32_i32_e32 v2, v2
	v_fmac_f32_e32 v14, v3, v2
	s_and_not1_b32 exec_lo, exec_lo, s13
	s_cbranch_execz .LBB75_14
.LBB75_12:                              ; =>This Inner Loop Header: Depth=1
	v_add_nc_u32_e32 v20, s5, v15
	v_add_co_u32 v2, vcc_lo, v0, v17
	s_wait_alu 0xfffd
	v_add_co_ci_u32_e64 v3, null, 0, v1, vcc_lo
	s_delay_alu instid0(VALU_DEP_3) | instskip(NEXT) | instid1(VALU_DEP_1)
	v_mad_co_i64_i32 v[18:19], null, v20, 17, s[8:9]
	v_add_co_u32 v6, vcc_lo, v18, v16
	s_wait_alu 0xfffd
	s_delay_alu instid0(VALU_DEP_2)
	v_add_co_ci_u32_e64 v7, null, 0, v19, vcc_lo
	s_clause 0x2
	global_load_b32 v21, v[0:1], off
	global_load_b64 v[4:5], v[2:3], off offset:4
	global_load_b64 v[2:3], v[2:3], off offset:20
	s_clause 0x1
	global_load_b64 v[6:7], v[6:7], off offset:1
	global_load_u8 v19, v[18:19], off
	s_and_not1_b32 vcc_lo, exec_lo, s14
	s_wait_loadcnt 0x4
	v_cvt_f32_f16_e32 v18, v21
	s_wait_alu 0xfffe
	s_cbranch_vccnz .LBB75_11
; %bb.13:                               ;   in Loop: Header=BB75_12 Depth=1
	v_mad_co_i64_i32 v[20:21], null, v20, 17, s[16:17]
	s_delay_alu instid0(VALU_DEP_1) | instskip(SKIP_1) | instid1(VALU_DEP_2)
	v_add_co_u32 v22, vcc_lo, v20, v16
	s_wait_alu 0xfffd
	v_add_co_ci_u32_e64 v23, null, 0, v21, vcc_lo
	s_clause 0x1
	global_load_b64 v[22:23], v[22:23], off offset:1
	global_load_u8 v20, v[20:21], off
	s_wait_loadcnt 0x1
	v_ashrrev_i32_e32 v21, 4, v22
	v_and_b32_e32 v24, 0x7070707, v22
	v_lshrrev_b32_e32 v22, 1, v22
	s_wait_loadcnt 0x0
	v_lshlrev_b32_e32 v27, 23, v20
	v_ashrrev_i32_e32 v25, 4, v23
	v_and_b32_e32 v29, 0x7070707, v21
	v_perm_b32 v28, s7, 0x3020100, v24
	v_perm_b32 v24, s10, 0xfdfeff00, v24
	v_lshrrev_b32_e32 v21, 1, v21
	v_and_or_b32 v22, v22, s11, 0x3020100
	v_and_b32_e32 v26, 0x7070707, v23
	v_lshrrev_b32_e32 v23, 1, v23
	v_perm_b32 v31, s7, 0x3020100, v29
	v_perm_b32 v29, s10, 0xfdfeff00, v29
	v_and_or_b32 v21, v21, s11, 0x3020100
	v_perm_b32 v22, v24, v28, v22
	v_perm_b32 v30, s7, 0x3020100, v26
	v_and_b32_e32 v24, 0x7070707, v25
	v_perm_b32 v26, s10, 0xfdfeff00, v26
	v_lshrrev_b32_e32 v25, 1, v25
	v_perm_b32 v21, v29, v31, v21
	v_dot4_i32_iu8 v22, v22, v4, 0 neg_lo:[1,1,0]
	v_and_or_b32 v23, v23, s11, 0x3020100
	v_perm_b32 v28, s7, 0x3020100, v24
	v_perm_b32 v24, s10, 0xfdfeff00, v24
	v_and_or_b32 v25, v25, s11, 0x3020100
	v_dot4_i32_iu8 v21, v21, v2, v22 neg_lo:[1,1,0]
	v_perm_b32 v22, v26, v30, v23
	v_cmp_ne_u32_e32 vcc_lo, 0, v20
	s_delay_alu instid0(VALU_DEP_4) | instskip(SKIP_1) | instid1(VALU_DEP_4)
	v_perm_b32 v23, v24, v28, v25
	v_mul_f32_e32 v24, 0.5, v27
	v_dot4_i32_iu8 v21, v22, v5, v21 neg_lo:[1,1,0]
	s_wait_alu 0xfffd
	s_delay_alu instid0(VALU_DEP_2) | instskip(NEXT) | instid1(VALU_DEP_2)
	v_cndmask_b32_e32 v20, 0x200000, v24, vcc_lo
	v_dot4_i32_iu8 v21, v23, v3, v21 neg_lo:[1,1,0]
	s_delay_alu instid0(VALU_DEP_2) | instskip(NEXT) | instid1(VALU_DEP_2)
	v_mul_f32_e32 v20, v20, v18
	v_cvt_f32_i32_e32 v21, v21
	s_delay_alu instid0(VALU_DEP_1)
	v_fmac_f32_e32 v13, v20, v21
	s_branch .LBB75_11
.LBB75_14:
	s_or_b32 exec_lo, exec_lo, s13
.LBB75_15:
	s_delay_alu instid0(SALU_CYCLE_1)
	s_or_b32 exec_lo, exec_lo, s18
	s_load_b32 s4, s[0:1], 0x30
	s_wait_loadcnt 0x0
	; wave barrier
	global_inv scope:SCOPE_SE
	s_mov_b32 s5, exec_lo
	v_cmpx_eq_u32_e32 0, v11
	s_cbranch_execz .LBB75_43
; %bb.16:
	v_mbcnt_lo_u32_b32 v1, -1, 0
	s_delay_alu instid0(VALU_DEP_1) | instskip(SKIP_2) | instid1(VALU_DEP_3)
	v_xor_b32_e32 v0, 16, v1
	v_xor_b32_e32 v3, 8, v1
	;; [unrolled: 1-line block ×3, first 2 shown]
	v_cmp_gt_i32_e32 vcc_lo, 32, v0
	s_wait_alu 0xfffd
	v_cndmask_b32_e32 v0, v1, v0, vcc_lo
	v_cmp_gt_i32_e32 vcc_lo, 32, v3
	s_wait_alu 0xfffd
	v_cndmask_b32_e32 v3, v1, v3, vcc_lo
	v_cmp_gt_i32_e32 vcc_lo, 32, v4
	s_delay_alu instid0(VALU_DEP_2)
	v_lshlrev_b32_e32 v3, 2, v3
	v_lshlrev_b32_e32 v0, 2, v0
	s_wait_alu 0xfffd
	v_cndmask_b32_e32 v4, v1, v4, vcc_lo
	ds_bpermute_b32 v2, v0, v14
	s_wait_dscnt 0x0
	v_add_f32_e32 v2, v14, v2
	ds_bpermute_b32 v5, v3, v2
	s_wait_dscnt 0x0
	v_add_f32_e32 v2, v2, v5
	v_xor_b32_e32 v5, 2, v1
	s_delay_alu instid0(VALU_DEP_1) | instskip(SKIP_2) | instid1(VALU_DEP_1)
	v_cmp_gt_i32_e32 vcc_lo, 32, v5
	s_wait_alu 0xfffd
	v_cndmask_b32_e32 v5, v1, v5, vcc_lo
	v_lshlrev_b32_e32 v5, 2, v5
	v_lshlrev_b32_e32 v4, 2, v4
	ds_bpermute_b32 v6, v4, v2
	s_wait_dscnt 0x0
	v_add_f32_e32 v2, v2, v6
	v_xor_b32_e32 v6, 1, v1
	ds_bpermute_b32 v7, v5, v2
	v_cmp_gt_i32_e32 vcc_lo, 32, v6
	s_wait_alu 0xfffd
	v_cndmask_b32_e32 v1, v1, v6, vcc_lo
	v_cmp_ne_u32_e32 vcc_lo, 1, v12
	s_delay_alu instid0(VALU_DEP_2)
	v_lshlrev_b32_e32 v6, 2, v1
	s_wait_dscnt 0x0
	v_add_f32_e32 v1, v2, v7
	ds_bpermute_b32 v2, v6, v1
	s_cbranch_vccnz .LBB75_18
; %bb.17:
	ds_bpermute_b32 v0, v0, v13
	s_wait_dscnt 0x0
	v_add_f32_e32 v0, v13, v0
	ds_bpermute_b32 v3, v3, v0
	s_wait_dscnt 0x0
	v_add_f32_e32 v0, v0, v3
	;; [unrolled: 3-line block ×5, first 2 shown]
.LBB75_18:
	v_cmp_eq_u32_e32 vcc_lo, 0, v8
	s_and_b32 exec_lo, exec_lo, vcc_lo
	s_cbranch_execz .LBB75_43
; %bb.19:
	s_wait_dscnt 0x0
	v_add_f32_e32 v0, v1, v2
	v_cmp_ne_u32_e32 vcc_lo, 1, v12
	s_delay_alu instid0(VALU_DEP_2) | instskip(NEXT) | instid1(VALU_DEP_1)
	v_add_f32_e32 v1, v10, v0
	v_cndmask_b32_e64 v0, v0, v1, s2
	s_cbranch_vccnz .LBB75_42
; %bb.20:
	v_add_f32_e32 v1, v9, v13
	s_wait_kmcnt 0x0
	s_cmp_lt_i32 s4, 2
	s_mov_b32 s2, 0
	s_delay_alu instid0(VALU_DEP_1)
	v_cndmask_b32_e64 v1, v13, v1, s3
	s_cbranch_scc1 .LBB75_25
; %bb.21:
	s_cmp_gt_i32 s4, 2
	s_cbranch_scc0 .LBB75_26
; %bb.22:
	s_cmp_eq_u32 s4, 3
	s_cbranch_scc0 .LBB75_27
; %bb.23:
	v_max_num_f32_e32 v2, v1, v1
	s_mov_b32 s3, 0xc0e00000
	s_delay_alu instid0(VALU_DEP_1) | instskip(NEXT) | instid1(VALU_DEP_1)
	v_min_num_f32_e32 v2, 0x40e00000, v2
	v_mul_f32_e32 v3, 0xbfd9db23, v2
	s_delay_alu instid0(VALU_DEP_1) | instskip(NEXT) | instid1(VALU_DEP_1)
	v_mul_f32_e32 v4, 0x3fb8aa3b, v3
	v_fma_f32 v5, 0x3fb8aa3b, v3, -v4
	v_rndne_f32_e32 v6, v4
	s_delay_alu instid0(VALU_DEP_1) | instskip(NEXT) | instid1(VALU_DEP_1)
	v_dual_fmamk_f32 v5, v3, 0x32a5705f, v5 :: v_dual_sub_f32 v4, v4, v6
	v_add_f32_e32 v4, v4, v5
	v_cvt_i32_f32_e32 v5, v6
	v_cmp_ngt_f32_e32 vcc_lo, 0xc2ce8ed0, v3
	s_delay_alu instid0(VALU_DEP_3) | instskip(NEXT) | instid1(TRANS32_DEP_1)
	v_exp_f32_e32 v4, v4
	v_ldexp_f32 v4, v4, v5
	s_wait_alu 0xfffd
	s_delay_alu instid0(VALU_DEP_1) | instskip(SKIP_2) | instid1(VALU_DEP_2)
	v_cndmask_b32_e32 v4, 0, v4, vcc_lo
	v_cmp_nlt_f32_e32 vcc_lo, 0x42b17218, v3
	s_wait_alu 0xfffd
	v_cndmask_b32_e32 v3, 0x7f800000, v4, vcc_lo
	s_delay_alu instid0(VALU_DEP_1) | instskip(NEXT) | instid1(VALU_DEP_1)
	v_add_f32_e32 v3, 1.0, v3
	v_div_scale_f32 v4, null, v3, v3, v2
	v_div_scale_f32 v7, vcc_lo, v2, v3, v2
	s_delay_alu instid0(VALU_DEP_2) | instskip(NEXT) | instid1(TRANS32_DEP_1)
	v_rcp_f32_e32 v5, v4
	v_fma_f32 v6, -v4, v5, 1.0
	s_delay_alu instid0(VALU_DEP_1) | instskip(NEXT) | instid1(VALU_DEP_1)
	v_fmac_f32_e32 v5, v6, v5
	v_mul_f32_e32 v6, v7, v5
	s_delay_alu instid0(VALU_DEP_1) | instskip(NEXT) | instid1(VALU_DEP_1)
	v_fma_f32 v9, -v4, v6, v7
	v_fmac_f32_e32 v6, v9, v5
	s_delay_alu instid0(VALU_DEP_1) | instskip(SKIP_2) | instid1(VALU_DEP_2)
	v_fma_f32 v4, -v4, v6, v7
	v_max_num_f32_e32 v7, v0, v0
	s_wait_alu 0xfffd
	v_div_fmas_f32 v4, v4, v5, v6
	s_wait_alu 0xfffe
	s_delay_alu instid0(VALU_DEP_2) | instskip(SKIP_1) | instid1(VALU_DEP_2)
	v_minmax_num_f32 v5, v7, 0x40e00000, s3
	s_mov_b32 s3, 0
	v_div_fixup_f32 v2, v4, v3, v2
	s_delay_alu instid0(VALU_DEP_2) | instskip(NEXT) | instid1(VALU_DEP_1)
	v_add_f32_e32 v3, 1.0, v5
	v_mul_f32_e32 v2, v3, v2
	s_branch .LBB75_28
.LBB75_24:
                                        ; implicit-def: $sgpr28
	s_clause 0x1
	s_load_b32 s29, s[0:1], 0x50
	s_load_b32 s30, s[0:1], 0x78
	s_branch .LBB75_2
.LBB75_25:
	s_mov_b32 s3, 0
                                        ; implicit-def: $vgpr2
	s_cbranch_execnz .LBB75_32
	s_branch .LBB75_33
.LBB75_26:
	s_mov_b32 s5, -1
	s_mov_b32 s3, 0
                                        ; implicit-def: $vgpr2
	s_branch .LBB75_29
.LBB75_27:
	s_mov_b32 s3, -1
                                        ; implicit-def: $vgpr2
.LBB75_28:
	s_mov_b32 s5, 0
.LBB75_29:
	s_wait_alu 0xfffe
	s_and_b32 vcc_lo, exec_lo, s5
	s_wait_alu 0xfffe
	s_cbranch_vccz .LBB75_31
; %bb.30:
	v_mul_f32_e32 v2, 0xbfb8aa3b, v1
	v_cmp_nlt_f32_e32 vcc_lo, 0x42ce8ed0, v1
	s_delay_alu instid0(VALU_DEP_2) | instskip(SKIP_1) | instid1(VALU_DEP_2)
	v_rndne_f32_e32 v3, v2
	v_fma_f32 v4, 0xbfb8aa3b, v1, -v2
	v_sub_f32_e32 v2, v2, v3
	s_delay_alu instid0(VALU_DEP_2) | instskip(SKIP_1) | instid1(VALU_DEP_2)
	v_fmamk_f32 v4, v1, 0xb2a5705f, v4
	v_cvt_i32_f32_e32 v3, v3
	v_add_f32_e32 v2, v2, v4
	s_delay_alu instid0(VALU_DEP_1) | instskip(NEXT) | instid1(TRANS32_DEP_1)
	v_exp_f32_e32 v2, v2
	v_ldexp_f32 v2, v2, v3
	s_wait_alu 0xfffd
	s_delay_alu instid0(VALU_DEP_1) | instskip(SKIP_2) | instid1(VALU_DEP_2)
	v_cndmask_b32_e32 v2, 0, v2, vcc_lo
	v_cmp_ngt_f32_e32 vcc_lo, 0xc2b17218, v1
	s_wait_alu 0xfffd
	v_cndmask_b32_e32 v2, 0x7f800000, v2, vcc_lo
	s_delay_alu instid0(VALU_DEP_1) | instskip(NEXT) | instid1(VALU_DEP_1)
	v_add_f32_e32 v2, 1.0, v2
	v_div_scale_f32 v3, null, v2, v2, v1
	s_delay_alu instid0(VALU_DEP_1) | instskip(NEXT) | instid1(TRANS32_DEP_1)
	v_rcp_f32_e32 v4, v3
	v_fma_f32 v5, -v3, v4, 1.0
	s_delay_alu instid0(VALU_DEP_1) | instskip(SKIP_1) | instid1(VALU_DEP_1)
	v_fmac_f32_e32 v4, v5, v4
	v_div_scale_f32 v5, vcc_lo, v1, v2, v1
	v_mul_f32_e32 v6, v5, v4
	s_delay_alu instid0(VALU_DEP_1) | instskip(NEXT) | instid1(VALU_DEP_1)
	v_fma_f32 v7, -v3, v6, v5
	v_fmac_f32_e32 v6, v7, v4
	s_delay_alu instid0(VALU_DEP_1) | instskip(SKIP_1) | instid1(VALU_DEP_1)
	v_fma_f32 v3, -v3, v6, v5
	s_wait_alu 0xfffd
	v_div_fmas_f32 v3, v3, v4, v6
	s_delay_alu instid0(VALU_DEP_1) | instskip(NEXT) | instid1(VALU_DEP_1)
	v_div_fixup_f32 v2, v3, v2, v1
	v_mul_f32_e32 v2, v0, v2
.LBB75_31:
	s_branch .LBB75_33
.LBB75_32:
	s_cmp_lg_u32 s4, 1
	s_mov_b32 s2, -1
	s_cselect_b32 s3, -1, 0
.LBB75_33:
	s_wait_alu 0xfffe
	s_and_not1_b32 vcc_lo, exec_lo, s3
	s_wait_alu 0xfffe
	s_cbranch_vccz .LBB75_35
; %bb.34:
	s_and_not1_b32 vcc_lo, exec_lo, s2
	s_wait_alu 0xfffe
	s_cbranch_vccz .LBB75_36
	s_branch .LBB75_41
.LBB75_35:
	v_mul_f32_e32 v2, v1, v0
	s_cbranch_execnz .LBB75_41
.LBB75_36:
	v_mul_f32_e32 v2, 0x3d372713, v1
	v_mul_f32_e32 v3, 0x3f4c422a, v1
	s_delay_alu instid0(VALU_DEP_2) | instskip(NEXT) | instid1(VALU_DEP_1)
	v_fma_f32 v2, v1, v2, 1.0
	v_mul_f32_e32 v2, v3, v2
                                        ; implicit-def: $vgpr3
	s_delay_alu instid0(VALU_DEP_1)
	v_cmp_ngt_f32_e64 s2, 0x3f200000, |v2|
	s_and_saveexec_b32 s3, s2
	s_wait_alu 0xfffe
	s_xor_b32 s2, exec_lo, s3
	s_cbranch_execz .LBB75_38
; %bb.37:
	v_add_f32_e64 v3, |v2|, |v2|
	s_delay_alu instid0(VALU_DEP_1) | instskip(SKIP_1) | instid1(VALU_DEP_2)
	v_mul_f32_e32 v4, 0x3fb8aa3b, v3
	v_cmp_ngt_f32_e32 vcc_lo, 0xc2ce8ed0, v3
	v_rndne_f32_e32 v5, v4
	v_fma_f32 v6, 0x3fb8aa3b, v3, -v4
	s_delay_alu instid0(VALU_DEP_2) | instskip(NEXT) | instid1(VALU_DEP_2)
	v_sub_f32_e32 v4, v4, v5
	v_fmamk_f32 v6, v3, 0x32a5705f, v6
	v_cvt_i32_f32_e32 v5, v5
	s_delay_alu instid0(VALU_DEP_2) | instskip(NEXT) | instid1(VALU_DEP_1)
	v_add_f32_e32 v4, v4, v6
	v_exp_f32_e32 v4, v4
	s_delay_alu instid0(TRANS32_DEP_1) | instskip(SKIP_1) | instid1(VALU_DEP_1)
	v_ldexp_f32 v4, v4, v5
	s_wait_alu 0xfffd
	v_cndmask_b32_e32 v4, 0, v4, vcc_lo
	v_cmp_nlt_f32_e32 vcc_lo, 0x42b17218, v3
	s_wait_alu 0xfffd
	s_delay_alu instid0(VALU_DEP_2) | instskip(NEXT) | instid1(VALU_DEP_1)
	v_cndmask_b32_e32 v3, 0x7f800000, v4, vcc_lo
	v_add_f32_e32 v3, 1.0, v3
	s_delay_alu instid0(VALU_DEP_1) | instskip(NEXT) | instid1(TRANS32_DEP_1)
	v_rcp_f32_e32 v3, v3
	v_fma_f32 v3, v3, -2.0, 1.0
.LBB75_38:
	s_wait_alu 0xfffe
	s_and_not1_saveexec_b32 s2, s2
	s_cbranch_execz .LBB75_40
; %bb.39:
	v_mul_f32_e32 v3, v2, v2
	s_mov_b32 s3, 0xbbbac73d
	s_wait_alu 0xfffe
	s_delay_alu instid0(VALU_DEP_1) | instskip(NEXT) | instid1(VALU_DEP_1)
	v_fmaak_f32 v4, s3, v3, 0x3ca908c9
	v_fmaak_f32 v4, v3, v4, 0xbd5c1c4e
	s_delay_alu instid0(VALU_DEP_1) | instskip(NEXT) | instid1(VALU_DEP_1)
	v_fmaak_f32 v4, v3, v4, 0x3e088382
	v_fmaak_f32 v4, v3, v4, 0xbeaaaa99
	s_delay_alu instid0(VALU_DEP_1) | instskip(NEXT) | instid1(VALU_DEP_1)
	v_mul_f32_e64 v4, |v2|, v4
	v_fma_f32 v3, v3, v4, |v2|
.LBB75_40:
	s_wait_alu 0xfffe
	s_or_b32 exec_lo, exec_lo, s2
	s_delay_alu instid0(VALU_DEP_1) | instskip(NEXT) | instid1(VALU_DEP_1)
	v_bfi_b32 v2, 0x7fffffff, v3, v2
	v_dual_mul_f32 v1, 0.5, v1 :: v_dual_add_f32 v2, 1.0, v2
	s_delay_alu instid0(VALU_DEP_1) | instskip(NEXT) | instid1(VALU_DEP_1)
	v_mul_f32_e32 v1, v1, v2
	v_mul_f32_e32 v2, v0, v1
.LBB75_41:
	s_delay_alu instid0(VALU_DEP_1)
	v_mov_b32_e32 v0, v2
.LBB75_42:
	s_load_b64 s[0:1], s[0:1], 0x38
	s_mul_i32 s2, s6, s27
	s_wait_kmcnt 0x0
	s_mul_i32 s3, s26, s21
	s_wait_alu 0xfffe
	s_add_co_i32 s2, s2, ttmp9
	v_lshlrev_b32_e32 v1, 2, v8
	s_wait_alu 0xfffe
	s_add_co_i32 s2, s2, s3
	s_mov_b32 s3, 0
	s_wait_alu 0xfffe
	s_lshl_b64 s[2:3], s[2:3], 2
	s_wait_alu 0xfffe
	s_add_nc_u64 s[0:1], s[0:1], s[2:3]
	global_store_b32 v1, v0, s[0:1]
.LBB75_43:
	s_endpgm
	.section	.rodata,"a",@progbits
	.p2align	6, 0x0
	.amdhsa_kernel _ZL13mul_mat_vec_qIL9ggml_type39ELi1ELb1ELb0EEvPKvS2_PKi31ggml_cuda_mm_fusion_args_devicePfj15HIP_vector_typeIjLj3EEjjjS8_jjjS8_jjjj
		.amdhsa_group_segment_fixed_size 0
		.amdhsa_private_segment_fixed_size 0
		.amdhsa_kernarg_size 144
		.amdhsa_user_sgpr_count 2
		.amdhsa_user_sgpr_dispatch_ptr 0
		.amdhsa_user_sgpr_queue_ptr 0
		.amdhsa_user_sgpr_kernarg_segment_ptr 1
		.amdhsa_user_sgpr_dispatch_id 0
		.amdhsa_user_sgpr_private_segment_size 0
		.amdhsa_wavefront_size32 1
		.amdhsa_uses_dynamic_stack 0
		.amdhsa_enable_private_segment 0
		.amdhsa_system_sgpr_workgroup_id_x 1
		.amdhsa_system_sgpr_workgroup_id_y 1
		.amdhsa_system_sgpr_workgroup_id_z 1
		.amdhsa_system_sgpr_workgroup_info 0
		.amdhsa_system_vgpr_workitem_id 1
		.amdhsa_next_free_vgpr 32
		.amdhsa_next_free_sgpr 38
		.amdhsa_reserve_vcc 1
		.amdhsa_float_round_mode_32 0
		.amdhsa_float_round_mode_16_64 0
		.amdhsa_float_denorm_mode_32 3
		.amdhsa_float_denorm_mode_16_64 3
		.amdhsa_fp16_overflow 0
		.amdhsa_workgroup_processor_mode 1
		.amdhsa_memory_ordered 1
		.amdhsa_forward_progress 1
		.amdhsa_inst_pref_size 24
		.amdhsa_round_robin_scheduling 0
		.amdhsa_exception_fp_ieee_invalid_op 0
		.amdhsa_exception_fp_denorm_src 0
		.amdhsa_exception_fp_ieee_div_zero 0
		.amdhsa_exception_fp_ieee_overflow 0
		.amdhsa_exception_fp_ieee_underflow 0
		.amdhsa_exception_fp_ieee_inexact 0
		.amdhsa_exception_int_div_zero 0
	.end_amdhsa_kernel
	.section	.text._ZL13mul_mat_vec_qIL9ggml_type39ELi1ELb1ELb0EEvPKvS2_PKi31ggml_cuda_mm_fusion_args_devicePfj15HIP_vector_typeIjLj3EEjjjS8_jjjS8_jjjj,"axG",@progbits,_ZL13mul_mat_vec_qIL9ggml_type39ELi1ELb1ELb0EEvPKvS2_PKi31ggml_cuda_mm_fusion_args_devicePfj15HIP_vector_typeIjLj3EEjjjS8_jjjS8_jjjj,comdat
.Lfunc_end75:
	.size	_ZL13mul_mat_vec_qIL9ggml_type39ELi1ELb1ELb0EEvPKvS2_PKi31ggml_cuda_mm_fusion_args_devicePfj15HIP_vector_typeIjLj3EEjjjS8_jjjS8_jjjj, .Lfunc_end75-_ZL13mul_mat_vec_qIL9ggml_type39ELi1ELb1ELb0EEvPKvS2_PKi31ggml_cuda_mm_fusion_args_devicePfj15HIP_vector_typeIjLj3EEjjjS8_jjjS8_jjjj
                                        ; -- End function
	.set _ZL13mul_mat_vec_qIL9ggml_type39ELi1ELb1ELb0EEvPKvS2_PKi31ggml_cuda_mm_fusion_args_devicePfj15HIP_vector_typeIjLj3EEjjjS8_jjjS8_jjjj.num_vgpr, 32
	.set _ZL13mul_mat_vec_qIL9ggml_type39ELi1ELb1ELb0EEvPKvS2_PKi31ggml_cuda_mm_fusion_args_devicePfj15HIP_vector_typeIjLj3EEjjjS8_jjjS8_jjjj.num_agpr, 0
	.set _ZL13mul_mat_vec_qIL9ggml_type39ELi1ELb1ELb0EEvPKvS2_PKi31ggml_cuda_mm_fusion_args_devicePfj15HIP_vector_typeIjLj3EEjjjS8_jjjS8_jjjj.numbered_sgpr, 38
	.set _ZL13mul_mat_vec_qIL9ggml_type39ELi1ELb1ELb0EEvPKvS2_PKi31ggml_cuda_mm_fusion_args_devicePfj15HIP_vector_typeIjLj3EEjjjS8_jjjS8_jjjj.num_named_barrier, 0
	.set _ZL13mul_mat_vec_qIL9ggml_type39ELi1ELb1ELb0EEvPKvS2_PKi31ggml_cuda_mm_fusion_args_devicePfj15HIP_vector_typeIjLj3EEjjjS8_jjjS8_jjjj.private_seg_size, 0
	.set _ZL13mul_mat_vec_qIL9ggml_type39ELi1ELb1ELb0EEvPKvS2_PKi31ggml_cuda_mm_fusion_args_devicePfj15HIP_vector_typeIjLj3EEjjjS8_jjjS8_jjjj.uses_vcc, 1
	.set _ZL13mul_mat_vec_qIL9ggml_type39ELi1ELb1ELb0EEvPKvS2_PKi31ggml_cuda_mm_fusion_args_devicePfj15HIP_vector_typeIjLj3EEjjjS8_jjjS8_jjjj.uses_flat_scratch, 0
	.set _ZL13mul_mat_vec_qIL9ggml_type39ELi1ELb1ELb0EEvPKvS2_PKi31ggml_cuda_mm_fusion_args_devicePfj15HIP_vector_typeIjLj3EEjjjS8_jjjS8_jjjj.has_dyn_sized_stack, 0
	.set _ZL13mul_mat_vec_qIL9ggml_type39ELi1ELb1ELb0EEvPKvS2_PKi31ggml_cuda_mm_fusion_args_devicePfj15HIP_vector_typeIjLj3EEjjjS8_jjjS8_jjjj.has_recursion, 0
	.set _ZL13mul_mat_vec_qIL9ggml_type39ELi1ELb1ELb0EEvPKvS2_PKi31ggml_cuda_mm_fusion_args_devicePfj15HIP_vector_typeIjLj3EEjjjS8_jjjS8_jjjj.has_indirect_call, 0
	.section	.AMDGPU.csdata,"",@progbits
; Kernel info:
; codeLenInByte = 3040
; TotalNumSgprs: 40
; NumVgprs: 32
; ScratchSize: 0
; MemoryBound: 0
; FloatMode: 240
; IeeeMode: 1
; LDSByteSize: 0 bytes/workgroup (compile time only)
; SGPRBlocks: 0
; VGPRBlocks: 3
; NumSGPRsForWavesPerEU: 40
; NumVGPRsForWavesPerEU: 32
; Occupancy: 16
; WaveLimiterHint : 0
; COMPUTE_PGM_RSRC2:SCRATCH_EN: 0
; COMPUTE_PGM_RSRC2:USER_SGPR: 2
; COMPUTE_PGM_RSRC2:TRAP_HANDLER: 0
; COMPUTE_PGM_RSRC2:TGID_X_EN: 1
; COMPUTE_PGM_RSRC2:TGID_Y_EN: 1
; COMPUTE_PGM_RSRC2:TGID_Z_EN: 1
; COMPUTE_PGM_RSRC2:TIDIG_COMP_CNT: 1
	.section	.text._ZL13mul_mat_vec_qIL9ggml_type39ELi1ELb0ELb0EEvPKvS2_PKi31ggml_cuda_mm_fusion_args_devicePfj15HIP_vector_typeIjLj3EEjjjS8_jjjS8_jjjj,"axG",@progbits,_ZL13mul_mat_vec_qIL9ggml_type39ELi1ELb0ELb0EEvPKvS2_PKi31ggml_cuda_mm_fusion_args_devicePfj15HIP_vector_typeIjLj3EEjjjS8_jjjS8_jjjj,comdat
	.globl	_ZL13mul_mat_vec_qIL9ggml_type39ELi1ELb0ELb0EEvPKvS2_PKi31ggml_cuda_mm_fusion_args_devicePfj15HIP_vector_typeIjLj3EEjjjS8_jjjS8_jjjj ; -- Begin function _ZL13mul_mat_vec_qIL9ggml_type39ELi1ELb0ELb0EEvPKvS2_PKi31ggml_cuda_mm_fusion_args_devicePfj15HIP_vector_typeIjLj3EEjjjS8_jjjS8_jjjj
	.p2align	8
	.type	_ZL13mul_mat_vec_qIL9ggml_type39ELi1ELb0ELb0EEvPKvS2_PKi31ggml_cuda_mm_fusion_args_devicePfj15HIP_vector_typeIjLj3EEjjjS8_jjjS8_jjjj,@function
_ZL13mul_mat_vec_qIL9ggml_type39ELi1ELb0ELb0EEvPKvS2_PKi31ggml_cuda_mm_fusion_args_devicePfj15HIP_vector_typeIjLj3EEjjjS8_jjjS8_jjjj: ; @_ZL13mul_mat_vec_qIL9ggml_type39ELi1ELb0ELb0EEvPKvS2_PKi31ggml_cuda_mm_fusion_args_devicePfj15HIP_vector_typeIjLj3EEjjjS8_jjjS8_jjjj
; %bb.0:
	s_clause 0x1
	s_load_b64 s[2:3], s[0:1], 0x10
	s_load_b128 s[8:11], s[0:1], 0x40
	s_and_b32 s15, ttmp7, 0xffff
	s_wait_kmcnt 0x0
	s_cmp_lg_u64 s[2:3], 0
	s_cselect_b32 s12, -1, 0
	s_cmp_eq_u64 s[2:3], 0
	s_cbranch_scc1 .LBB76_13
; %bb.1:
	s_lshl_b32 s4, s15, 2
	s_load_b32 s19, s[2:3], s4 offset:0x0
	s_clause 0x1
	s_load_b128 s[4:7], s[0:1], 0x68
	s_load_b32 s20, s[0:1], 0x50
	s_cbranch_execnz .LBB76_3
.LBB76_2:
	s_load_b64 s[2:3], s[0:1], 0x5c
	s_wait_kmcnt 0x0
	s_mul_hi_u32 s2, s2, s15
	s_delay_alu instid0(SALU_CYCLE_1) | instskip(NEXT) | instid1(SALU_CYCLE_1)
	s_add_co_i32 s2, s15, s2
	s_lshr_b32 s19, s2, s3
.LBB76_3:
	s_load_b32 s21, s[0:1], 0x78
	s_and_not1_b32 vcc_lo, exec_lo, s12
	s_mov_b32 s22, s15
	s_cbranch_vccnz .LBB76_5
; %bb.4:
	s_mul_hi_u32 s2, s9, s15
	s_delay_alu instid0(SALU_CYCLE_1) | instskip(NEXT) | instid1(SALU_CYCLE_1)
	s_add_co_i32 s2, s15, s2
	s_lshr_b32 s2, s2, s10
	s_delay_alu instid0(SALU_CYCLE_1) | instskip(NEXT) | instid1(SALU_CYCLE_1)
	s_mul_i32 s2, s2, s11
	s_sub_co_i32 s22, s15, s2
.LBB76_5:
	v_bfe_u32 v3, v0, 10, 10
	v_dual_mov_b32 v5, 0 :: v_dual_and_b32 v2, 0x3ff, v0
	s_load_b96 s[12:14], s[0:1], 0x80
	s_lshr_b32 s18, s8, 5
	s_delay_alu instid0(VALU_DEP_2) | instskip(SKIP_2) | instid1(VALU_DEP_1)
	v_lshlrev_b32_e32 v0, 5, v3
	s_lshr_b32 s16, ttmp7, 16
	s_mov_b32 s17, exec_lo
	v_add_nc_u16 v1, v0, v2
	s_delay_alu instid0(VALU_DEP_1) | instskip(NEXT) | instid1(VALU_DEP_1)
	v_lshrrev_b16 v1, 1, v1
	v_and_b32_e32 v4, 0xffff, v1
	s_delay_alu instid0(VALU_DEP_1)
	v_cmpx_gt_u32_e64 s18, v4
	s_cbranch_execz .LBB76_9
; %bb.6:
	s_load_b128 s[8:11], s[0:1], 0x0
	s_wait_kmcnt 0x0
	s_mul_hi_u32 s7, s7, s16
	v_or_b32_e32 v0, v0, v2
	s_mul_i32 s22, s22, s5
	s_add_co_i32 s5, s16, s7
	s_mul_i32 s2, s13, s16
	s_mov_b32 s3, 0
	s_lshr_b32 s5, s5, s21
	s_mov_b32 s23, s3
	s_mul_i32 s20, s20, ttmp9
	s_mul_i32 s5, s5, s12
	s_mul_u64 s[12:13], s[2:3], 36
	v_lshrrev_b32_e32 v0, 1, v0
	s_add_co_i32 s5, s5, s20
	s_mul_u64 s[20:21], s[22:23], 36
	v_lshlrev_b32_e32 v5, 3, v2
	v_and_b32_e32 v7, 1, v2
	s_mul_i32 s4, s19, s4
	s_mov_b32 s7, 0xf4f8fafc
	s_add_co_i32 s4, s4, s5
	s_add_nc_u64 s[10:11], s[10:11], s[12:13]
	v_dual_mov_b32 v5, 0 :: v_dual_and_b32 v6, 8, v5
	s_add_nc_u64 s[10:11], s[10:11], s[20:21]
	v_lshlrev_b32_e32 v7, 3, v7
	v_mad_co_u64_u32 v[0:1], null, v0, 36, s[10:11]
	s_mov_b32 s5, 0xc080604
	s_mov_b32 s10, 0x4040404
.LBB76_7:                               ; =>This Inner Loop Header: Depth=1
	v_add_nc_u32_e32 v10, s4, v4
	v_add_co_u32 v8, vcc_lo, v0, v7
	s_wait_alu 0xfffd
	v_add_co_ci_u32_e64 v9, null, 0, v1, vcc_lo
	s_delay_alu instid0(VALU_DEP_3)
	v_mad_co_i64_i32 v[10:11], null, v10, 17, s[8:9]
	s_clause 0x1
	global_load_b64 v[12:13], v[8:9], off offset:4
	global_load_b64 v[8:9], v[8:9], off offset:20
	v_add_nc_u32_e32 v4, 16, v4
	v_add_co_u32 v14, vcc_lo, v10, v6
	s_wait_alu 0xfffd
	v_add_co_ci_u32_e64 v15, null, 0, v11, vcc_lo
	s_delay_alu instid0(VALU_DEP_3)
	v_cmp_le_u32_e64 s2, s18, v4
	s_clause 0x1
	global_load_b64 v[14:15], v[14:15], off offset:1
	global_load_u8 v10, v[10:11], off
	global_load_b32 v11, v[0:1], off
	s_or_b32 s3, s2, s3
	s_wait_loadcnt 0x2
	v_ashrrev_i32_e32 v17, 4, v14
	v_and_b32_e32 v18, 0x7070707, v14
	v_lshrrev_b32_e32 v14, 1, v14
	v_ashrrev_i32_e32 v19, 4, v15
	v_and_b32_e32 v20, 0x7070707, v15
	v_and_b32_e32 v22, 0x7070707, v17
	v_perm_b32 v21, s5, 0x3020100, v18
	v_perm_b32 v18, s7, 0xfdfeff00, v18
	s_wait_alu 0xfffe
	v_and_or_b32 v14, v14, s10, 0x3020100
	v_lshrrev_b32_e32 v17, 1, v17
	v_lshrrev_b32_e32 v15, 1, v15
	v_perm_b32 v25, s5, 0x3020100, v22
	v_perm_b32 v22, s7, 0xfdfeff00, v22
	;; [unrolled: 1-line block ×3, first 2 shown]
	v_and_or_b32 v17, v17, s10, 0x3020100
	v_perm_b32 v23, s5, 0x3020100, v20
	v_and_b32_e32 v24, 0x7070707, v19
	v_perm_b32 v20, s7, 0xfdfeff00, v20
	v_and_or_b32 v15, v15, s10, 0x3020100
	v_lshrrev_b32_e32 v18, 1, v19
	v_perm_b32 v17, v22, v25, v17
	v_dot4_i32_iu8 v12, v14, v12, 0 neg_lo:[1,1,0]
	v_perm_b32 v19, s5, 0x3020100, v24
	v_perm_b32 v14, s7, 0xfdfeff00, v24
	;; [unrolled: 1-line block ×3, first 2 shown]
	v_and_or_b32 v18, v18, s10, 0x3020100
	v_dot4_i32_iu8 v8, v17, v8, v12 neg_lo:[1,1,0]
	s_wait_loadcnt 0x0
	v_cvt_f32_f16_e32 v11, v11
	v_lshlrev_b32_e32 v16, 23, v10
	v_cmp_ne_u32_e32 vcc_lo, 0, v10
	v_perm_b32 v14, v14, v19, v18
	v_dot4_i32_iu8 v8, v15, v13, v8 neg_lo:[1,1,0]
	s_delay_alu instid0(VALU_DEP_4) | instskip(NEXT) | instid1(VALU_DEP_2)
	v_mul_f32_e32 v12, 0.5, v16
	v_dot4_i32_iu8 v8, v14, v9, v8 neg_lo:[1,1,0]
	s_wait_alu 0xfffd
	s_delay_alu instid0(VALU_DEP_2) | instskip(SKIP_1) | instid1(VALU_DEP_3)
	v_cndmask_b32_e32 v10, 0x200000, v12, vcc_lo
	v_add_co_u32 v0, vcc_lo, 0x240, v0
	v_cvt_f32_i32_e32 v8, v8
	s_wait_alu 0xfffd
	v_add_co_ci_u32_e64 v1, null, 0, v1, vcc_lo
	v_mul_f32_e32 v9, v10, v11
	s_delay_alu instid0(VALU_DEP_1)
	v_fmac_f32_e32 v5, v9, v8
	s_and_not1_b32 exec_lo, exec_lo, s3
	s_cbranch_execnz .LBB76_7
; %bb.8:
	s_or_b32 exec_lo, exec_lo, s3
.LBB76_9:
	s_delay_alu instid0(SALU_CYCLE_1)
	s_or_b32 exec_lo, exec_lo, s17
	; wave barrier
	global_inv scope:SCOPE_SE
	s_mov_b32 s2, exec_lo
	v_cmpx_eq_u32_e32 0, v3
	s_cbranch_execz .LBB76_12
; %bb.10:
	v_mbcnt_lo_u32_b32 v0, -1, 0
	s_delay_alu instid0(VALU_DEP_1) | instskip(SKIP_2) | instid1(VALU_DEP_3)
	v_xor_b32_e32 v1, 16, v0
	v_xor_b32_e32 v3, 8, v0
	;; [unrolled: 1-line block ×3, first 2 shown]
	v_cmp_gt_i32_e32 vcc_lo, 32, v1
	s_wait_alu 0xfffd
	v_cndmask_b32_e32 v1, v0, v1, vcc_lo
	v_cmp_gt_i32_e32 vcc_lo, 32, v3
	s_wait_alu 0xfffd
	v_cndmask_b32_e32 v3, v0, v3, vcc_lo
	v_cmp_gt_i32_e32 vcc_lo, 32, v4
	s_wait_alu 0xfffd
	s_delay_alu instid0(VALU_DEP_2) | instskip(NEXT) | instid1(VALU_DEP_1)
	v_dual_cndmask_b32 v4, v0, v4 :: v_dual_lshlrev_b32 v3, 2, v3
	v_lshlrev_b32_e32 v4, 2, v4
	v_lshlrev_b32_e32 v1, 2, v1
	ds_bpermute_b32 v1, v1, v5
	s_wait_dscnt 0x0
	v_add_f32_e32 v1, v5, v1
	ds_bpermute_b32 v3, v3, v1
	s_wait_dscnt 0x0
	v_add_f32_e32 v1, v1, v3
	ds_bpermute_b32 v3, v4, v1
	v_xor_b32_e32 v4, 2, v0
	s_delay_alu instid0(VALU_DEP_1) | instskip(SKIP_3) | instid1(VALU_DEP_1)
	v_cmp_gt_i32_e32 vcc_lo, 32, v4
	s_wait_alu 0xfffd
	v_cndmask_b32_e32 v4, v0, v4, vcc_lo
	s_wait_dscnt 0x0
	v_dual_add_f32 v1, v1, v3 :: v_dual_lshlrev_b32 v4, 2, v4
	ds_bpermute_b32 v3, v4, v1
	v_xor_b32_e32 v4, 1, v0
	s_delay_alu instid0(VALU_DEP_1) | instskip(SKIP_3) | instid1(VALU_DEP_2)
	v_cmp_gt_i32_e32 vcc_lo, 32, v4
	s_wait_alu 0xfffd
	v_cndmask_b32_e32 v0, v0, v4, vcc_lo
	v_cmp_eq_u32_e32 vcc_lo, 0, v2
	v_lshlrev_b32_e32 v4, 2, v0
	s_wait_dscnt 0x0
	v_add_f32_e32 v0, v1, v3
	ds_bpermute_b32 v1, v4, v0
	s_and_b32 exec_lo, exec_lo, vcc_lo
	s_cbranch_execz .LBB76_12
; %bb.11:
	s_load_b64 s[0:1], s[0:1], 0x38
	s_wait_kmcnt 0x0
	s_mul_i32 s2, s6, s15
	s_mul_i32 s3, s14, s16
	s_add_co_i32 s2, s2, ttmp9
	s_wait_dscnt 0x0
	v_dual_add_f32 v0, v0, v1 :: v_dual_mov_b32 v1, 0
	s_add_co_i32 s2, s2, s3
	s_mov_b32 s3, 0
	s_delay_alu instid0(SALU_CYCLE_1) | instskip(NEXT) | instid1(SALU_CYCLE_1)
	s_lshl_b64 s[2:3], s[2:3], 2
	s_add_nc_u64 s[0:1], s[0:1], s[2:3]
	global_store_b32 v1, v0, s[0:1]
.LBB76_12:
	s_endpgm
.LBB76_13:
                                        ; implicit-def: $sgpr19
	s_clause 0x1
	s_load_b128 s[4:7], s[0:1], 0x68
	s_load_b32 s20, s[0:1], 0x50
	s_branch .LBB76_2
	.section	.rodata,"a",@progbits
	.p2align	6, 0x0
	.amdhsa_kernel _ZL13mul_mat_vec_qIL9ggml_type39ELi1ELb0ELb0EEvPKvS2_PKi31ggml_cuda_mm_fusion_args_devicePfj15HIP_vector_typeIjLj3EEjjjS8_jjjS8_jjjj
		.amdhsa_group_segment_fixed_size 0
		.amdhsa_private_segment_fixed_size 0
		.amdhsa_kernarg_size 144
		.amdhsa_user_sgpr_count 2
		.amdhsa_user_sgpr_dispatch_ptr 0
		.amdhsa_user_sgpr_queue_ptr 0
		.amdhsa_user_sgpr_kernarg_segment_ptr 1
		.amdhsa_user_sgpr_dispatch_id 0
		.amdhsa_user_sgpr_private_segment_size 0
		.amdhsa_wavefront_size32 1
		.amdhsa_uses_dynamic_stack 0
		.amdhsa_enable_private_segment 0
		.amdhsa_system_sgpr_workgroup_id_x 1
		.amdhsa_system_sgpr_workgroup_id_y 1
		.amdhsa_system_sgpr_workgroup_id_z 1
		.amdhsa_system_sgpr_workgroup_info 0
		.amdhsa_system_vgpr_workitem_id 1
		.amdhsa_next_free_vgpr 26
		.amdhsa_next_free_sgpr 24
		.amdhsa_reserve_vcc 1
		.amdhsa_float_round_mode_32 0
		.amdhsa_float_round_mode_16_64 0
		.amdhsa_float_denorm_mode_32 3
		.amdhsa_float_denorm_mode_16_64 3
		.amdhsa_fp16_overflow 0
		.amdhsa_workgroup_processor_mode 1
		.amdhsa_memory_ordered 1
		.amdhsa_forward_progress 1
		.amdhsa_inst_pref_size 10
		.amdhsa_round_robin_scheduling 0
		.amdhsa_exception_fp_ieee_invalid_op 0
		.amdhsa_exception_fp_denorm_src 0
		.amdhsa_exception_fp_ieee_div_zero 0
		.amdhsa_exception_fp_ieee_overflow 0
		.amdhsa_exception_fp_ieee_underflow 0
		.amdhsa_exception_fp_ieee_inexact 0
		.amdhsa_exception_int_div_zero 0
	.end_amdhsa_kernel
	.section	.text._ZL13mul_mat_vec_qIL9ggml_type39ELi1ELb0ELb0EEvPKvS2_PKi31ggml_cuda_mm_fusion_args_devicePfj15HIP_vector_typeIjLj3EEjjjS8_jjjS8_jjjj,"axG",@progbits,_ZL13mul_mat_vec_qIL9ggml_type39ELi1ELb0ELb0EEvPKvS2_PKi31ggml_cuda_mm_fusion_args_devicePfj15HIP_vector_typeIjLj3EEjjjS8_jjjS8_jjjj,comdat
.Lfunc_end76:
	.size	_ZL13mul_mat_vec_qIL9ggml_type39ELi1ELb0ELb0EEvPKvS2_PKi31ggml_cuda_mm_fusion_args_devicePfj15HIP_vector_typeIjLj3EEjjjS8_jjjS8_jjjj, .Lfunc_end76-_ZL13mul_mat_vec_qIL9ggml_type39ELi1ELb0ELb0EEvPKvS2_PKi31ggml_cuda_mm_fusion_args_devicePfj15HIP_vector_typeIjLj3EEjjjS8_jjjS8_jjjj
                                        ; -- End function
	.set _ZL13mul_mat_vec_qIL9ggml_type39ELi1ELb0ELb0EEvPKvS2_PKi31ggml_cuda_mm_fusion_args_devicePfj15HIP_vector_typeIjLj3EEjjjS8_jjjS8_jjjj.num_vgpr, 26
	.set _ZL13mul_mat_vec_qIL9ggml_type39ELi1ELb0ELb0EEvPKvS2_PKi31ggml_cuda_mm_fusion_args_devicePfj15HIP_vector_typeIjLj3EEjjjS8_jjjS8_jjjj.num_agpr, 0
	.set _ZL13mul_mat_vec_qIL9ggml_type39ELi1ELb0ELb0EEvPKvS2_PKi31ggml_cuda_mm_fusion_args_devicePfj15HIP_vector_typeIjLj3EEjjjS8_jjjS8_jjjj.numbered_sgpr, 24
	.set _ZL13mul_mat_vec_qIL9ggml_type39ELi1ELb0ELb0EEvPKvS2_PKi31ggml_cuda_mm_fusion_args_devicePfj15HIP_vector_typeIjLj3EEjjjS8_jjjS8_jjjj.num_named_barrier, 0
	.set _ZL13mul_mat_vec_qIL9ggml_type39ELi1ELb0ELb0EEvPKvS2_PKi31ggml_cuda_mm_fusion_args_devicePfj15HIP_vector_typeIjLj3EEjjjS8_jjjS8_jjjj.private_seg_size, 0
	.set _ZL13mul_mat_vec_qIL9ggml_type39ELi1ELb0ELb0EEvPKvS2_PKi31ggml_cuda_mm_fusion_args_devicePfj15HIP_vector_typeIjLj3EEjjjS8_jjjS8_jjjj.uses_vcc, 1
	.set _ZL13mul_mat_vec_qIL9ggml_type39ELi1ELb0ELb0EEvPKvS2_PKi31ggml_cuda_mm_fusion_args_devicePfj15HIP_vector_typeIjLj3EEjjjS8_jjjS8_jjjj.uses_flat_scratch, 0
	.set _ZL13mul_mat_vec_qIL9ggml_type39ELi1ELb0ELb0EEvPKvS2_PKi31ggml_cuda_mm_fusion_args_devicePfj15HIP_vector_typeIjLj3EEjjjS8_jjjS8_jjjj.has_dyn_sized_stack, 0
	.set _ZL13mul_mat_vec_qIL9ggml_type39ELi1ELb0ELb0EEvPKvS2_PKi31ggml_cuda_mm_fusion_args_devicePfj15HIP_vector_typeIjLj3EEjjjS8_jjjS8_jjjj.has_recursion, 0
	.set _ZL13mul_mat_vec_qIL9ggml_type39ELi1ELb0ELb0EEvPKvS2_PKi31ggml_cuda_mm_fusion_args_devicePfj15HIP_vector_typeIjLj3EEjjjS8_jjjS8_jjjj.has_indirect_call, 0
	.section	.AMDGPU.csdata,"",@progbits
; Kernel info:
; codeLenInByte = 1232
; TotalNumSgprs: 26
; NumVgprs: 26
; ScratchSize: 0
; MemoryBound: 0
; FloatMode: 240
; IeeeMode: 1
; LDSByteSize: 0 bytes/workgroup (compile time only)
; SGPRBlocks: 0
; VGPRBlocks: 3
; NumSGPRsForWavesPerEU: 26
; NumVGPRsForWavesPerEU: 26
; Occupancy: 16
; WaveLimiterHint : 0
; COMPUTE_PGM_RSRC2:SCRATCH_EN: 0
; COMPUTE_PGM_RSRC2:USER_SGPR: 2
; COMPUTE_PGM_RSRC2:TRAP_HANDLER: 0
; COMPUTE_PGM_RSRC2:TGID_X_EN: 1
; COMPUTE_PGM_RSRC2:TGID_Y_EN: 1
; COMPUTE_PGM_RSRC2:TGID_Z_EN: 1
; COMPUTE_PGM_RSRC2:TIDIG_COMP_CNT: 1
	.section	.text._ZL13mul_mat_vec_qIL9ggml_type39ELi2ELb0ELb0EEvPKvS2_PKi31ggml_cuda_mm_fusion_args_devicePfj15HIP_vector_typeIjLj3EEjjjS8_jjjS8_jjjj,"axG",@progbits,_ZL13mul_mat_vec_qIL9ggml_type39ELi2ELb0ELb0EEvPKvS2_PKi31ggml_cuda_mm_fusion_args_devicePfj15HIP_vector_typeIjLj3EEjjjS8_jjjS8_jjjj,comdat
	.globl	_ZL13mul_mat_vec_qIL9ggml_type39ELi2ELb0ELb0EEvPKvS2_PKi31ggml_cuda_mm_fusion_args_devicePfj15HIP_vector_typeIjLj3EEjjjS8_jjjS8_jjjj ; -- Begin function _ZL13mul_mat_vec_qIL9ggml_type39ELi2ELb0ELb0EEvPKvS2_PKi31ggml_cuda_mm_fusion_args_devicePfj15HIP_vector_typeIjLj3EEjjjS8_jjjS8_jjjj
	.p2align	8
	.type	_ZL13mul_mat_vec_qIL9ggml_type39ELi2ELb0ELb0EEvPKvS2_PKi31ggml_cuda_mm_fusion_args_devicePfj15HIP_vector_typeIjLj3EEjjjS8_jjjS8_jjjj,@function
_ZL13mul_mat_vec_qIL9ggml_type39ELi2ELb0ELb0EEvPKvS2_PKi31ggml_cuda_mm_fusion_args_devicePfj15HIP_vector_typeIjLj3EEjjjS8_jjjS8_jjjj: ; @_ZL13mul_mat_vec_qIL9ggml_type39ELi2ELb0ELb0EEvPKvS2_PKi31ggml_cuda_mm_fusion_args_devicePfj15HIP_vector_typeIjLj3EEjjjS8_jjjS8_jjjj
; %bb.0:
	v_bfe_u32 v4, v0, 10, 10
	s_clause 0x5
	s_load_b32 s2, s[0:1], 0x40
	s_load_b96 s[16:18], s[0:1], 0x80
	s_load_b128 s[4:7], s[0:1], 0x50
	s_load_b32 s23, s[0:1], 0x60
	s_load_b128 s[8:11], s[0:1], 0x68
	s_load_b32 s24, s[0:1], 0x78
	v_dual_mov_b32 v3, 0 :: v_dual_and_b32 v2, 0x3ff, v0
	v_lshlrev_b32_e32 v0, 5, v4
	s_and_b32 s19, ttmp7, 0xffff
	s_lshr_b32 s20, ttmp7, 16
	s_mov_b32 s22, exec_lo
	v_mov_b32_e32 v6, 0
	v_add_nc_u16 v0, v0, v2
	s_delay_alu instid0(VALU_DEP_1) | instskip(NEXT) | instid1(VALU_DEP_1)
	v_lshrrev_b16 v0, 1, v0
	v_and_b32_e32 v5, 0xffff, v0
	s_wait_kmcnt 0x0
	s_lshr_b32 s21, s2, 5
	s_delay_alu instid0(VALU_DEP_1) | instid1(SALU_CYCLE_1)
	v_cmpx_gt_u32_e64 s21, v5
	s_cbranch_execz .LBB77_4
; %bb.1:
	s_load_b128 s[12:15], s[0:1], 0x0
	s_mul_i32 s2, s17, s20
	s_mov_b32 s3, 0
	s_mul_hi_u32 s7, s7, s19
	s_mul_hi_u32 s11, s11, s20
	s_mul_u64 s[26:27], s[2:3], 36
	s_mul_i32 s2, s9, s19
	s_add_co_i32 s7, s19, s7
	v_lshlrev_b32_e32 v1, 1, v2
	v_dual_mov_b32 v3, 0 :: v_dual_and_b32 v6, 1, v2
	s_add_co_i32 s9, s20, s11
	s_mul_u64 s[28:29], s[2:3], 36
	s_lshr_b32 s2, s7, s23
	v_and_b32_e32 v0, 0xffff, v0
	s_lshr_b32 s7, s9, s24
	s_mul_i32 s2, s2, s8
	v_lshlrev_b32_e32 v8, 3, v6
	v_dual_mov_b32 v6, 0 :: v_dual_and_b32 v9, 2, v1
	s_wait_kmcnt 0x0
	s_add_nc_u64 s[8:9], s[14:15], s[26:27]
	s_mul_i32 s4, s4, ttmp9
	s_add_nc_u64 s[8:9], s[8:9], s[28:29]
	s_mul_i32 s7, s7, s16
	v_mad_co_u64_u32 v[0:1], null, v0, 36, s[8:9]
	v_lshlrev_b32_e32 v7, 2, v9
	v_lshlrev_b32_e32 v9, 2, v9
	s_add_co_i32 s2, s2, s4
	s_mov_b32 s11, 0xf4f8fafc
	s_add_co_i32 s4, s7, s2
	s_mov_b32 s7, 0xc080604
	s_mov_b32 s14, 0x4040404
.LBB77_2:                               ; =>This Inner Loop Header: Depth=1
	v_add_nc_u32_e32 v12, s4, v5
	v_add_nc_u32_e32 v14, s5, v5
	v_add_co_u32 v10, vcc_lo, v0, v8
	s_wait_alu 0xfffd
	v_add_co_ci_u32_e64 v11, null, 0, v1, vcc_lo
	v_mad_co_i64_i32 v[12:13], null, v12, 17, s[12:13]
	v_mad_co_u64_u32 v[14:15], null, v14, 36, s[8:9]
	s_clause 0x2
	global_load_b32 v22, v[0:1], off
	global_load_b64 v[16:17], v[10:11], off offset:4
	global_load_b64 v[10:11], v[10:11], off offset:20
	v_add_co_u32 v18, vcc_lo, v12, v7
	s_wait_alu 0xfffd
	v_add_co_ci_u32_e64 v19, null, 0, v13, vcc_lo
	v_add_co_u32 v20, vcc_lo, v14, v9
	s_wait_alu 0xfffd
	v_add_co_ci_u32_e64 v21, null, 0, v15, vcc_lo
	s_clause 0x1
	global_load_b64 v[18:19], v[18:19], off offset:1
	global_load_u8 v23, v[12:13], off
	s_clause 0x2
	global_load_b64 v[12:13], v[20:21], off offset:4
	global_load_b64 v[20:21], v[20:21], off offset:20
	global_load_b32 v14, v[14:15], off
	s_wait_loadcnt 0x7
	v_cvt_f32_f16_e32 v15, v22
	s_wait_loadcnt 0x4
	v_ashrrev_i32_e32 v22, 4, v18
	v_and_b32_e32 v24, 0x7070707, v18
	v_lshrrev_b32_e32 v18, 1, v18
	v_ashrrev_i32_e32 v25, 4, v19
	v_and_b32_e32 v26, 0x7070707, v19
	v_and_b32_e32 v29, 0x7070707, v22
	v_perm_b32 v28, s7, 0x3020100, v24
	v_perm_b32 v24, s11, 0xfdfeff00, v24
	v_and_or_b32 v18, v18, s14, 0x3020100
	v_lshrrev_b32_e32 v22, 1, v22
	v_lshrrev_b32_e32 v19, 1, v19
	v_perm_b32 v32, s7, 0x3020100, v29
	v_perm_b32 v29, s11, 0xfdfeff00, v29
	;; [unrolled: 1-line block ×3, first 2 shown]
	v_and_or_b32 v22, v22, s14, 0x3020100
	v_perm_b32 v30, s7, 0x3020100, v26
	v_and_b32_e32 v31, 0x7070707, v25
	v_perm_b32 v26, s11, 0xfdfeff00, v26
	v_and_or_b32 v19, v19, s14, 0x3020100
	v_lshrrev_b32_e32 v25, 1, v25
	v_perm_b32 v22, v29, v32, v22
	v_dot4_i32_iu8 v16, v18, v16, 0 neg_lo:[1,1,0]
	v_perm_b32 v24, s7, 0x3020100, v31
	v_perm_b32 v28, s11, 0xfdfeff00, v31
	s_wait_loadcnt 0x2
	v_dot4_i32_iu8 v12, v18, v12, 0 neg_lo:[1,1,0]
	v_perm_b32 v18, v26, v30, v19
	v_and_or_b32 v19, v25, s14, 0x3020100
	v_dot4_i32_iu8 v10, v22, v10, v16 neg_lo:[1,1,0]
	v_cmp_ne_u32_e32 vcc_lo, 0, v23
	s_wait_loadcnt 0x1
	v_dot4_i32_iu8 v12, v22, v20, v12 neg_lo:[1,1,0]
	s_wait_loadcnt 0x0
	v_cvt_f32_f16_e32 v14, v14
	v_perm_b32 v19, v28, v24, v19
	v_dot4_i32_iu8 v10, v18, v17, v10 neg_lo:[1,1,0]
	v_dot4_i32_iu8 v12, v18, v13, v12 neg_lo:[1,1,0]
	s_delay_alu instid0(VALU_DEP_2) | instskip(NEXT) | instid1(VALU_DEP_2)
	v_dot4_i32_iu8 v10, v19, v11, v10 neg_lo:[1,1,0]
	v_dot4_i32_iu8 v11, v19, v21, v12 neg_lo:[1,1,0]
	s_delay_alu instid0(VALU_DEP_2) | instskip(SKIP_2) | instid1(VALU_DEP_4)
	v_cvt_f32_i32_e32 v10, v10
	v_lshlrev_b32_e32 v27, 23, v23
	v_add_nc_u32_e32 v5, 16, v5
	v_cvt_f32_i32_e32 v11, v11
	s_delay_alu instid0(VALU_DEP_3) | instskip(NEXT) | instid1(VALU_DEP_3)
	v_mul_f32_e32 v16, 0.5, v27
	v_cmp_le_u32_e64 s2, s21, v5
	s_wait_alu 0xfffd
	s_delay_alu instid0(VALU_DEP_2) | instskip(SKIP_3) | instid1(VALU_DEP_3)
	v_cndmask_b32_e32 v13, 0x200000, v16, vcc_lo
	v_add_co_u32 v0, vcc_lo, 0x240, v0
	s_wait_alu 0xfffd
	v_add_co_ci_u32_e64 v1, null, 0, v1, vcc_lo
	v_mul_f32_e32 v12, v13, v15
	v_mul_f32_e32 v13, v13, v14
	s_or_b32 s3, s2, s3
	s_delay_alu instid0(VALU_DEP_1)
	v_dual_fmac_f32 v6, v12, v10 :: v_dual_fmac_f32 v3, v13, v11
	s_and_not1_b32 exec_lo, exec_lo, s3
	s_cbranch_execnz .LBB77_2
; %bb.3:
	s_or_b32 exec_lo, exec_lo, s3
.LBB77_4:
	s_delay_alu instid0(SALU_CYCLE_1)
	s_or_b32 exec_lo, exec_lo, s22
	s_mov_b32 s3, 0
	; wave barrier
	global_inv scope:SCOPE_SE
	s_mov_b32 s2, exec_lo
	v_cmpx_eq_u32_e32 0, v4
	s_cbranch_execz .LBB77_9
; %bb.5:
	v_mbcnt_lo_u32_b32 v7, -1, 0
	s_load_b64 s[0:1], s[0:1], 0x38
	s_mul_i32 s2, s10, s19
	s_mul_i32 s4, s18, s20
	s_add_co_i32 s2, s2, ttmp9
	v_xor_b32_e32 v0, 16, v7
	v_xor_b32_e32 v1, 8, v7
	s_wait_alu 0xfffe
	s_add_co_i32 s2, s2, s4
	s_delay_alu instid0(SALU_CYCLE_1)
	s_lshl_b64 s[2:3], s[2:3], 2
	v_cmp_gt_i32_e32 vcc_lo, 32, v0
	s_wait_alu 0xfffd
	v_cndmask_b32_e32 v0, v7, v0, vcc_lo
	v_cmp_gt_i32_e32 vcc_lo, 32, v1
	s_wait_alu 0xfffd
	v_cndmask_b32_e32 v1, v7, v1, vcc_lo
	s_wait_kmcnt 0x0
	s_add_nc_u64 s[0:1], s[0:1], s[2:3]
	s_delay_alu instid0(VALU_DEP_1)
	v_lshlrev_b32_e32 v1, 2, v1
	v_lshlrev_b32_e32 v0, 2, v0
	ds_bpermute_b32 v4, v0, v6
	s_wait_dscnt 0x0
	v_add_f32_e32 v5, v6, v4
	v_xor_b32_e32 v4, 4, v7
	ds_bpermute_b32 v6, v1, v5
	v_cmp_gt_i32_e32 vcc_lo, 32, v4
	s_wait_alu 0xfffd
	v_cndmask_b32_e32 v4, v7, v4, vcc_lo
	s_wait_dscnt 0x0
	v_add_f32_e32 v6, v5, v6
	v_xor_b32_e32 v5, 2, v7
	s_delay_alu instid0(VALU_DEP_1) | instskip(SKIP_2) | instid1(VALU_DEP_1)
	v_cmp_gt_i32_e32 vcc_lo, 32, v5
	s_wait_alu 0xfffd
	v_cndmask_b32_e32 v5, v7, v5, vcc_lo
	v_lshlrev_b32_e32 v5, 2, v5
	v_lshlrev_b32_e32 v4, 2, v4
	ds_bpermute_b32 v8, v4, v6
	s_wait_dscnt 0x0
	v_add_f32_e32 v8, v6, v8
	v_xor_b32_e32 v6, 1, v7
	ds_bpermute_b32 v9, v5, v8
	v_cmp_gt_i32_e32 vcc_lo, 32, v6
	s_wait_alu 0xfffd
	v_cndmask_b32_e32 v6, v7, v6, vcc_lo
	v_cmp_eq_u32_e32 vcc_lo, 0, v2
	s_wait_dscnt 0x0
	s_delay_alu instid0(VALU_DEP_2)
	v_dual_add_f32 v7, v8, v9 :: v_dual_lshlrev_b32 v6, 2, v6
	ds_bpermute_b32 v8, v6, v7
	s_and_saveexec_b32 s2, vcc_lo
	s_cbranch_execz .LBB77_7
; %bb.6:
	s_wait_dscnt 0x0
	v_dual_add_f32 v2, v7, v8 :: v_dual_mov_b32 v7, 0
	global_store_b32 v7, v2, s[0:1]
.LBB77_7:
	s_or_b32 exec_lo, exec_lo, s2
	ds_bpermute_b32 v0, v0, v3
	s_wait_dscnt 0x0
	v_add_f32_e32 v0, v3, v0
	ds_bpermute_b32 v1, v1, v0
	s_wait_dscnt 0x0
	v_add_f32_e32 v0, v0, v1
	;; [unrolled: 3-line block ×4, first 2 shown]
	ds_bpermute_b32 v1, v6, v0
	s_and_b32 exec_lo, exec_lo, vcc_lo
	s_cbranch_execz .LBB77_9
; %bb.8:
	s_mov_b32 s7, 0
	s_wait_dscnt 0x0
	v_dual_add_f32 v0, v0, v1 :: v_dual_mov_b32 v1, 0
	s_wait_alu 0xfffe
	s_lshl_b64 s[2:3], s[6:7], 2
	s_delay_alu instid0(SALU_CYCLE_1)
	s_add_nc_u64 s[0:1], s[0:1], s[2:3]
	global_store_b32 v1, v0, s[0:1]
.LBB77_9:
	s_endpgm
	.section	.rodata,"a",@progbits
	.p2align	6, 0x0
	.amdhsa_kernel _ZL13mul_mat_vec_qIL9ggml_type39ELi2ELb0ELb0EEvPKvS2_PKi31ggml_cuda_mm_fusion_args_devicePfj15HIP_vector_typeIjLj3EEjjjS8_jjjS8_jjjj
		.amdhsa_group_segment_fixed_size 0
		.amdhsa_private_segment_fixed_size 0
		.amdhsa_kernarg_size 144
		.amdhsa_user_sgpr_count 2
		.amdhsa_user_sgpr_dispatch_ptr 0
		.amdhsa_user_sgpr_queue_ptr 0
		.amdhsa_user_sgpr_kernarg_segment_ptr 1
		.amdhsa_user_sgpr_dispatch_id 0
		.amdhsa_user_sgpr_private_segment_size 0
		.amdhsa_wavefront_size32 1
		.amdhsa_uses_dynamic_stack 0
		.amdhsa_enable_private_segment 0
		.amdhsa_system_sgpr_workgroup_id_x 1
		.amdhsa_system_sgpr_workgroup_id_y 1
		.amdhsa_system_sgpr_workgroup_id_z 1
		.amdhsa_system_sgpr_workgroup_info 0
		.amdhsa_system_vgpr_workitem_id 1
		.amdhsa_next_free_vgpr 33
		.amdhsa_next_free_sgpr 30
		.amdhsa_reserve_vcc 1
		.amdhsa_float_round_mode_32 0
		.amdhsa_float_round_mode_16_64 0
		.amdhsa_float_denorm_mode_32 3
		.amdhsa_float_denorm_mode_16_64 3
		.amdhsa_fp16_overflow 0
		.amdhsa_workgroup_processor_mode 1
		.amdhsa_memory_ordered 1
		.amdhsa_forward_progress 1
		.amdhsa_inst_pref_size 11
		.amdhsa_round_robin_scheduling 0
		.amdhsa_exception_fp_ieee_invalid_op 0
		.amdhsa_exception_fp_denorm_src 0
		.amdhsa_exception_fp_ieee_div_zero 0
		.amdhsa_exception_fp_ieee_overflow 0
		.amdhsa_exception_fp_ieee_underflow 0
		.amdhsa_exception_fp_ieee_inexact 0
		.amdhsa_exception_int_div_zero 0
	.end_amdhsa_kernel
	.section	.text._ZL13mul_mat_vec_qIL9ggml_type39ELi2ELb0ELb0EEvPKvS2_PKi31ggml_cuda_mm_fusion_args_devicePfj15HIP_vector_typeIjLj3EEjjjS8_jjjS8_jjjj,"axG",@progbits,_ZL13mul_mat_vec_qIL9ggml_type39ELi2ELb0ELb0EEvPKvS2_PKi31ggml_cuda_mm_fusion_args_devicePfj15HIP_vector_typeIjLj3EEjjjS8_jjjS8_jjjj,comdat
.Lfunc_end77:
	.size	_ZL13mul_mat_vec_qIL9ggml_type39ELi2ELb0ELb0EEvPKvS2_PKi31ggml_cuda_mm_fusion_args_devicePfj15HIP_vector_typeIjLj3EEjjjS8_jjjS8_jjjj, .Lfunc_end77-_ZL13mul_mat_vec_qIL9ggml_type39ELi2ELb0ELb0EEvPKvS2_PKi31ggml_cuda_mm_fusion_args_devicePfj15HIP_vector_typeIjLj3EEjjjS8_jjjS8_jjjj
                                        ; -- End function
	.set _ZL13mul_mat_vec_qIL9ggml_type39ELi2ELb0ELb0EEvPKvS2_PKi31ggml_cuda_mm_fusion_args_devicePfj15HIP_vector_typeIjLj3EEjjjS8_jjjS8_jjjj.num_vgpr, 33
	.set _ZL13mul_mat_vec_qIL9ggml_type39ELi2ELb0ELb0EEvPKvS2_PKi31ggml_cuda_mm_fusion_args_devicePfj15HIP_vector_typeIjLj3EEjjjS8_jjjS8_jjjj.num_agpr, 0
	.set _ZL13mul_mat_vec_qIL9ggml_type39ELi2ELb0ELb0EEvPKvS2_PKi31ggml_cuda_mm_fusion_args_devicePfj15HIP_vector_typeIjLj3EEjjjS8_jjjS8_jjjj.numbered_sgpr, 30
	.set _ZL13mul_mat_vec_qIL9ggml_type39ELi2ELb0ELb0EEvPKvS2_PKi31ggml_cuda_mm_fusion_args_devicePfj15HIP_vector_typeIjLj3EEjjjS8_jjjS8_jjjj.num_named_barrier, 0
	.set _ZL13mul_mat_vec_qIL9ggml_type39ELi2ELb0ELb0EEvPKvS2_PKi31ggml_cuda_mm_fusion_args_devicePfj15HIP_vector_typeIjLj3EEjjjS8_jjjS8_jjjj.private_seg_size, 0
	.set _ZL13mul_mat_vec_qIL9ggml_type39ELi2ELb0ELb0EEvPKvS2_PKi31ggml_cuda_mm_fusion_args_devicePfj15HIP_vector_typeIjLj3EEjjjS8_jjjS8_jjjj.uses_vcc, 1
	.set _ZL13mul_mat_vec_qIL9ggml_type39ELi2ELb0ELb0EEvPKvS2_PKi31ggml_cuda_mm_fusion_args_devicePfj15HIP_vector_typeIjLj3EEjjjS8_jjjS8_jjjj.uses_flat_scratch, 0
	.set _ZL13mul_mat_vec_qIL9ggml_type39ELi2ELb0ELb0EEvPKvS2_PKi31ggml_cuda_mm_fusion_args_devicePfj15HIP_vector_typeIjLj3EEjjjS8_jjjS8_jjjj.has_dyn_sized_stack, 0
	.set _ZL13mul_mat_vec_qIL9ggml_type39ELi2ELb0ELb0EEvPKvS2_PKi31ggml_cuda_mm_fusion_args_devicePfj15HIP_vector_typeIjLj3EEjjjS8_jjjS8_jjjj.has_recursion, 0
	.set _ZL13mul_mat_vec_qIL9ggml_type39ELi2ELb0ELb0EEvPKvS2_PKi31ggml_cuda_mm_fusion_args_devicePfj15HIP_vector_typeIjLj3EEjjjS8_jjjS8_jjjj.has_indirect_call, 0
	.section	.AMDGPU.csdata,"",@progbits
; Kernel info:
; codeLenInByte = 1380
; TotalNumSgprs: 32
; NumVgprs: 33
; ScratchSize: 0
; MemoryBound: 0
; FloatMode: 240
; IeeeMode: 1
; LDSByteSize: 0 bytes/workgroup (compile time only)
; SGPRBlocks: 0
; VGPRBlocks: 4
; NumSGPRsForWavesPerEU: 32
; NumVGPRsForWavesPerEU: 33
; Occupancy: 16
; WaveLimiterHint : 0
; COMPUTE_PGM_RSRC2:SCRATCH_EN: 0
; COMPUTE_PGM_RSRC2:USER_SGPR: 2
; COMPUTE_PGM_RSRC2:TRAP_HANDLER: 0
; COMPUTE_PGM_RSRC2:TGID_X_EN: 1
; COMPUTE_PGM_RSRC2:TGID_Y_EN: 1
; COMPUTE_PGM_RSRC2:TGID_Z_EN: 1
; COMPUTE_PGM_RSRC2:TIDIG_COMP_CNT: 1
	.section	.text._ZL13mul_mat_vec_qIL9ggml_type39ELi3ELb0ELb0EEvPKvS2_PKi31ggml_cuda_mm_fusion_args_devicePfj15HIP_vector_typeIjLj3EEjjjS8_jjjS8_jjjj,"axG",@progbits,_ZL13mul_mat_vec_qIL9ggml_type39ELi3ELb0ELb0EEvPKvS2_PKi31ggml_cuda_mm_fusion_args_devicePfj15HIP_vector_typeIjLj3EEjjjS8_jjjS8_jjjj,comdat
	.globl	_ZL13mul_mat_vec_qIL9ggml_type39ELi3ELb0ELb0EEvPKvS2_PKi31ggml_cuda_mm_fusion_args_devicePfj15HIP_vector_typeIjLj3EEjjjS8_jjjS8_jjjj ; -- Begin function _ZL13mul_mat_vec_qIL9ggml_type39ELi3ELb0ELb0EEvPKvS2_PKi31ggml_cuda_mm_fusion_args_devicePfj15HIP_vector_typeIjLj3EEjjjS8_jjjS8_jjjj
	.p2align	8
	.type	_ZL13mul_mat_vec_qIL9ggml_type39ELi3ELb0ELb0EEvPKvS2_PKi31ggml_cuda_mm_fusion_args_devicePfj15HIP_vector_typeIjLj3EEjjjS8_jjjS8_jjjj,@function
_ZL13mul_mat_vec_qIL9ggml_type39ELi3ELb0ELb0EEvPKvS2_PKi31ggml_cuda_mm_fusion_args_devicePfj15HIP_vector_typeIjLj3EEjjjS8_jjjS8_jjjj: ; @_ZL13mul_mat_vec_qIL9ggml_type39ELi3ELb0ELb0EEvPKvS2_PKi31ggml_cuda_mm_fusion_args_devicePfj15HIP_vector_typeIjLj3EEjjjS8_jjjS8_jjjj
; %bb.0:
	v_bfe_u32 v5, v0, 10, 10
	s_clause 0x5
	s_load_b32 s2, s[0:1], 0x40
	s_load_b96 s[16:18], s[0:1], 0x80
	s_load_b128 s[4:7], s[0:1], 0x50
	s_load_b32 s23, s[0:1], 0x60
	s_load_b128 s[8:11], s[0:1], 0x68
	s_load_b32 s24, s[0:1], 0x78
	v_dual_mov_b32 v3, 0 :: v_dual_and_b32 v2, 0x3ff, v0
	v_dual_mov_b32 v7, 0 :: v_dual_lshlrev_b32 v0, 5, v5
	v_mov_b32_e32 v4, 0
	s_and_b32 s19, ttmp7, 0xffff
	s_lshr_b32 s20, ttmp7, 16
	s_delay_alu instid0(VALU_DEP_2) | instskip(SKIP_1) | instid1(VALU_DEP_1)
	v_add_nc_u16 v0, v0, v2
	s_mov_b32 s21, exec_lo
	v_lshrrev_b16 v0, 1, v0
	s_delay_alu instid0(VALU_DEP_1)
	v_and_b32_e32 v6, 0xffff, v0
	s_wait_kmcnt 0x0
	s_lshr_b32 s22, s2, 5
	s_delay_alu instid0(VALU_DEP_1) | instid1(SALU_CYCLE_1)
	v_cmpx_gt_u32_e64 s22, v6
	s_cbranch_execz .LBB78_4
; %bb.1:
	s_load_b128 s[12:15], s[0:1], 0x0
	s_mul_i32 s2, s17, s20
	s_mov_b32 s3, 0
	s_mul_hi_u32 s7, s7, s19
	v_lshlrev_b32_e32 v1, 1, v2
	v_dual_mov_b32 v3, 0 :: v_dual_and_b32 v4, 1, v2
	s_mul_hi_u32 s11, s11, s20
	s_mul_u64 s[26:27], s[2:3], 36
	s_mul_i32 s2, s9, s19
	s_add_co_i32 s7, s19, s7
	s_add_co_i32 s9, s20, s11
	s_mul_u64 s[28:29], s[2:3], 36
	s_lshr_b32 s2, s7, s23
	v_and_b32_e32 v0, 0xffff, v0
	v_dual_mov_b32 v4, 0 :: v_dual_lshlrev_b32 v9, 3, v4
	v_and_b32_e32 v7, 2, v1
	s_lshr_b32 s7, s9, s24
	s_mul_i32 s2, s2, s8
	s_wait_kmcnt 0x0
	s_add_nc_u64 s[8:9], s[14:15], s[26:27]
	s_mul_i32 s4, s4, ttmp9
	s_add_nc_u64 s[8:9], s[8:9], s[28:29]
	v_lshlrev_b32_e32 v8, 2, v7
	v_dual_mov_b32 v7, 0 :: v_dual_lshlrev_b32 v10, 2, v7
	v_mad_co_u64_u32 v[0:1], null, v0, 36, s[8:9]
	s_mul_i32 s7, s7, s16
	s_add_co_i32 s2, s2, s4
	s_mov_b32 s11, 0xc080604
	s_add_co_i32 s4, s7, s2
	s_lshl_b32 s7, s5, 1
	s_mov_b32 s14, 0xf4f8fafc
	s_mov_b32 s15, 0x4040404
.LBB78_2:                               ; =>This Inner Loop Header: Depth=1
	v_add_nc_u32_e32 v13, s4, v6
	v_add_nc_u32_e32 v17, s7, v6
	;; [unrolled: 1-line block ×3, first 2 shown]
	v_add_co_u32 v11, vcc_lo, v0, v9
	s_delay_alu instid0(VALU_DEP_4) | instskip(NEXT) | instid1(VALU_DEP_4)
	v_mad_co_i64_i32 v[13:14], null, v13, 17, s[12:13]
	v_mad_co_u64_u32 v[17:18], null, v17, 36, s[8:9]
	s_delay_alu instid0(VALU_DEP_4) | instskip(SKIP_2) | instid1(VALU_DEP_4)
	v_mad_co_u64_u32 v[19:20], null, v19, 36, s[8:9]
	s_wait_alu 0xfffd
	v_add_co_ci_u32_e64 v12, null, 0, v1, vcc_lo
	v_add_co_u32 v21, vcc_lo, v13, v8
	s_wait_alu 0xfffd
	v_add_co_ci_u32_e64 v22, null, 0, v14, vcc_lo
	v_add_co_u32 v23, vcc_lo, v17, v10
	;; [unrolled: 3-line block ×3, first 2 shown]
	s_wait_alu 0xfffd
	v_add_co_ci_u32_e64 v26, null, 0, v20, vcc_lo
	s_clause 0x2
	global_load_b32 v29, v[0:1], off
	global_load_b64 v[15:16], v[11:12], off offset:4
	global_load_b64 v[11:12], v[11:12], off offset:20
	s_clause 0x1
	global_load_b64 v[21:22], v[21:22], off offset:1
	global_load_u8 v30, v[13:14], off
	s_clause 0x5
	global_load_b64 v[13:14], v[23:24], off offset:4
	global_load_b64 v[23:24], v[23:24], off offset:20
	global_load_b64 v[27:28], v[25:26], off offset:4
	global_load_b64 v[25:26], v[25:26], off offset:20
	global_load_b32 v17, v[17:18], off
	global_load_b32 v18, v[19:20], off
	v_add_co_u32 v0, vcc_lo, 0x240, v0
	s_wait_alu 0xfffd
	v_add_co_ci_u32_e64 v1, null, 0, v1, vcc_lo
	s_wait_loadcnt 0x7
	v_ashrrev_i32_e32 v31, 4, v22
	v_and_b32_e32 v32, 0x7070707, v22
	v_lshrrev_b32_e32 v22, 1, v22
	s_wait_loadcnt 0x6
	v_lshlrev_b32_e32 v33, 23, v30
	v_add_nc_u32_e32 v6, 16, v6
	v_cmp_ne_u32_e64 s2, 0, v30
	v_perm_b32 v36, s11, 0x3020100, v32
	v_perm_b32 v32, s14, 0xfdfeff00, v32
	v_and_or_b32 v22, v22, s15, 0x3020100
	v_mul_f32_e32 v33, 0.5, v33
	v_cvt_f32_f16_e32 v19, v29
	v_ashrrev_i32_e32 v20, 4, v21
	s_wait_loadcnt 0x0
	v_cvt_f32_f16_e32 v18, v18
	v_perm_b32 v22, v32, v36, v22
	s_wait_alu 0xf1ff
	v_cndmask_b32_e64 v32, 0x200000, v33, s2
	v_and_b32_e32 v29, 0x7070707, v21
	v_lshrrev_b32_e32 v21, 1, v21
	v_and_b32_e32 v35, 0x7070707, v20
	v_lshrrev_b32_e32 v20, 1, v20
	v_and_b32_e32 v37, 0x7070707, v31
	v_perm_b32 v34, s11, 0x3020100, v29
	v_perm_b32 v29, s14, 0xfdfeff00, v29
	v_and_or_b32 v21, v21, s15, 0x3020100
	v_perm_b32 v30, s11, 0x3020100, v35
	v_perm_b32 v35, s14, 0xfdfeff00, v35
	v_and_or_b32 v20, v20, s15, 0x3020100
	v_lshrrev_b32_e32 v31, 1, v31
	v_perm_b32 v21, v29, v34, v21
	v_perm_b32 v29, s11, 0x3020100, v37
	;; [unrolled: 1-line block ×4, first 2 shown]
	v_and_or_b32 v31, v31, s15, 0x3020100
	v_dot4_i32_iu8 v15, v21, v15, 0 neg_lo:[1,1,0]
	v_dot4_i32_iu8 v27, v21, v27, 0 neg_lo:[1,1,0]
	;; [unrolled: 1-line block ×3, first 2 shown]
	v_cvt_f32_f16_e32 v17, v17
	v_perm_b32 v21, v34, v29, v31
	v_dot4_i32_iu8 v11, v20, v11, v15 neg_lo:[1,1,0]
	v_dot4_i32_iu8 v15, v20, v25, v27 neg_lo:[1,1,0]
	;; [unrolled: 1-line block ×3, first 2 shown]
	v_mul_f32_e32 v19, v32, v19
	v_cmp_le_u32_e32 vcc_lo, s22, v6
	v_dot4_i32_iu8 v11, v22, v16, v11 neg_lo:[1,1,0]
	v_dot4_i32_iu8 v15, v22, v28, v15 neg_lo:[1,1,0]
	;; [unrolled: 1-line block ×3, first 2 shown]
	v_mul_f32_e32 v14, v32, v18
	s_or_b32 s3, vcc_lo, s3
	v_dot4_i32_iu8 v11, v21, v12, v11 neg_lo:[1,1,0]
	v_dot4_i32_iu8 v12, v21, v26, v15 neg_lo:[1,1,0]
	;; [unrolled: 1-line block ×3, first 2 shown]
	v_mul_f32_e32 v15, v32, v17
	s_delay_alu instid0(VALU_DEP_4) | instskip(NEXT) | instid1(VALU_DEP_4)
	v_cvt_f32_i32_e32 v11, v11
	v_cvt_f32_i32_e32 v12, v12
	s_delay_alu instid0(VALU_DEP_4) | instskip(NEXT) | instid1(VALU_DEP_2)
	v_cvt_f32_i32_e32 v13, v13
	v_dual_fmac_f32 v7, v19, v11 :: v_dual_fmac_f32 v4, v14, v12
	s_delay_alu instid0(VALU_DEP_2)
	v_fmac_f32_e32 v3, v15, v13
	s_wait_alu 0xfffe
	s_and_not1_b32 exec_lo, exec_lo, s3
	s_cbranch_execnz .LBB78_2
; %bb.3:
	s_or_b32 exec_lo, exec_lo, s3
.LBB78_4:
	s_delay_alu instid0(SALU_CYCLE_1)
	s_or_b32 exec_lo, exec_lo, s21
	s_mov_b32 s3, 0
	; wave barrier
	global_inv scope:SCOPE_SE
	s_mov_b32 s2, exec_lo
	v_cmpx_eq_u32_e32 0, v5
	s_cbranch_execz .LBB78_11
; %bb.5:
	v_mbcnt_lo_u32_b32 v8, -1, 0
	s_load_b64 s[0:1], s[0:1], 0x38
	s_mul_i32 s2, s10, s19
	s_mul_i32 s4, s18, s20
	s_wait_alu 0xfffe
	s_add_co_i32 s2, s2, ttmp9
	v_xor_b32_e32 v0, 16, v8
	v_xor_b32_e32 v1, 8, v8
	s_wait_alu 0xfffe
	s_add_co_i32 s2, s2, s4
	s_wait_alu 0xfffe
	s_lshl_b64 s[2:3], s[2:3], 2
	v_cmp_gt_i32_e32 vcc_lo, 32, v0
	s_wait_alu 0xfffd
	v_cndmask_b32_e32 v0, v8, v0, vcc_lo
	v_cmp_gt_i32_e32 vcc_lo, 32, v1
	s_wait_alu 0xfffd
	v_cndmask_b32_e32 v1, v8, v1, vcc_lo
	s_wait_kmcnt 0x0
	s_wait_alu 0xfffe
	s_add_nc_u64 s[0:1], s[0:1], s[2:3]
	s_delay_alu instid0(VALU_DEP_1)
	v_lshlrev_b32_e32 v1, 2, v1
	v_lshlrev_b32_e32 v0, 2, v0
	ds_bpermute_b32 v5, v0, v7
	s_wait_dscnt 0x0
	v_add_f32_e32 v6, v7, v5
	v_xor_b32_e32 v5, 4, v8
	ds_bpermute_b32 v7, v1, v6
	v_cmp_gt_i32_e32 vcc_lo, 32, v5
	s_wait_alu 0xfffd
	v_cndmask_b32_e32 v5, v8, v5, vcc_lo
	s_wait_dscnt 0x0
	v_add_f32_e32 v7, v6, v7
	v_xor_b32_e32 v6, 2, v8
	s_delay_alu instid0(VALU_DEP_1)
	v_cmp_gt_i32_e32 vcc_lo, 32, v6
	s_wait_alu 0xfffd
	v_dual_cndmask_b32 v6, v8, v6 :: v_dual_lshlrev_b32 v5, 2, v5
	ds_bpermute_b32 v9, v5, v7
	s_wait_dscnt 0x0
	v_dual_add_f32 v9, v7, v9 :: v_dual_lshlrev_b32 v6, 2, v6
	v_xor_b32_e32 v7, 1, v8
	ds_bpermute_b32 v10, v6, v9
	v_cmp_gt_i32_e32 vcc_lo, 32, v7
	s_wait_alu 0xfffd
	v_cndmask_b32_e32 v7, v8, v7, vcc_lo
	v_cmp_eq_u32_e32 vcc_lo, 0, v2
	s_wait_dscnt 0x0
	s_delay_alu instid0(VALU_DEP_2)
	v_dual_add_f32 v8, v9, v10 :: v_dual_lshlrev_b32 v7, 2, v7
	ds_bpermute_b32 v9, v7, v8
	s_and_saveexec_b32 s2, vcc_lo
	s_cbranch_execz .LBB78_7
; %bb.6:
	s_wait_dscnt 0x0
	v_add_f32_e32 v2, v8, v9
	v_mov_b32_e32 v8, 0
	global_store_b32 v8, v2, s[0:1]
.LBB78_7:
	s_wait_alu 0xfffe
	s_or_b32 exec_lo, exec_lo, s2
	ds_bpermute_b32 v2, v0, v4
	s_wait_dscnt 0x0
	v_add_f32_e32 v2, v4, v2
	ds_bpermute_b32 v4, v1, v2
	s_wait_dscnt 0x0
	v_add_f32_e32 v2, v2, v4
	;; [unrolled: 3-line block ×4, first 2 shown]
	ds_bpermute_b32 v4, v7, v2
	s_and_saveexec_b32 s2, vcc_lo
	s_cbranch_execz .LBB78_9
; %bb.8:
	s_mov_b32 s7, 0
	s_wait_dscnt 0x0
	v_add_f32_e32 v2, v2, v4
	v_mov_b32_e32 v4, 0
	s_wait_alu 0xfffe
	s_lshl_b64 s[4:5], s[6:7], 2
	s_wait_alu 0xfffe
	s_add_nc_u64 s[4:5], s[0:1], s[4:5]
	global_store_b32 v4, v2, s[4:5]
.LBB78_9:
	s_wait_alu 0xfffe
	s_or_b32 exec_lo, exec_lo, s2
	ds_bpermute_b32 v0, v0, v3
	s_wait_dscnt 0x0
	v_add_f32_e32 v0, v3, v0
	ds_bpermute_b32 v1, v1, v0
	s_wait_dscnt 0x0
	v_add_f32_e32 v0, v0, v1
	;; [unrolled: 3-line block ×4, first 2 shown]
	ds_bpermute_b32 v1, v7, v0
	s_and_b32 exec_lo, exec_lo, vcc_lo
	s_cbranch_execz .LBB78_11
; %bb.10:
	s_lshl_b32 s2, s6, 1
	s_mov_b32 s3, 0
	s_wait_dscnt 0x0
	v_dual_add_f32 v0, v0, v1 :: v_dual_mov_b32 v1, 0
	s_wait_alu 0xfffe
	s_lshl_b64 s[2:3], s[2:3], 2
	s_wait_alu 0xfffe
	s_add_nc_u64 s[0:1], s[0:1], s[2:3]
	global_store_b32 v1, v0, s[0:1]
.LBB78_11:
	s_endpgm
	.section	.rodata,"a",@progbits
	.p2align	6, 0x0
	.amdhsa_kernel _ZL13mul_mat_vec_qIL9ggml_type39ELi3ELb0ELb0EEvPKvS2_PKi31ggml_cuda_mm_fusion_args_devicePfj15HIP_vector_typeIjLj3EEjjjS8_jjjS8_jjjj
		.amdhsa_group_segment_fixed_size 0
		.amdhsa_private_segment_fixed_size 0
		.amdhsa_kernarg_size 144
		.amdhsa_user_sgpr_count 2
		.amdhsa_user_sgpr_dispatch_ptr 0
		.amdhsa_user_sgpr_queue_ptr 0
		.amdhsa_user_sgpr_kernarg_segment_ptr 1
		.amdhsa_user_sgpr_dispatch_id 0
		.amdhsa_user_sgpr_private_segment_size 0
		.amdhsa_wavefront_size32 1
		.amdhsa_uses_dynamic_stack 0
		.amdhsa_enable_private_segment 0
		.amdhsa_system_sgpr_workgroup_id_x 1
		.amdhsa_system_sgpr_workgroup_id_y 1
		.amdhsa_system_sgpr_workgroup_id_z 1
		.amdhsa_system_sgpr_workgroup_info 0
		.amdhsa_system_vgpr_workitem_id 1
		.amdhsa_next_free_vgpr 38
		.amdhsa_next_free_sgpr 30
		.amdhsa_reserve_vcc 1
		.amdhsa_float_round_mode_32 0
		.amdhsa_float_round_mode_16_64 0
		.amdhsa_float_denorm_mode_32 3
		.amdhsa_float_denorm_mode_16_64 3
		.amdhsa_fp16_overflow 0
		.amdhsa_workgroup_processor_mode 1
		.amdhsa_memory_ordered 1
		.amdhsa_forward_progress 1
		.amdhsa_inst_pref_size 13
		.amdhsa_round_robin_scheduling 0
		.amdhsa_exception_fp_ieee_invalid_op 0
		.amdhsa_exception_fp_denorm_src 0
		.amdhsa_exception_fp_ieee_div_zero 0
		.amdhsa_exception_fp_ieee_overflow 0
		.amdhsa_exception_fp_ieee_underflow 0
		.amdhsa_exception_fp_ieee_inexact 0
		.amdhsa_exception_int_div_zero 0
	.end_amdhsa_kernel
	.section	.text._ZL13mul_mat_vec_qIL9ggml_type39ELi3ELb0ELb0EEvPKvS2_PKi31ggml_cuda_mm_fusion_args_devicePfj15HIP_vector_typeIjLj3EEjjjS8_jjjS8_jjjj,"axG",@progbits,_ZL13mul_mat_vec_qIL9ggml_type39ELi3ELb0ELb0EEvPKvS2_PKi31ggml_cuda_mm_fusion_args_devicePfj15HIP_vector_typeIjLj3EEjjjS8_jjjS8_jjjj,comdat
.Lfunc_end78:
	.size	_ZL13mul_mat_vec_qIL9ggml_type39ELi3ELb0ELb0EEvPKvS2_PKi31ggml_cuda_mm_fusion_args_devicePfj15HIP_vector_typeIjLj3EEjjjS8_jjjS8_jjjj, .Lfunc_end78-_ZL13mul_mat_vec_qIL9ggml_type39ELi3ELb0ELb0EEvPKvS2_PKi31ggml_cuda_mm_fusion_args_devicePfj15HIP_vector_typeIjLj3EEjjjS8_jjjS8_jjjj
                                        ; -- End function
	.set _ZL13mul_mat_vec_qIL9ggml_type39ELi3ELb0ELb0EEvPKvS2_PKi31ggml_cuda_mm_fusion_args_devicePfj15HIP_vector_typeIjLj3EEjjjS8_jjjS8_jjjj.num_vgpr, 38
	.set _ZL13mul_mat_vec_qIL9ggml_type39ELi3ELb0ELb0EEvPKvS2_PKi31ggml_cuda_mm_fusion_args_devicePfj15HIP_vector_typeIjLj3EEjjjS8_jjjS8_jjjj.num_agpr, 0
	.set _ZL13mul_mat_vec_qIL9ggml_type39ELi3ELb0ELb0EEvPKvS2_PKi31ggml_cuda_mm_fusion_args_devicePfj15HIP_vector_typeIjLj3EEjjjS8_jjjS8_jjjj.numbered_sgpr, 30
	.set _ZL13mul_mat_vec_qIL9ggml_type39ELi3ELb0ELb0EEvPKvS2_PKi31ggml_cuda_mm_fusion_args_devicePfj15HIP_vector_typeIjLj3EEjjjS8_jjjS8_jjjj.num_named_barrier, 0
	.set _ZL13mul_mat_vec_qIL9ggml_type39ELi3ELb0ELb0EEvPKvS2_PKi31ggml_cuda_mm_fusion_args_devicePfj15HIP_vector_typeIjLj3EEjjjS8_jjjS8_jjjj.private_seg_size, 0
	.set _ZL13mul_mat_vec_qIL9ggml_type39ELi3ELb0ELb0EEvPKvS2_PKi31ggml_cuda_mm_fusion_args_devicePfj15HIP_vector_typeIjLj3EEjjjS8_jjjS8_jjjj.uses_vcc, 1
	.set _ZL13mul_mat_vec_qIL9ggml_type39ELi3ELb0ELb0EEvPKvS2_PKi31ggml_cuda_mm_fusion_args_devicePfj15HIP_vector_typeIjLj3EEjjjS8_jjjS8_jjjj.uses_flat_scratch, 0
	.set _ZL13mul_mat_vec_qIL9ggml_type39ELi3ELb0ELb0EEvPKvS2_PKi31ggml_cuda_mm_fusion_args_devicePfj15HIP_vector_typeIjLj3EEjjjS8_jjjS8_jjjj.has_dyn_sized_stack, 0
	.set _ZL13mul_mat_vec_qIL9ggml_type39ELi3ELb0ELb0EEvPKvS2_PKi31ggml_cuda_mm_fusion_args_devicePfj15HIP_vector_typeIjLj3EEjjjS8_jjjS8_jjjj.has_recursion, 0
	.set _ZL13mul_mat_vec_qIL9ggml_type39ELi3ELb0ELb0EEvPKvS2_PKi31ggml_cuda_mm_fusion_args_devicePfj15HIP_vector_typeIjLj3EEjjjS8_jjjS8_jjjj.has_indirect_call, 0
	.section	.AMDGPU.csdata,"",@progbits
; Kernel info:
; codeLenInByte = 1660
; TotalNumSgprs: 32
; NumVgprs: 38
; ScratchSize: 0
; MemoryBound: 0
; FloatMode: 240
; IeeeMode: 1
; LDSByteSize: 0 bytes/workgroup (compile time only)
; SGPRBlocks: 0
; VGPRBlocks: 4
; NumSGPRsForWavesPerEU: 32
; NumVGPRsForWavesPerEU: 38
; Occupancy: 16
; WaveLimiterHint : 0
; COMPUTE_PGM_RSRC2:SCRATCH_EN: 0
; COMPUTE_PGM_RSRC2:USER_SGPR: 2
; COMPUTE_PGM_RSRC2:TRAP_HANDLER: 0
; COMPUTE_PGM_RSRC2:TGID_X_EN: 1
; COMPUTE_PGM_RSRC2:TGID_Y_EN: 1
; COMPUTE_PGM_RSRC2:TGID_Z_EN: 1
; COMPUTE_PGM_RSRC2:TIDIG_COMP_CNT: 1
	.section	.text._ZL13mul_mat_vec_qIL9ggml_type39ELi4ELb0ELb0EEvPKvS2_PKi31ggml_cuda_mm_fusion_args_devicePfj15HIP_vector_typeIjLj3EEjjjS8_jjjS8_jjjj,"axG",@progbits,_ZL13mul_mat_vec_qIL9ggml_type39ELi4ELb0ELb0EEvPKvS2_PKi31ggml_cuda_mm_fusion_args_devicePfj15HIP_vector_typeIjLj3EEjjjS8_jjjS8_jjjj,comdat
	.globl	_ZL13mul_mat_vec_qIL9ggml_type39ELi4ELb0ELb0EEvPKvS2_PKi31ggml_cuda_mm_fusion_args_devicePfj15HIP_vector_typeIjLj3EEjjjS8_jjjS8_jjjj ; -- Begin function _ZL13mul_mat_vec_qIL9ggml_type39ELi4ELb0ELb0EEvPKvS2_PKi31ggml_cuda_mm_fusion_args_devicePfj15HIP_vector_typeIjLj3EEjjjS8_jjjS8_jjjj
	.p2align	8
	.type	_ZL13mul_mat_vec_qIL9ggml_type39ELi4ELb0ELb0EEvPKvS2_PKi31ggml_cuda_mm_fusion_args_devicePfj15HIP_vector_typeIjLj3EEjjjS8_jjjS8_jjjj,@function
_ZL13mul_mat_vec_qIL9ggml_type39ELi4ELb0ELb0EEvPKvS2_PKi31ggml_cuda_mm_fusion_args_devicePfj15HIP_vector_typeIjLj3EEjjjS8_jjjS8_jjjj: ; @_ZL13mul_mat_vec_qIL9ggml_type39ELi4ELb0ELb0EEvPKvS2_PKi31ggml_cuda_mm_fusion_args_devicePfj15HIP_vector_typeIjLj3EEjjjS8_jjjS8_jjjj
; %bb.0:
	v_bfe_u32 v6, v0, 10, 10
	s_clause 0x5
	s_load_b32 s2, s[0:1], 0x40
	s_load_b96 s[16:18], s[0:1], 0x80
	s_load_b128 s[4:7], s[0:1], 0x50
	s_load_b32 s23, s[0:1], 0x60
	s_load_b128 s[8:11], s[0:1], 0x68
	s_load_b32 s24, s[0:1], 0x78
	v_dual_mov_b32 v2, 0 :: v_dual_and_b32 v3, 0x3ff, v0
	v_dual_mov_b32 v5, 0 :: v_dual_lshlrev_b32 v0, 5, v6
	v_mov_b32_e32 v8, 0
	s_and_b32 s19, ttmp7, 0xffff
	s_lshr_b32 s20, ttmp7, 16
	s_delay_alu instid0(VALU_DEP_2) | instskip(SKIP_2) | instid1(VALU_DEP_2)
	v_add_nc_u16 v0, v0, v3
	s_mov_b32 s21, exec_lo
	v_mov_b32_e32 v4, 0
	v_lshrrev_b16 v0, 1, v0
	s_delay_alu instid0(VALU_DEP_1)
	v_and_b32_e32 v7, 0xffff, v0
	s_wait_kmcnt 0x0
	s_lshr_b32 s22, s2, 5
	s_delay_alu instid0(VALU_DEP_1) | instid1(SALU_CYCLE_1)
	v_cmpx_gt_u32_e64 s22, v7
	s_cbranch_execz .LBB79_4
; %bb.1:
	s_load_b128 s[12:15], s[0:1], 0x0
	s_mul_i32 s2, s17, s20
	s_mov_b32 s3, 0
	s_mul_hi_u32 s7, s7, s19
	s_mul_hi_u32 s11, s11, s20
	s_mul_u64 s[26:27], s[2:3], 36
	s_mul_i32 s2, s9, s19
	s_add_co_i32 s7, s19, s7
	v_dual_mov_b32 v2, 0 :: v_dual_lshlrev_b32 v1, 1, v3
	s_add_co_i32 s9, s20, s11
	s_mul_u64 s[28:29], s[2:3], 36
	s_lshr_b32 s2, s7, s23
	v_and_b32_e32 v0, 0xffff, v0
	s_lshr_b32 s7, s9, s24
	s_mul_i32 s2, s2, s8
	v_and_b32_e32 v4, 1, v3
	v_and_b32_e32 v5, 2, v1
	s_mul_i32 s4, s4, ttmp9
	v_mov_b32_e32 v8, 0
	s_wait_kmcnt 0x0
	s_add_nc_u64 s[8:9], s[14:15], s[26:27]
	s_mul_i32 s7, s7, s16
	s_add_nc_u64 s[8:9], s[8:9], s[28:29]
	v_lshlrev_b32_e32 v9, 2, v5
	v_mad_co_u64_u32 v[0:1], null, v0, 36, s[8:9]
	v_lshlrev_b32_e32 v11, 2, v5
	v_dual_mov_b32 v5, 0 :: v_dual_lshlrev_b32 v10, 3, v4
	v_mov_b32_e32 v4, 0
	s_add_co_i32 s2, s2, s4
	s_lshl_b32 s4, s5, 1
	s_add_co_i32 s2, s7, s2
	s_mul_i32 s7, s5, 3
	s_mov_b32 s11, 0xc080604
	s_mov_b32 s14, 0xf4f8fafc
	;; [unrolled: 1-line block ×3, first 2 shown]
.LBB79_2:                               ; =>This Inner Loop Header: Depth=1
	v_add_nc_u32_e32 v14, s2, v7
	v_add_nc_u32_e32 v18, s5, v7
	;; [unrolled: 1-line block ×4, first 2 shown]
	v_add_co_u32 v12, vcc_lo, v0, v10
	v_mad_co_i64_i32 v[14:15], null, v14, 17, s[12:13]
	v_mad_co_u64_u32 v[18:19], null, v18, 36, s[8:9]
	v_mad_co_u64_u32 v[20:21], null, v20, 36, s[8:9]
	;; [unrolled: 1-line block ×3, first 2 shown]
	s_wait_alu 0xfffd
	v_add_co_ci_u32_e64 v13, null, 0, v1, vcc_lo
	v_add_co_u32 v24, vcc_lo, v14, v9
	s_wait_alu 0xfffd
	v_add_co_ci_u32_e64 v25, null, 0, v15, vcc_lo
	v_add_co_u32 v26, vcc_lo, v18, v11
	global_load_b32 v32, v[0:1], off
	s_wait_alu 0xfffd
	v_add_co_ci_u32_e64 v27, null, 0, v19, vcc_lo
	v_add_co_u32 v28, vcc_lo, v20, v11
	s_wait_alu 0xfffd
	v_add_co_ci_u32_e64 v29, null, 0, v21, vcc_lo
	v_add_co_u32 v30, vcc_lo, v22, v11
	s_wait_alu 0xfffd
	v_add_co_ci_u32_e64 v31, null, 0, v23, vcc_lo
	s_clause 0x1
	global_load_b64 v[16:17], v[12:13], off offset:4
	global_load_b64 v[12:13], v[12:13], off offset:20
	s_clause 0x1
	global_load_b64 v[24:25], v[24:25], off offset:1
	global_load_u8 v33, v[14:15], off
	s_clause 0x8
	global_load_b64 v[14:15], v[26:27], off offset:4
	global_load_b64 v[26:27], v[26:27], off offset:20
	global_load_b32 v34, v[20:21], off
	global_load_b32 v35, v[18:19], off
	global_load_b64 v[18:19], v[30:31], off offset:20
	global_load_b64 v[20:21], v[28:29], off offset:4
	;; [unrolled: 1-line block ×4, first 2 shown]
	global_load_b32 v22, v[22:23], off
	v_add_co_u32 v0, vcc_lo, 0x240, v0
	s_wait_alu 0xfffd
	v_add_co_ci_u32_e64 v1, null, 0, v1, vcc_lo
	s_wait_loadcnt 0xd
	v_cvt_f32_f16_e32 v23, v32
	s_wait_loadcnt 0xa
	v_ashrrev_i32_e32 v32, 4, v24
	s_wait_loadcnt 0x9
	v_cmp_ne_u32_e32 vcc_lo, 0, v33
	v_ashrrev_i32_e32 v37, 4, v25
	s_wait_loadcnt 0x6
	v_cvt_f32_f16_e32 v34, v34
	s_wait_loadcnt 0x5
	v_cvt_f32_f16_e32 v35, v35
	v_lshlrev_b32_e32 v39, 23, v33
	v_and_b32_e32 v36, 0x7070707, v24
	v_lshrrev_b32_e32 v24, 1, v24
	v_and_b32_e32 v41, 0x7070707, v32
	v_lshrrev_b32_e32 v32, 1, v32
	v_mul_f32_e32 v39, 0.5, v39
	v_perm_b32 v40, s11, 0x3020100, v36
	v_perm_b32 v36, s14, 0xfdfeff00, v36
	v_and_or_b32 v24, v24, s15, 0x3020100
	v_perm_b32 v33, s11, 0x3020100, v41
	v_perm_b32 v41, s14, 0xfdfeff00, v41
	v_and_or_b32 v32, v32, s15, 0x3020100
	s_wait_loadcnt 0x0
	v_cvt_f32_f16_e32 v22, v22
	v_perm_b32 v24, v36, v40, v24
	s_wait_alu 0xfffd
	v_cndmask_b32_e32 v36, 0x200000, v39, vcc_lo
	v_and_b32_e32 v38, 0x7070707, v25
	v_lshrrev_b32_e32 v25, 1, v25
	v_perm_b32 v32, v41, v33, v32
	v_dot4_i32_iu8 v16, v24, v16, 0 neg_lo:[1,1,0]
	v_dot4_i32_iu8 v14, v24, v14, 0 neg_lo:[1,1,0]
	;; [unrolled: 1-line block ×3, first 2 shown]
	v_and_or_b32 v25, v25, s15, 0x3020100
	v_dot4_i32_iu8 v24, v24, v30, 0 neg_lo:[1,1,0]
	v_mul_f32_e32 v23, v36, v23
	v_perm_b32 v42, s11, 0x3020100, v38
	v_and_b32_e32 v43, 0x7070707, v37
	v_perm_b32 v38, s14, 0xfdfeff00, v38
	v_lshrrev_b32_e32 v37, 1, v37
	v_dot4_i32_iu8 v12, v32, v12, v16 neg_lo:[1,1,0]
	v_dot4_i32_iu8 v14, v32, v26, v14 neg_lo:[1,1,0]
	v_perm_b32 v44, s11, 0x3020100, v43
	v_perm_b32 v43, s14, 0xfdfeff00, v43
	v_and_or_b32 v37, v37, s15, 0x3020100
	v_perm_b32 v25, v38, v42, v25
	v_dot4_i32_iu8 v16, v32, v28, v20 neg_lo:[1,1,0]
	v_dot4_i32_iu8 v18, v32, v18, v24 neg_lo:[1,1,0]
	v_add_nc_u32_e32 v7, 16, v7
	v_perm_b32 v33, v43, v44, v37
	v_dot4_i32_iu8 v12, v25, v17, v12 neg_lo:[1,1,0]
	v_dot4_i32_iu8 v14, v25, v15, v14 neg_lo:[1,1,0]
	;; [unrolled: 1-line block ×4, first 2 shown]
	v_mul_f32_e32 v20, v36, v35
	v_dot4_i32_iu8 v12, v33, v13, v12 neg_lo:[1,1,0]
	v_dot4_i32_iu8 v13, v33, v27, v14 neg_lo:[1,1,0]
	;; [unrolled: 1-line block ×4, first 2 shown]
	v_mul_f32_e32 v17, v36, v34
	v_mul_f32_e32 v16, v36, v22
	v_cvt_f32_i32_e32 v12, v12
	v_cvt_f32_i32_e32 v13, v13
	;; [unrolled: 1-line block ×4, first 2 shown]
	v_cmp_le_u32_e32 vcc_lo, s22, v7
	s_delay_alu instid0(VALU_DEP_4) | instskip(NEXT) | instid1(VALU_DEP_4)
	v_dual_fmac_f32 v8, v23, v12 :: v_dual_fmac_f32 v5, v20, v13
	v_fmac_f32_e32 v4, v17, v14
	s_delay_alu instid0(VALU_DEP_4)
	v_fmac_f32_e32 v2, v16, v15
	s_or_b32 s3, vcc_lo, s3
	s_wait_alu 0xfffe
	s_and_not1_b32 exec_lo, exec_lo, s3
	s_cbranch_execnz .LBB79_2
; %bb.3:
	s_or_b32 exec_lo, exec_lo, s3
.LBB79_4:
	s_delay_alu instid0(SALU_CYCLE_1)
	s_or_b32 exec_lo, exec_lo, s21
	s_mov_b32 s3, 0
	; wave barrier
	global_inv scope:SCOPE_SE
	s_mov_b32 s2, exec_lo
	v_cmpx_eq_u32_e32 0, v6
	s_cbranch_execz .LBB79_13
; %bb.5:
	v_mbcnt_lo_u32_b32 v9, -1, 0
	s_load_b64 s[0:1], s[0:1], 0x38
	s_mul_i32 s2, s10, s19
	s_mul_i32 s4, s18, s20
	s_wait_alu 0xfffe
	s_add_co_i32 s2, s2, ttmp9
	v_xor_b32_e32 v0, 16, v9
	v_xor_b32_e32 v1, 8, v9
	s_wait_alu 0xfffe
	s_add_co_i32 s2, s2, s4
	s_wait_alu 0xfffe
	s_lshl_b64 s[2:3], s[2:3], 2
	v_cmp_gt_i32_e32 vcc_lo, 32, v0
	s_wait_alu 0xfffd
	v_cndmask_b32_e32 v0, v9, v0, vcc_lo
	v_cmp_gt_i32_e32 vcc_lo, 32, v1
	s_wait_alu 0xfffd
	v_cndmask_b32_e32 v1, v9, v1, vcc_lo
	s_wait_kmcnt 0x0
	s_wait_alu 0xfffe
	s_add_nc_u64 s[0:1], s[0:1], s[2:3]
	s_delay_alu instid0(VALU_DEP_1)
	v_lshlrev_b32_e32 v1, 2, v1
	v_lshlrev_b32_e32 v0, 2, v0
	ds_bpermute_b32 v6, v0, v8
	s_wait_dscnt 0x0
	v_add_f32_e32 v7, v8, v6
	v_xor_b32_e32 v6, 4, v9
	ds_bpermute_b32 v8, v1, v7
	v_cmp_gt_i32_e32 vcc_lo, 32, v6
	s_wait_alu 0xfffd
	v_cndmask_b32_e32 v6, v9, v6, vcc_lo
	s_wait_dscnt 0x0
	v_add_f32_e32 v8, v7, v8
	v_xor_b32_e32 v7, 2, v9
	s_delay_alu instid0(VALU_DEP_1) | instskip(SKIP_2) | instid1(VALU_DEP_1)
	v_cmp_gt_i32_e32 vcc_lo, 32, v7
	s_wait_alu 0xfffd
	v_cndmask_b32_e32 v7, v9, v7, vcc_lo
	v_lshlrev_b32_e32 v7, 2, v7
	v_lshlrev_b32_e32 v6, 2, v6
	ds_bpermute_b32 v10, v6, v8
	s_wait_dscnt 0x0
	v_add_f32_e32 v10, v8, v10
	v_xor_b32_e32 v8, 1, v9
	ds_bpermute_b32 v11, v7, v10
	v_cmp_gt_i32_e32 vcc_lo, 32, v8
	s_wait_alu 0xfffd
	v_cndmask_b32_e32 v8, v9, v8, vcc_lo
	v_cmp_eq_u32_e32 vcc_lo, 0, v3
	s_wait_dscnt 0x0
	s_delay_alu instid0(VALU_DEP_2)
	v_dual_add_f32 v9, v10, v11 :: v_dual_lshlrev_b32 v8, 2, v8
	ds_bpermute_b32 v10, v8, v9
	s_and_saveexec_b32 s2, vcc_lo
	s_cbranch_execz .LBB79_7
; %bb.6:
	s_wait_dscnt 0x0
	v_add_f32_e32 v3, v9, v10
	v_mov_b32_e32 v9, 0
	global_store_b32 v9, v3, s[0:1]
.LBB79_7:
	s_wait_alu 0xfffe
	s_or_b32 exec_lo, exec_lo, s2
	ds_bpermute_b32 v3, v0, v5
	s_wait_dscnt 0x0
	v_add_f32_e32 v3, v5, v3
	ds_bpermute_b32 v5, v1, v3
	s_wait_dscnt 0x0
	v_add_f32_e32 v3, v3, v5
	;; [unrolled: 3-line block ×4, first 2 shown]
	ds_bpermute_b32 v5, v8, v3
	s_and_saveexec_b32 s2, vcc_lo
	s_cbranch_execz .LBB79_9
; %bb.8:
	s_mov_b32 s7, 0
	s_wait_dscnt 0x0
	v_add_f32_e32 v3, v3, v5
	v_mov_b32_e32 v5, 0
	s_wait_alu 0xfffe
	s_lshl_b64 s[4:5], s[6:7], 2
	s_wait_alu 0xfffe
	s_add_nc_u64 s[4:5], s[0:1], s[4:5]
	global_store_b32 v5, v3, s[4:5]
.LBB79_9:
	s_wait_alu 0xfffe
	s_or_b32 exec_lo, exec_lo, s2
	ds_bpermute_b32 v3, v0, v4
	s_wait_dscnt 0x0
	v_add_f32_e32 v3, v4, v3
	ds_bpermute_b32 v4, v1, v3
	s_wait_dscnt 0x0
	v_add_f32_e32 v3, v3, v4
	;; [unrolled: 3-line block ×4, first 2 shown]
	ds_bpermute_b32 v4, v8, v3
	s_and_saveexec_b32 s2, vcc_lo
	s_cbranch_execz .LBB79_11
; %bb.10:
	s_lshl_b32 s4, s6, 1
	s_mov_b32 s5, 0
	s_wait_dscnt 0x0
	v_dual_add_f32 v3, v3, v4 :: v_dual_mov_b32 v4, 0
	s_wait_alu 0xfffe
	s_lshl_b64 s[4:5], s[4:5], 2
	s_wait_alu 0xfffe
	s_add_nc_u64 s[4:5], s[0:1], s[4:5]
	global_store_b32 v4, v3, s[4:5]
.LBB79_11:
	s_wait_alu 0xfffe
	s_or_b32 exec_lo, exec_lo, s2
	ds_bpermute_b32 v0, v0, v2
	s_wait_dscnt 0x0
	v_add_f32_e32 v0, v2, v0
	ds_bpermute_b32 v1, v1, v0
	s_wait_dscnt 0x0
	v_add_f32_e32 v0, v0, v1
	;; [unrolled: 3-line block ×4, first 2 shown]
	ds_bpermute_b32 v1, v8, v0
	s_and_b32 exec_lo, exec_lo, vcc_lo
	s_cbranch_execz .LBB79_13
; %bb.12:
	s_mul_i32 s2, s6, 3
	s_mov_b32 s3, 0
	s_wait_dscnt 0x0
	v_dual_add_f32 v0, v0, v1 :: v_dual_mov_b32 v1, 0
	s_wait_alu 0xfffe
	s_lshl_b64 s[2:3], s[2:3], 2
	s_wait_alu 0xfffe
	s_add_nc_u64 s[0:1], s[0:1], s[2:3]
	global_store_b32 v1, v0, s[0:1]
.LBB79_13:
	s_endpgm
	.section	.rodata,"a",@progbits
	.p2align	6, 0x0
	.amdhsa_kernel _ZL13mul_mat_vec_qIL9ggml_type39ELi4ELb0ELb0EEvPKvS2_PKi31ggml_cuda_mm_fusion_args_devicePfj15HIP_vector_typeIjLj3EEjjjS8_jjjS8_jjjj
		.amdhsa_group_segment_fixed_size 0
		.amdhsa_private_segment_fixed_size 0
		.amdhsa_kernarg_size 144
		.amdhsa_user_sgpr_count 2
		.amdhsa_user_sgpr_dispatch_ptr 0
		.amdhsa_user_sgpr_queue_ptr 0
		.amdhsa_user_sgpr_kernarg_segment_ptr 1
		.amdhsa_user_sgpr_dispatch_id 0
		.amdhsa_user_sgpr_private_segment_size 0
		.amdhsa_wavefront_size32 1
		.amdhsa_uses_dynamic_stack 0
		.amdhsa_enable_private_segment 0
		.amdhsa_system_sgpr_workgroup_id_x 1
		.amdhsa_system_sgpr_workgroup_id_y 1
		.amdhsa_system_sgpr_workgroup_id_z 1
		.amdhsa_system_sgpr_workgroup_info 0
		.amdhsa_system_vgpr_workitem_id 1
		.amdhsa_next_free_vgpr 45
		.amdhsa_next_free_sgpr 30
		.amdhsa_reserve_vcc 1
		.amdhsa_float_round_mode_32 0
		.amdhsa_float_round_mode_16_64 0
		.amdhsa_float_denorm_mode_32 3
		.amdhsa_float_denorm_mode_16_64 3
		.amdhsa_fp16_overflow 0
		.amdhsa_workgroup_processor_mode 1
		.amdhsa_memory_ordered 1
		.amdhsa_forward_progress 1
		.amdhsa_inst_pref_size 15
		.amdhsa_round_robin_scheduling 0
		.amdhsa_exception_fp_ieee_invalid_op 0
		.amdhsa_exception_fp_denorm_src 0
		.amdhsa_exception_fp_ieee_div_zero 0
		.amdhsa_exception_fp_ieee_overflow 0
		.amdhsa_exception_fp_ieee_underflow 0
		.amdhsa_exception_fp_ieee_inexact 0
		.amdhsa_exception_int_div_zero 0
	.end_amdhsa_kernel
	.section	.text._ZL13mul_mat_vec_qIL9ggml_type39ELi4ELb0ELb0EEvPKvS2_PKi31ggml_cuda_mm_fusion_args_devicePfj15HIP_vector_typeIjLj3EEjjjS8_jjjS8_jjjj,"axG",@progbits,_ZL13mul_mat_vec_qIL9ggml_type39ELi4ELb0ELb0EEvPKvS2_PKi31ggml_cuda_mm_fusion_args_devicePfj15HIP_vector_typeIjLj3EEjjjS8_jjjS8_jjjj,comdat
.Lfunc_end79:
	.size	_ZL13mul_mat_vec_qIL9ggml_type39ELi4ELb0ELb0EEvPKvS2_PKi31ggml_cuda_mm_fusion_args_devicePfj15HIP_vector_typeIjLj3EEjjjS8_jjjS8_jjjj, .Lfunc_end79-_ZL13mul_mat_vec_qIL9ggml_type39ELi4ELb0ELb0EEvPKvS2_PKi31ggml_cuda_mm_fusion_args_devicePfj15HIP_vector_typeIjLj3EEjjjS8_jjjS8_jjjj
                                        ; -- End function
	.set _ZL13mul_mat_vec_qIL9ggml_type39ELi4ELb0ELb0EEvPKvS2_PKi31ggml_cuda_mm_fusion_args_devicePfj15HIP_vector_typeIjLj3EEjjjS8_jjjS8_jjjj.num_vgpr, 45
	.set _ZL13mul_mat_vec_qIL9ggml_type39ELi4ELb0ELb0EEvPKvS2_PKi31ggml_cuda_mm_fusion_args_devicePfj15HIP_vector_typeIjLj3EEjjjS8_jjjS8_jjjj.num_agpr, 0
	.set _ZL13mul_mat_vec_qIL9ggml_type39ELi4ELb0ELb0EEvPKvS2_PKi31ggml_cuda_mm_fusion_args_devicePfj15HIP_vector_typeIjLj3EEjjjS8_jjjS8_jjjj.numbered_sgpr, 30
	.set _ZL13mul_mat_vec_qIL9ggml_type39ELi4ELb0ELb0EEvPKvS2_PKi31ggml_cuda_mm_fusion_args_devicePfj15HIP_vector_typeIjLj3EEjjjS8_jjjS8_jjjj.num_named_barrier, 0
	.set _ZL13mul_mat_vec_qIL9ggml_type39ELi4ELb0ELb0EEvPKvS2_PKi31ggml_cuda_mm_fusion_args_devicePfj15HIP_vector_typeIjLj3EEjjjS8_jjjS8_jjjj.private_seg_size, 0
	.set _ZL13mul_mat_vec_qIL9ggml_type39ELi4ELb0ELb0EEvPKvS2_PKi31ggml_cuda_mm_fusion_args_devicePfj15HIP_vector_typeIjLj3EEjjjS8_jjjS8_jjjj.uses_vcc, 1
	.set _ZL13mul_mat_vec_qIL9ggml_type39ELi4ELb0ELb0EEvPKvS2_PKi31ggml_cuda_mm_fusion_args_devicePfj15HIP_vector_typeIjLj3EEjjjS8_jjjS8_jjjj.uses_flat_scratch, 0
	.set _ZL13mul_mat_vec_qIL9ggml_type39ELi4ELb0ELb0EEvPKvS2_PKi31ggml_cuda_mm_fusion_args_devicePfj15HIP_vector_typeIjLj3EEjjjS8_jjjS8_jjjj.has_dyn_sized_stack, 0
	.set _ZL13mul_mat_vec_qIL9ggml_type39ELi4ELb0ELb0EEvPKvS2_PKi31ggml_cuda_mm_fusion_args_devicePfj15HIP_vector_typeIjLj3EEjjjS8_jjjS8_jjjj.has_recursion, 0
	.set _ZL13mul_mat_vec_qIL9ggml_type39ELi4ELb0ELb0EEvPKvS2_PKi31ggml_cuda_mm_fusion_args_devicePfj15HIP_vector_typeIjLj3EEjjjS8_jjjS8_jjjj.has_indirect_call, 0
	.section	.AMDGPU.csdata,"",@progbits
; Kernel info:
; codeLenInByte = 1916
; TotalNumSgprs: 32
; NumVgprs: 45
; ScratchSize: 0
; MemoryBound: 0
; FloatMode: 240
; IeeeMode: 1
; LDSByteSize: 0 bytes/workgroup (compile time only)
; SGPRBlocks: 0
; VGPRBlocks: 5
; NumSGPRsForWavesPerEU: 32
; NumVGPRsForWavesPerEU: 45
; Occupancy: 16
; WaveLimiterHint : 0
; COMPUTE_PGM_RSRC2:SCRATCH_EN: 0
; COMPUTE_PGM_RSRC2:USER_SGPR: 2
; COMPUTE_PGM_RSRC2:TRAP_HANDLER: 0
; COMPUTE_PGM_RSRC2:TGID_X_EN: 1
; COMPUTE_PGM_RSRC2:TGID_Y_EN: 1
; COMPUTE_PGM_RSRC2:TGID_Z_EN: 1
; COMPUTE_PGM_RSRC2:TIDIG_COMP_CNT: 1
	.section	.text._ZL13mul_mat_vec_qIL9ggml_type39ELi5ELb0ELb0EEvPKvS2_PKi31ggml_cuda_mm_fusion_args_devicePfj15HIP_vector_typeIjLj3EEjjjS8_jjjS8_jjjj,"axG",@progbits,_ZL13mul_mat_vec_qIL9ggml_type39ELi5ELb0ELb0EEvPKvS2_PKi31ggml_cuda_mm_fusion_args_devicePfj15HIP_vector_typeIjLj3EEjjjS8_jjjS8_jjjj,comdat
	.globl	_ZL13mul_mat_vec_qIL9ggml_type39ELi5ELb0ELb0EEvPKvS2_PKi31ggml_cuda_mm_fusion_args_devicePfj15HIP_vector_typeIjLj3EEjjjS8_jjjS8_jjjj ; -- Begin function _ZL13mul_mat_vec_qIL9ggml_type39ELi5ELb0ELb0EEvPKvS2_PKi31ggml_cuda_mm_fusion_args_devicePfj15HIP_vector_typeIjLj3EEjjjS8_jjjS8_jjjj
	.p2align	8
	.type	_ZL13mul_mat_vec_qIL9ggml_type39ELi5ELb0ELb0EEvPKvS2_PKi31ggml_cuda_mm_fusion_args_devicePfj15HIP_vector_typeIjLj3EEjjjS8_jjjS8_jjjj,@function
_ZL13mul_mat_vec_qIL9ggml_type39ELi5ELb0ELb0EEvPKvS2_PKi31ggml_cuda_mm_fusion_args_devicePfj15HIP_vector_typeIjLj3EEjjjS8_jjjS8_jjjj: ; @_ZL13mul_mat_vec_qIL9ggml_type39ELi5ELb0ELb0EEvPKvS2_PKi31ggml_cuda_mm_fusion_args_devicePfj15HIP_vector_typeIjLj3EEjjjS8_jjjS8_jjjj
; %bb.0:
	v_bfe_u32 v6, v0, 10, 10
	s_clause 0x5
	s_load_b32 s2, s[0:1], 0x40
	s_load_b96 s[16:18], s[0:1], 0x80
	s_load_b128 s[4:7], s[0:1], 0x50
	s_load_b32 s23, s[0:1], 0x60
	s_load_b128 s[8:11], s[0:1], 0x68
	s_load_b32 s24, s[0:1], 0x78
	v_dual_mov_b32 v2, 0 :: v_dual_and_b32 v3, 0x3ff, v0
	v_dual_mov_b32 v5, 0 :: v_dual_lshlrev_b32 v0, 5, v6
	v_dual_mov_b32 v4, 0 :: v_dual_mov_b32 v9, 0
	s_and_b32 s19, ttmp7, 0xffff
	s_delay_alu instid0(VALU_DEP_2) | instskip(SKIP_3) | instid1(VALU_DEP_2)
	v_add_nc_u16 v0, v0, v3
	s_lshr_b32 s20, ttmp7, 16
	s_mov_b32 s21, exec_lo
	v_mov_b32_e32 v7, 0
	v_lshrrev_b16 v0, 1, v0
	s_delay_alu instid0(VALU_DEP_1)
	v_and_b32_e32 v8, 0xffff, v0
	s_wait_kmcnt 0x0
	s_lshr_b32 s22, s2, 5
	s_delay_alu instid0(VALU_DEP_1) | instid1(SALU_CYCLE_1)
	v_cmpx_gt_u32_e64 s22, v8
	s_cbranch_execz .LBB80_4
; %bb.1:
	s_load_b128 s[12:15], s[0:1], 0x0
	s_mul_i32 s2, s17, s20
	s_mov_b32 s3, 0
	s_mul_hi_u32 s7, s7, s19
	s_mul_hi_u32 s11, s11, s20
	s_mul_u64 s[26:27], s[2:3], 36
	s_mul_i32 s2, s9, s19
	s_add_co_i32 s7, s19, s7
	v_dual_mov_b32 v2, 0 :: v_dual_lshlrev_b32 v1, 1, v3
	s_add_co_i32 s9, s20, s11
	s_mul_u64 s[28:29], s[2:3], 36
	s_lshr_b32 s2, s7, s23
	v_dual_mov_b32 v9, 0 :: v_dual_and_b32 v0, 0xffff, v0
	s_lshr_b32 s7, s9, s24
	s_mul_i32 s2, s2, s8
	v_and_b32_e32 v4, 1, v3
	v_and_b32_e32 v5, 2, v1
	s_mul_i32 s4, s4, ttmp9
	s_wait_kmcnt 0x0
	s_add_nc_u64 s[8:9], s[14:15], s[26:27]
	v_mov_b32_e32 v7, 0
	s_add_nc_u64 s[8:9], s[8:9], s[28:29]
	v_lshlrev_b32_e32 v10, 2, v5
	v_mad_co_u64_u32 v[0:1], null, v0, 36, s[8:9]
	v_dual_mov_b32 v5, 0 :: v_dual_lshlrev_b32 v12, 2, v5
	v_dual_mov_b32 v4, 0 :: v_dual_lshlrev_b32 v11, 3, v4
	s_mul_i32 s7, s7, s16
	s_add_co_i32 s2, s2, s4
	s_mul_i32 s11, s5, 3
	s_add_co_i32 s4, s7, s2
	s_lshl_b32 s7, s5, 1
	s_lshl_b32 s14, s5, 2
	s_mov_b32 s15, 0xc080604
	s_mov_b32 s16, 0xf4f8fafc
	;; [unrolled: 1-line block ×3, first 2 shown]
.LBB80_2:                               ; =>This Inner Loop Header: Depth=1
	v_add_nc_u32_e32 v15, s4, v8
	v_add_nc_u32_e32 v19, s5, v8
	;; [unrolled: 1-line block ×5, first 2 shown]
	v_mad_co_i64_i32 v[15:16], null, v15, 17, s[12:13]
	v_mad_co_u64_u32 v[19:20], null, v19, 36, s[8:9]
	v_mad_co_u64_u32 v[21:22], null, v21, 36, s[8:9]
	v_add_co_u32 v13, vcc_lo, v0, v11
	v_mad_co_u64_u32 v[23:24], null, v23, 36, s[8:9]
	s_wait_alu 0xfffd
	v_add_co_ci_u32_e64 v14, null, 0, v1, vcc_lo
	v_mad_co_u64_u32 v[25:26], null, v25, 36, s[8:9]
	v_add_co_u32 v27, vcc_lo, v15, v10
	s_wait_alu 0xfffd
	v_add_co_ci_u32_e64 v28, null, 0, v16, vcc_lo
	v_add_co_u32 v29, vcc_lo, v19, v12
	global_load_b32 v37, v[0:1], off
	s_wait_alu 0xfffd
	v_add_co_ci_u32_e64 v30, null, 0, v20, vcc_lo
	v_add_co_u32 v31, vcc_lo, v21, v12
	s_wait_alu 0xfffd
	v_add_co_ci_u32_e64 v32, null, 0, v22, vcc_lo
	v_add_co_u32 v33, vcc_lo, v23, v12
	;; [unrolled: 3-line block ×3, first 2 shown]
	s_wait_alu 0xfffd
	v_add_co_ci_u32_e64 v36, null, 0, v26, vcc_lo
	s_clause 0x1
	global_load_b64 v[17:18], v[13:14], off offset:4
	global_load_b64 v[13:14], v[13:14], off offset:20
	s_clause 0x1
	global_load_b64 v[27:28], v[27:28], off offset:1
	global_load_u8 v38, v[15:16], off
	s_clause 0xb
	global_load_b64 v[15:16], v[29:30], off offset:4
	global_load_b64 v[29:30], v[29:30], off offset:20
	global_load_b32 v39, v[21:22], off
	global_load_b32 v40, v[19:20], off
	global_load_b64 v[19:20], v[31:32], off offset:4
	global_load_b64 v[21:22], v[31:32], off offset:20
	;; [unrolled: 1-line block ×3, first 2 shown]
	global_load_b32 v41, v[23:24], off
	global_load_b64 v[23:24], v[33:34], off offset:20
	global_load_b64 v[33:34], v[35:36], off offset:4
	;; [unrolled: 1-line block ×3, first 2 shown]
	global_load_b32 v25, v[25:26], off
	v_add_co_u32 v0, vcc_lo, 0x240, v0
	s_wait_alu 0xfffd
	v_add_co_ci_u32_e64 v1, null, 0, v1, vcc_lo
	s_wait_loadcnt 0x10
	v_cvt_f32_f16_e32 v26, v37
	s_wait_loadcnt 0xd
	v_ashrrev_i32_e32 v37, 4, v27
	v_and_b32_e32 v42, 0x7070707, v27
	v_lshrrev_b32_e32 v27, 1, v27
	s_wait_loadcnt 0xc
	v_cmp_ne_u32_e64 s2, 0, v38
	v_ashrrev_i32_e32 v43, 4, v28
	s_wait_loadcnt 0x8
	v_cvt_f32_f16_e32 v40, v40
	v_lshlrev_b32_e32 v45, 23, v38
	v_add_nc_u32_e32 v8, 16, v8
	v_perm_b32 v46, s15, 0x3020100, v42
	v_perm_b32 v42, s16, 0xfdfeff00, v42
	v_and_or_b32 v27, v27, s17, 0x3020100
	v_mul_f32_e32 v45, 0.5, v45
	s_wait_loadcnt 0x4
	v_cvt_f32_f16_e32 v41, v41
	v_cvt_f32_f16_e32 v39, v39
	v_and_b32_e32 v49, 0x7070707, v43
	v_perm_b32 v27, v42, v46, v27
	s_wait_alu 0xf1ff
	v_cndmask_b32_e64 v42, 0x200000, v45, s2
	v_and_b32_e32 v44, 0x7070707, v28
	v_lshrrev_b32_e32 v28, 1, v28
	v_lshrrev_b32_e32 v43, 1, v43
	v_dot4_i32_iu8 v17, v27, v17, 0 neg_lo:[1,1,0]
	v_mul_f32_e32 v41, v42, v41
	v_and_b32_e32 v47, 0x7070707, v37
	v_lshrrev_b32_e32 v37, 1, v37
	v_and_or_b32 v28, v28, s17, 0x3020100
	v_dot4_i32_iu8 v15, v27, v15, 0 neg_lo:[1,1,0]
	v_dot4_i32_iu8 v19, v27, v19, 0 neg_lo:[1,1,0]
	v_perm_b32 v38, s15, 0x3020100, v47
	v_perm_b32 v47, s16, 0xfdfeff00, v47
	v_and_or_b32 v37, v37, s17, 0x3020100
	v_mul_f32_e32 v39, v42, v39
	v_perm_b32 v48, s15, 0x3020100, v44
	v_perm_b32 v44, s16, 0xfdfeff00, v44
	v_dot4_i32_iu8 v31, v27, v31, 0 neg_lo:[1,1,0]
	v_perm_b32 v37, v47, v38, v37
	s_wait_loadcnt 0x2
	v_dot4_i32_iu8 v27, v27, v33, 0 neg_lo:[1,1,0]
	v_perm_b32 v50, s15, 0x3020100, v49
	v_perm_b32 v49, s16, 0xfdfeff00, v49
	v_and_or_b32 v43, v43, s17, 0x3020100
	v_perm_b32 v28, v44, v48, v28
	v_dot4_i32_iu8 v13, v37, v13, v17 neg_lo:[1,1,0]
	v_dot4_i32_iu8 v15, v37, v29, v15 neg_lo:[1,1,0]
	;; [unrolled: 1-line block ×4, first 2 shown]
	s_wait_loadcnt 0x1
	v_dot4_i32_iu8 v21, v37, v35, v27 neg_lo:[1,1,0]
	v_perm_b32 v38, v49, v50, v43
	v_dot4_i32_iu8 v13, v28, v18, v13 neg_lo:[1,1,0]
	v_dot4_i32_iu8 v15, v28, v16, v15 neg_lo:[1,1,0]
	;; [unrolled: 1-line block ×5, first 2 shown]
	s_wait_loadcnt 0x0
	v_cvt_f32_f16_e32 v25, v25
	v_dot4_i32_iu8 v13, v38, v14, v13 neg_lo:[1,1,0]
	v_dot4_i32_iu8 v14, v38, v30, v15 neg_lo:[1,1,0]
	;; [unrolled: 1-line block ×5, first 2 shown]
	v_mul_f32_e32 v26, v42, v26
	v_mul_f32_e32 v40, v42, v40
	v_mul_f32_e32 v25, v42, v25
	v_cvt_f32_i32_e32 v13, v13
	v_cvt_f32_i32_e32 v14, v14
	v_cvt_f32_i32_e32 v15, v15
	v_cvt_f32_i32_e32 v16, v16
	v_cvt_f32_i32_e32 v17, v17
	v_cmp_le_u32_e32 vcc_lo, s22, v8
	v_fmac_f32_e32 v9, v26, v13
	v_fmac_f32_e32 v7, v40, v14
	v_dual_fmac_f32 v5, v39, v15 :: v_dual_fmac_f32 v4, v41, v16
	v_fmac_f32_e32 v2, v25, v17
	s_or_b32 s3, vcc_lo, s3
	s_wait_alu 0xfffe
	s_and_not1_b32 exec_lo, exec_lo, s3
	s_cbranch_execnz .LBB80_2
; %bb.3:
	s_or_b32 exec_lo, exec_lo, s3
.LBB80_4:
	s_delay_alu instid0(SALU_CYCLE_1)
	s_or_b32 exec_lo, exec_lo, s21
	s_mov_b32 s3, 0
	; wave barrier
	global_inv scope:SCOPE_SE
	s_mov_b32 s2, exec_lo
	v_cmpx_eq_u32_e32 0, v6
	s_cbranch_execz .LBB80_15
; %bb.5:
	v_mbcnt_lo_u32_b32 v10, -1, 0
	s_load_b64 s[0:1], s[0:1], 0x38
	s_mul_i32 s2, s10, s19
	s_mul_i32 s4, s18, s20
	s_wait_alu 0xfffe
	s_add_co_i32 s2, s2, ttmp9
	v_xor_b32_e32 v0, 16, v10
	v_xor_b32_e32 v1, 8, v10
	s_wait_alu 0xfffe
	s_add_co_i32 s2, s2, s4
	s_wait_alu 0xfffe
	s_lshl_b64 s[2:3], s[2:3], 2
	v_cmp_gt_i32_e32 vcc_lo, 32, v0
	s_wait_alu 0xfffd
	v_cndmask_b32_e32 v0, v10, v0, vcc_lo
	v_cmp_gt_i32_e32 vcc_lo, 32, v1
	s_wait_alu 0xfffd
	v_cndmask_b32_e32 v1, v10, v1, vcc_lo
	s_wait_kmcnt 0x0
	s_wait_alu 0xfffe
	s_add_nc_u64 s[0:1], s[0:1], s[2:3]
	s_delay_alu instid0(VALU_DEP_1)
	v_lshlrev_b32_e32 v1, 2, v1
	v_lshlrev_b32_e32 v0, 2, v0
	ds_bpermute_b32 v6, v0, v9
	s_wait_dscnt 0x0
	v_add_f32_e32 v8, v9, v6
	v_xor_b32_e32 v6, 4, v10
	ds_bpermute_b32 v9, v1, v8
	v_cmp_gt_i32_e32 vcc_lo, 32, v6
	s_wait_dscnt 0x0
	s_wait_alu 0xfffd
	v_dual_add_f32 v9, v8, v9 :: v_dual_cndmask_b32 v6, v10, v6
	v_xor_b32_e32 v8, 2, v10
	s_delay_alu instid0(VALU_DEP_2) | instskip(NEXT) | instid1(VALU_DEP_2)
	v_lshlrev_b32_e32 v6, 2, v6
	v_cmp_gt_i32_e32 vcc_lo, 32, v8
	ds_bpermute_b32 v11, v6, v9
	s_wait_dscnt 0x0
	s_wait_alu 0xfffd
	v_dual_cndmask_b32 v8, v10, v8 :: v_dual_add_f32 v11, v9, v11
	v_xor_b32_e32 v9, 1, v10
	s_delay_alu instid0(VALU_DEP_1) | instskip(SKIP_3) | instid1(VALU_DEP_2)
	v_cmp_gt_i32_e32 vcc_lo, 32, v9
	s_wait_alu 0xfffd
	v_cndmask_b32_e32 v9, v10, v9, vcc_lo
	v_cmp_eq_u32_e32 vcc_lo, 0, v3
	v_lshlrev_b32_e32 v9, 2, v9
	v_lshlrev_b32_e32 v8, 2, v8
	ds_bpermute_b32 v12, v8, v11
	s_wait_dscnt 0x0
	v_add_f32_e32 v10, v11, v12
	ds_bpermute_b32 v11, v9, v10
	s_and_saveexec_b32 s2, vcc_lo
	s_cbranch_execz .LBB80_7
; %bb.6:
	s_wait_dscnt 0x0
	v_dual_add_f32 v3, v10, v11 :: v_dual_mov_b32 v10, 0
	global_store_b32 v10, v3, s[0:1]
.LBB80_7:
	s_wait_alu 0xfffe
	s_or_b32 exec_lo, exec_lo, s2
	ds_bpermute_b32 v3, v0, v7
	s_wait_dscnt 0x0
	v_add_f32_e32 v3, v7, v3
	ds_bpermute_b32 v7, v1, v3
	s_wait_dscnt 0x0
	v_add_f32_e32 v3, v3, v7
	ds_bpermute_b32 v7, v6, v3
	s_wait_dscnt 0x0
	v_add_f32_e32 v3, v3, v7
	ds_bpermute_b32 v7, v8, v3
	s_wait_dscnt 0x0
	v_add_f32_e32 v3, v3, v7
	ds_bpermute_b32 v7, v9, v3
	s_and_saveexec_b32 s2, vcc_lo
	s_cbranch_execz .LBB80_9
; %bb.8:
	s_mov_b32 s7, 0
	s_wait_dscnt 0x0
	v_add_f32_e32 v3, v3, v7
	v_mov_b32_e32 v7, 0
	s_wait_alu 0xfffe
	s_lshl_b64 s[4:5], s[6:7], 2
	s_wait_alu 0xfffe
	s_add_nc_u64 s[4:5], s[0:1], s[4:5]
	global_store_b32 v7, v3, s[4:5]
.LBB80_9:
	s_wait_alu 0xfffe
	s_or_b32 exec_lo, exec_lo, s2
	ds_bpermute_b32 v3, v0, v5
	s_wait_dscnt 0x0
	v_add_f32_e32 v3, v5, v3
	ds_bpermute_b32 v5, v1, v3
	s_wait_dscnt 0x0
	v_add_f32_e32 v3, v3, v5
	;; [unrolled: 3-line block ×4, first 2 shown]
	ds_bpermute_b32 v5, v9, v3
	s_and_saveexec_b32 s2, vcc_lo
	s_cbranch_execz .LBB80_11
; %bb.10:
	s_lshl_b32 s4, s6, 1
	s_mov_b32 s5, 0
	s_wait_dscnt 0x0
	v_add_f32_e32 v3, v3, v5
	v_mov_b32_e32 v5, 0
	s_wait_alu 0xfffe
	s_lshl_b64 s[4:5], s[4:5], 2
	s_wait_alu 0xfffe
	s_add_nc_u64 s[4:5], s[0:1], s[4:5]
	global_store_b32 v5, v3, s[4:5]
.LBB80_11:
	s_wait_alu 0xfffe
	s_or_b32 exec_lo, exec_lo, s2
	ds_bpermute_b32 v3, v0, v4
	s_wait_dscnt 0x0
	v_add_f32_e32 v3, v4, v3
	ds_bpermute_b32 v4, v1, v3
	s_wait_dscnt 0x0
	v_add_f32_e32 v3, v3, v4
	;; [unrolled: 3-line block ×4, first 2 shown]
	ds_bpermute_b32 v4, v9, v3
	s_and_saveexec_b32 s2, vcc_lo
	s_cbranch_execz .LBB80_13
; %bb.12:
	s_mul_i32 s4, s6, 3
	s_mov_b32 s5, 0
	s_wait_dscnt 0x0
	v_dual_add_f32 v3, v3, v4 :: v_dual_mov_b32 v4, 0
	s_wait_alu 0xfffe
	s_lshl_b64 s[4:5], s[4:5], 2
	s_wait_alu 0xfffe
	s_add_nc_u64 s[4:5], s[0:1], s[4:5]
	global_store_b32 v4, v3, s[4:5]
.LBB80_13:
	s_wait_alu 0xfffe
	s_or_b32 exec_lo, exec_lo, s2
	ds_bpermute_b32 v0, v0, v2
	s_wait_dscnt 0x0
	v_add_f32_e32 v0, v2, v0
	ds_bpermute_b32 v1, v1, v0
	s_wait_dscnt 0x0
	v_add_f32_e32 v0, v0, v1
	;; [unrolled: 3-line block ×4, first 2 shown]
	ds_bpermute_b32 v1, v9, v0
	s_and_b32 exec_lo, exec_lo, vcc_lo
	s_cbranch_execz .LBB80_15
; %bb.14:
	s_lshl_b32 s2, s6, 2
	s_mov_b32 s3, 0
	s_wait_dscnt 0x0
	v_dual_add_f32 v0, v0, v1 :: v_dual_mov_b32 v1, 0
	s_wait_alu 0xfffe
	s_lshl_b64 s[2:3], s[2:3], 2
	s_wait_alu 0xfffe
	s_add_nc_u64 s[0:1], s[0:1], s[2:3]
	global_store_b32 v1, v0, s[0:1]
.LBB80_15:
	s_endpgm
	.section	.rodata,"a",@progbits
	.p2align	6, 0x0
	.amdhsa_kernel _ZL13mul_mat_vec_qIL9ggml_type39ELi5ELb0ELb0EEvPKvS2_PKi31ggml_cuda_mm_fusion_args_devicePfj15HIP_vector_typeIjLj3EEjjjS8_jjjS8_jjjj
		.amdhsa_group_segment_fixed_size 0
		.amdhsa_private_segment_fixed_size 0
		.amdhsa_kernarg_size 144
		.amdhsa_user_sgpr_count 2
		.amdhsa_user_sgpr_dispatch_ptr 0
		.amdhsa_user_sgpr_queue_ptr 0
		.amdhsa_user_sgpr_kernarg_segment_ptr 1
		.amdhsa_user_sgpr_dispatch_id 0
		.amdhsa_user_sgpr_private_segment_size 0
		.amdhsa_wavefront_size32 1
		.amdhsa_uses_dynamic_stack 0
		.amdhsa_enable_private_segment 0
		.amdhsa_system_sgpr_workgroup_id_x 1
		.amdhsa_system_sgpr_workgroup_id_y 1
		.amdhsa_system_sgpr_workgroup_id_z 1
		.amdhsa_system_sgpr_workgroup_info 0
		.amdhsa_system_vgpr_workitem_id 1
		.amdhsa_next_free_vgpr 51
		.amdhsa_next_free_sgpr 30
		.amdhsa_reserve_vcc 1
		.amdhsa_float_round_mode_32 0
		.amdhsa_float_round_mode_16_64 0
		.amdhsa_float_denorm_mode_32 3
		.amdhsa_float_denorm_mode_16_64 3
		.amdhsa_fp16_overflow 0
		.amdhsa_workgroup_processor_mode 1
		.amdhsa_memory_ordered 1
		.amdhsa_forward_progress 1
		.amdhsa_inst_pref_size 18
		.amdhsa_round_robin_scheduling 0
		.amdhsa_exception_fp_ieee_invalid_op 0
		.amdhsa_exception_fp_denorm_src 0
		.amdhsa_exception_fp_ieee_div_zero 0
		.amdhsa_exception_fp_ieee_overflow 0
		.amdhsa_exception_fp_ieee_underflow 0
		.amdhsa_exception_fp_ieee_inexact 0
		.amdhsa_exception_int_div_zero 0
	.end_amdhsa_kernel
	.section	.text._ZL13mul_mat_vec_qIL9ggml_type39ELi5ELb0ELb0EEvPKvS2_PKi31ggml_cuda_mm_fusion_args_devicePfj15HIP_vector_typeIjLj3EEjjjS8_jjjS8_jjjj,"axG",@progbits,_ZL13mul_mat_vec_qIL9ggml_type39ELi5ELb0ELb0EEvPKvS2_PKi31ggml_cuda_mm_fusion_args_devicePfj15HIP_vector_typeIjLj3EEjjjS8_jjjS8_jjjj,comdat
.Lfunc_end80:
	.size	_ZL13mul_mat_vec_qIL9ggml_type39ELi5ELb0ELb0EEvPKvS2_PKi31ggml_cuda_mm_fusion_args_devicePfj15HIP_vector_typeIjLj3EEjjjS8_jjjS8_jjjj, .Lfunc_end80-_ZL13mul_mat_vec_qIL9ggml_type39ELi5ELb0ELb0EEvPKvS2_PKi31ggml_cuda_mm_fusion_args_devicePfj15HIP_vector_typeIjLj3EEjjjS8_jjjS8_jjjj
                                        ; -- End function
	.set _ZL13mul_mat_vec_qIL9ggml_type39ELi5ELb0ELb0EEvPKvS2_PKi31ggml_cuda_mm_fusion_args_devicePfj15HIP_vector_typeIjLj3EEjjjS8_jjjS8_jjjj.num_vgpr, 51
	.set _ZL13mul_mat_vec_qIL9ggml_type39ELi5ELb0ELb0EEvPKvS2_PKi31ggml_cuda_mm_fusion_args_devicePfj15HIP_vector_typeIjLj3EEjjjS8_jjjS8_jjjj.num_agpr, 0
	.set _ZL13mul_mat_vec_qIL9ggml_type39ELi5ELb0ELb0EEvPKvS2_PKi31ggml_cuda_mm_fusion_args_devicePfj15HIP_vector_typeIjLj3EEjjjS8_jjjS8_jjjj.numbered_sgpr, 30
	.set _ZL13mul_mat_vec_qIL9ggml_type39ELi5ELb0ELb0EEvPKvS2_PKi31ggml_cuda_mm_fusion_args_devicePfj15HIP_vector_typeIjLj3EEjjjS8_jjjS8_jjjj.num_named_barrier, 0
	.set _ZL13mul_mat_vec_qIL9ggml_type39ELi5ELb0ELb0EEvPKvS2_PKi31ggml_cuda_mm_fusion_args_devicePfj15HIP_vector_typeIjLj3EEjjjS8_jjjS8_jjjj.private_seg_size, 0
	.set _ZL13mul_mat_vec_qIL9ggml_type39ELi5ELb0ELb0EEvPKvS2_PKi31ggml_cuda_mm_fusion_args_devicePfj15HIP_vector_typeIjLj3EEjjjS8_jjjS8_jjjj.uses_vcc, 1
	.set _ZL13mul_mat_vec_qIL9ggml_type39ELi5ELb0ELb0EEvPKvS2_PKi31ggml_cuda_mm_fusion_args_devicePfj15HIP_vector_typeIjLj3EEjjjS8_jjjS8_jjjj.uses_flat_scratch, 0
	.set _ZL13mul_mat_vec_qIL9ggml_type39ELi5ELb0ELb0EEvPKvS2_PKi31ggml_cuda_mm_fusion_args_devicePfj15HIP_vector_typeIjLj3EEjjjS8_jjjS8_jjjj.has_dyn_sized_stack, 0
	.set _ZL13mul_mat_vec_qIL9ggml_type39ELi5ELb0ELb0EEvPKvS2_PKi31ggml_cuda_mm_fusion_args_devicePfj15HIP_vector_typeIjLj3EEjjjS8_jjjS8_jjjj.has_recursion, 0
	.set _ZL13mul_mat_vec_qIL9ggml_type39ELi5ELb0ELb0EEvPKvS2_PKi31ggml_cuda_mm_fusion_args_devicePfj15HIP_vector_typeIjLj3EEjjjS8_jjjS8_jjjj.has_indirect_call, 0
	.section	.AMDGPU.csdata,"",@progbits
; Kernel info:
; codeLenInByte = 2188
; TotalNumSgprs: 32
; NumVgprs: 51
; ScratchSize: 0
; MemoryBound: 0
; FloatMode: 240
; IeeeMode: 1
; LDSByteSize: 0 bytes/workgroup (compile time only)
; SGPRBlocks: 0
; VGPRBlocks: 6
; NumSGPRsForWavesPerEU: 32
; NumVGPRsForWavesPerEU: 51
; Occupancy: 16
; WaveLimiterHint : 0
; COMPUTE_PGM_RSRC2:SCRATCH_EN: 0
; COMPUTE_PGM_RSRC2:USER_SGPR: 2
; COMPUTE_PGM_RSRC2:TRAP_HANDLER: 0
; COMPUTE_PGM_RSRC2:TGID_X_EN: 1
; COMPUTE_PGM_RSRC2:TGID_Y_EN: 1
; COMPUTE_PGM_RSRC2:TGID_Z_EN: 1
; COMPUTE_PGM_RSRC2:TIDIG_COMP_CNT: 1
	.section	.text._ZL13mul_mat_vec_qIL9ggml_type39ELi6ELb0ELb0EEvPKvS2_PKi31ggml_cuda_mm_fusion_args_devicePfj15HIP_vector_typeIjLj3EEjjjS8_jjjS8_jjjj,"axG",@progbits,_ZL13mul_mat_vec_qIL9ggml_type39ELi6ELb0ELb0EEvPKvS2_PKi31ggml_cuda_mm_fusion_args_devicePfj15HIP_vector_typeIjLj3EEjjjS8_jjjS8_jjjj,comdat
	.globl	_ZL13mul_mat_vec_qIL9ggml_type39ELi6ELb0ELb0EEvPKvS2_PKi31ggml_cuda_mm_fusion_args_devicePfj15HIP_vector_typeIjLj3EEjjjS8_jjjS8_jjjj ; -- Begin function _ZL13mul_mat_vec_qIL9ggml_type39ELi6ELb0ELb0EEvPKvS2_PKi31ggml_cuda_mm_fusion_args_devicePfj15HIP_vector_typeIjLj3EEjjjS8_jjjS8_jjjj
	.p2align	8
	.type	_ZL13mul_mat_vec_qIL9ggml_type39ELi6ELb0ELb0EEvPKvS2_PKi31ggml_cuda_mm_fusion_args_devicePfj15HIP_vector_typeIjLj3EEjjjS8_jjjS8_jjjj,@function
_ZL13mul_mat_vec_qIL9ggml_type39ELi6ELb0ELb0EEvPKvS2_PKi31ggml_cuda_mm_fusion_args_devicePfj15HIP_vector_typeIjLj3EEjjjS8_jjjS8_jjjj: ; @_ZL13mul_mat_vec_qIL9ggml_type39ELi6ELb0ELb0EEvPKvS2_PKi31ggml_cuda_mm_fusion_args_devicePfj15HIP_vector_typeIjLj3EEjjjS8_jjjS8_jjjj
; %bb.0:
	v_bfe_u32 v7, v0, 10, 10
	s_clause 0x5
	s_load_b32 s2, s[0:1], 0x40
	s_load_b96 s[16:18], s[0:1], 0x80
	s_load_b128 s[4:7], s[0:1], 0x50
	s_load_b32 s23, s[0:1], 0x60
	s_load_b128 s[8:11], s[0:1], 0x68
	s_load_b32 s24, s[0:1], 0x78
	v_dual_mov_b32 v3, 0 :: v_dual_and_b32 v4, 0x3ff, v0
	v_dual_mov_b32 v5, 0 :: v_dual_lshlrev_b32 v0, 5, v7
	v_mov_b32_e32 v6, 0
	v_mov_b32_e32 v8, 0
	;; [unrolled: 1-line block ×3, first 2 shown]
	s_delay_alu instid0(VALU_DEP_4) | instskip(SKIP_3) | instid1(VALU_DEP_1)
	v_add_nc_u16 v0, v0, v4
	s_and_b32 s19, ttmp7, 0xffff
	s_lshr_b32 s20, ttmp7, 16
	s_mov_b32 s21, exec_lo
	v_lshrrev_b16 v0, 1, v0
	s_delay_alu instid0(VALU_DEP_1)
	v_dual_mov_b32 v2, 0 :: v_dual_and_b32 v9, 0xffff, v0
	s_wait_kmcnt 0x0
	s_lshr_b32 s22, s2, 5
	s_delay_alu instid0(VALU_DEP_1) | instid1(SALU_CYCLE_1)
	v_cmpx_gt_u32_e64 s22, v9
	s_cbranch_execz .LBB81_4
; %bb.1:
	s_load_b128 s[12:15], s[0:1], 0x0
	s_mul_i32 s2, s17, s20
	s_mov_b32 s3, 0
	s_mul_hi_u32 s7, s7, s19
	s_mul_hi_u32 s11, s11, s20
	s_mul_u64 s[26:27], s[2:3], 36
	s_mul_i32 s2, s9, s19
	s_add_co_i32 s7, s19, s7
	v_dual_mov_b32 v2, 0 :: v_dual_lshlrev_b32 v1, 1, v4
	s_add_co_i32 s9, s20, s11
	s_mul_u64 s[28:29], s[2:3], 36
	s_lshr_b32 s2, s7, s23
	v_dual_mov_b32 v6, 0 :: v_dual_and_b32 v3, 1, v4
	v_and_b32_e32 v0, 0xffff, v0
	s_lshr_b32 s7, s9, s24
	s_mul_i32 s2, s2, s8
	v_dual_mov_b32 v8, 0 :: v_dual_and_b32 v5, 2, v1
	s_wait_kmcnt 0x0
	s_add_nc_u64 s[8:9], s[14:15], s[26:27]
	v_lshlrev_b32_e32 v12, 3, v3
	s_add_nc_u64 s[8:9], s[8:9], s[28:29]
	v_mov_b32_e32 v3, 0
	v_mad_co_u64_u32 v[0:1], null, v0, 36, s[8:9]
	s_mul_i32 s4, s4, ttmp9
	v_dual_mov_b32 v10, 0 :: v_dual_lshlrev_b32 v11, 2, v5
	v_lshlrev_b32_e32 v13, 2, v5
	v_mov_b32_e32 v5, 0
	s_mul_i32 s7, s7, s16
	s_add_co_i32 s2, s2, s4
	s_mul_i32 s11, s5, 3
	s_add_co_i32 s4, s7, s2
	s_lshl_b32 s7, s5, 1
	s_lshl_b32 s14, s5, 2
	s_mul_i32 s15, s5, 5
	s_mov_b32 s16, 0xc080604
	s_mov_b32 s17, 0xf4f8fafc
	;; [unrolled: 1-line block ×3, first 2 shown]
.LBB81_2:                               ; =>This Inner Loop Header: Depth=1
	v_add_nc_u32_e32 v16, s4, v9
	v_add_nc_u32_e32 v20, s5, v9
	;; [unrolled: 1-line block ×5, first 2 shown]
	v_mad_co_i64_i32 v[16:17], null, v16, 17, s[12:13]
	v_mad_co_u64_u32 v[20:21], null, v20, 36, s[8:9]
	v_mad_co_u64_u32 v[22:23], null, v22, 36, s[8:9]
	v_add_nc_u32_e32 v28, s15, v9
	v_add_co_u32 v14, vcc_lo, v0, v12
	v_mad_co_u64_u32 v[24:25], null, v24, 36, s[8:9]
	s_wait_alu 0xfffd
	v_add_co_ci_u32_e64 v15, null, 0, v1, vcc_lo
	v_mad_co_u64_u32 v[26:27], null, v26, 36, s[8:9]
	v_add_co_u32 v30, vcc_lo, v16, v11
	v_mad_co_u64_u32 v[28:29], null, v28, 36, s[8:9]
	s_wait_alu 0xfffd
	v_add_co_ci_u32_e64 v31, null, 0, v17, vcc_lo
	v_add_co_u32 v32, vcc_lo, v20, v13
	s_wait_alu 0xfffd
	v_add_co_ci_u32_e64 v33, null, 0, v21, vcc_lo
	v_add_co_u32 v34, vcc_lo, v22, v13
	global_load_b32 v42, v[0:1], off
	s_wait_alu 0xfffd
	v_add_co_ci_u32_e64 v35, null, 0, v23, vcc_lo
	v_add_co_u32 v36, vcc_lo, v24, v13
	s_wait_alu 0xfffd
	v_add_co_ci_u32_e64 v37, null, 0, v25, vcc_lo
	v_add_co_u32 v38, vcc_lo, v26, v13
	;; [unrolled: 3-line block ×3, first 2 shown]
	s_wait_alu 0xfffd
	v_add_co_ci_u32_e64 v41, null, 0, v29, vcc_lo
	s_clause 0x1
	global_load_b64 v[18:19], v[14:15], off offset:4
	global_load_b64 v[14:15], v[14:15], off offset:20
	s_clause 0x1
	global_load_b64 v[30:31], v[30:31], off offset:1
	global_load_u8 v43, v[16:17], off
	s_clause 0xe
	global_load_b64 v[16:17], v[32:33], off offset:4
	global_load_b64 v[32:33], v[32:33], off offset:20
	global_load_b32 v44, v[22:23], off
	global_load_b32 v45, v[20:21], off
	global_load_b64 v[20:21], v[34:35], off offset:4
	global_load_b64 v[22:23], v[34:35], off offset:20
	;; [unrolled: 1-line block ×3, first 2 shown]
	global_load_b32 v46, v[24:25], off
	global_load_b64 v[24:25], v[36:37], off offset:20
	global_load_b64 v[36:37], v[38:39], off offset:4
	;; [unrolled: 1-line block ×3, first 2 shown]
	global_load_b32 v47, v[26:27], off
	global_load_b64 v[26:27], v[40:41], off offset:4
	global_load_b64 v[40:41], v[40:41], off offset:20
	global_load_b32 v28, v[28:29], off
	v_add_co_u32 v0, vcc_lo, 0x240, v0
	s_wait_alu 0xfffd
	v_add_co_ci_u32_e64 v1, null, 0, v1, vcc_lo
	s_wait_loadcnt 0x13
	v_cvt_f32_f16_e32 v29, v42
	s_wait_loadcnt 0x10
	v_ashrrev_i32_e32 v42, 4, v30
	v_and_b32_e32 v48, 0x7070707, v30
	v_lshrrev_b32_e32 v30, 1, v30
	s_wait_loadcnt 0xf
	v_cmp_ne_u32_e64 s2, 0, v43
	v_ashrrev_i32_e32 v49, 4, v31
	s_wait_loadcnt 0xb
	v_cvt_f32_f16_e32 v45, v45
	v_perm_b32 v52, s16, 0x3020100, v48
	v_perm_b32 v48, s17, 0xfdfeff00, v48
	s_wait_loadcnt 0x7
	v_cvt_f32_f16_e32 v46, v46
	v_lshlrev_b32_e32 v51, 23, v43
	s_wait_alu 0xfffe
	v_and_or_b32 v30, v30, s23, 0x3020100
	v_cvt_f32_f16_e32 v44, v44
	s_wait_loadcnt 0x3
	v_cvt_f32_f16_e32 v47, v47
	v_mul_f32_e32 v51, 0.5, v51
	s_wait_loadcnt 0x0
	v_cvt_f32_f16_e32 v28, v28
	v_perm_b32 v30, v48, v52, v30
	s_wait_alu 0xf1ff
	v_cndmask_b32_e64 v48, 0x200000, v51, s2
	v_and_b32_e32 v53, 0x7070707, v42
	v_lshrrev_b32_e32 v42, 1, v42
	v_and_b32_e32 v50, 0x7070707, v31
	v_lshrrev_b32_e32 v31, 1, v31
	v_mul_f32_e32 v28, v48, v28
	v_perm_b32 v43, s16, 0x3020100, v53
	v_perm_b32 v53, s17, 0xfdfeff00, v53
	v_and_or_b32 v42, v42, s23, 0x3020100
	v_and_or_b32 v31, v31, s23, 0x3020100
	v_dot4_i32_iu8 v18, v30, v18, 0 neg_lo:[1,1,0]
	v_mul_f32_e32 v29, v48, v29
	v_perm_b32 v54, s16, 0x3020100, v50
	v_and_b32_e32 v55, 0x7070707, v49
	v_perm_b32 v50, s17, 0xfdfeff00, v50
	v_lshrrev_b32_e32 v49, 1, v49
	v_perm_b32 v42, v53, v43, v42
	v_dot4_i32_iu8 v16, v30, v16, 0 neg_lo:[1,1,0]
	v_dot4_i32_iu8 v20, v30, v20, 0 neg_lo:[1,1,0]
	;; [unrolled: 1-line block ×5, first 2 shown]
	v_perm_b32 v56, s16, 0x3020100, v55
	v_perm_b32 v55, s17, 0xfdfeff00, v55
	v_and_or_b32 v49, v49, s23, 0x3020100
	v_perm_b32 v31, v50, v54, v31
	v_dot4_i32_iu8 v14, v42, v14, v18 neg_lo:[1,1,0]
	v_dot4_i32_iu8 v16, v42, v32, v16 neg_lo:[1,1,0]
	;; [unrolled: 1-line block ×6, first 2 shown]
	v_perm_b32 v43, v55, v56, v49
	v_dot4_i32_iu8 v14, v31, v19, v14 neg_lo:[1,1,0]
	v_dot4_i32_iu8 v16, v31, v17, v16 neg_lo:[1,1,0]
	v_dot4_i32_iu8 v17, v31, v21, v18 neg_lo:[1,1,0]
	v_dot4_i32_iu8 v18, v31, v35, v20 neg_lo:[1,1,0]
	v_dot4_i32_iu8 v19, v31, v37, v22 neg_lo:[1,1,0]
	v_dot4_i32_iu8 v20, v31, v27, v24 neg_lo:[1,1,0]
	v_dot4_i32_iu8 v14, v43, v15, v14 neg_lo:[1,1,0]
	v_dot4_i32_iu8 v15, v43, v33, v16 neg_lo:[1,1,0]
	v_dot4_i32_iu8 v16, v43, v23, v17 neg_lo:[1,1,0]
	v_dot4_i32_iu8 v17, v43, v25, v18 neg_lo:[1,1,0]
	v_dot4_i32_iu8 v18, v43, v39, v19 neg_lo:[1,1,0]
	v_dot4_i32_iu8 v19, v43, v41, v20 neg_lo:[1,1,0]
	v_dual_mul_f32 v44, v48, v44 :: v_dual_add_nc_u32 v9, 16, v9
	v_mul_f32_e32 v45, v48, v45
	v_mul_f32_e32 v46, v48, v46
	;; [unrolled: 1-line block ×3, first 2 shown]
	v_cvt_f32_i32_e32 v14, v14
	v_cvt_f32_i32_e32 v15, v15
	;; [unrolled: 1-line block ×6, first 2 shown]
	v_cmp_le_u32_e32 vcc_lo, s22, v9
	v_fmac_f32_e32 v10, v29, v14
	v_fmac_f32_e32 v8, v45, v15
	v_dual_fmac_f32 v6, v44, v16 :: v_dual_fmac_f32 v5, v46, v17
	v_dual_fmac_f32 v3, v47, v18 :: v_dual_fmac_f32 v2, v28, v19
	s_or_b32 s3, vcc_lo, s3
	s_wait_alu 0xfffe
	s_and_not1_b32 exec_lo, exec_lo, s3
	s_cbranch_execnz .LBB81_2
; %bb.3:
	s_or_b32 exec_lo, exec_lo, s3
.LBB81_4:
	s_delay_alu instid0(SALU_CYCLE_1)
	s_or_b32 exec_lo, exec_lo, s21
	s_mov_b32 s3, 0
	; wave barrier
	global_inv scope:SCOPE_SE
	s_mov_b32 s2, exec_lo
	v_cmpx_eq_u32_e32 0, v7
	s_cbranch_execz .LBB81_17
; %bb.5:
	v_mbcnt_lo_u32_b32 v11, -1, 0
	s_load_b64 s[0:1], s[0:1], 0x38
	s_mul_i32 s2, s10, s19
	s_mul_i32 s4, s18, s20
	s_wait_alu 0xfffe
	s_add_co_i32 s2, s2, ttmp9
	v_xor_b32_e32 v0, 16, v11
	v_xor_b32_e32 v1, 8, v11
	s_wait_alu 0xfffe
	s_add_co_i32 s2, s2, s4
	s_wait_alu 0xfffe
	s_lshl_b64 s[2:3], s[2:3], 2
	v_cmp_gt_i32_e32 vcc_lo, 32, v0
	s_wait_alu 0xfffd
	v_cndmask_b32_e32 v0, v11, v0, vcc_lo
	v_cmp_gt_i32_e32 vcc_lo, 32, v1
	s_wait_alu 0xfffd
	v_cndmask_b32_e32 v1, v11, v1, vcc_lo
	s_wait_kmcnt 0x0
	s_wait_alu 0xfffe
	s_add_nc_u64 s[0:1], s[0:1], s[2:3]
	s_delay_alu instid0(VALU_DEP_1)
	v_lshlrev_b32_e32 v1, 2, v1
	v_lshlrev_b32_e32 v0, 2, v0
	ds_bpermute_b32 v7, v0, v10
	s_wait_dscnt 0x0
	v_add_f32_e32 v9, v10, v7
	v_xor_b32_e32 v7, 4, v11
	ds_bpermute_b32 v10, v1, v9
	v_cmp_gt_i32_e32 vcc_lo, 32, v7
	s_wait_dscnt 0x0
	s_wait_alu 0xfffd
	v_dual_add_f32 v10, v9, v10 :: v_dual_cndmask_b32 v7, v11, v7
	v_xor_b32_e32 v9, 2, v11
	s_delay_alu instid0(VALU_DEP_2) | instskip(NEXT) | instid1(VALU_DEP_2)
	v_lshlrev_b32_e32 v7, 2, v7
	v_cmp_gt_i32_e32 vcc_lo, 32, v9
	ds_bpermute_b32 v12, v7, v10
	s_wait_dscnt 0x0
	s_wait_alu 0xfffd
	v_dual_cndmask_b32 v9, v11, v9 :: v_dual_add_f32 v12, v10, v12
	v_xor_b32_e32 v10, 1, v11
	s_delay_alu instid0(VALU_DEP_1) | instskip(SKIP_3) | instid1(VALU_DEP_2)
	v_cmp_gt_i32_e32 vcc_lo, 32, v10
	s_wait_alu 0xfffd
	v_cndmask_b32_e32 v10, v11, v10, vcc_lo
	v_cmp_eq_u32_e32 vcc_lo, 0, v4
	v_lshlrev_b32_e32 v10, 2, v10
	v_lshlrev_b32_e32 v9, 2, v9
	ds_bpermute_b32 v13, v9, v12
	s_wait_dscnt 0x0
	v_add_f32_e32 v11, v12, v13
	ds_bpermute_b32 v12, v10, v11
	s_and_saveexec_b32 s2, vcc_lo
	s_cbranch_execz .LBB81_7
; %bb.6:
	s_wait_dscnt 0x0
	v_dual_add_f32 v4, v11, v12 :: v_dual_mov_b32 v11, 0
	global_store_b32 v11, v4, s[0:1]
.LBB81_7:
	s_wait_alu 0xfffe
	s_or_b32 exec_lo, exec_lo, s2
	ds_bpermute_b32 v4, v0, v8
	s_wait_dscnt 0x0
	v_add_f32_e32 v4, v8, v4
	ds_bpermute_b32 v8, v1, v4
	s_wait_dscnt 0x0
	v_add_f32_e32 v4, v4, v8
	;; [unrolled: 3-line block ×4, first 2 shown]
	ds_bpermute_b32 v8, v10, v4
	s_and_saveexec_b32 s2, vcc_lo
	s_cbranch_execz .LBB81_9
; %bb.8:
	s_mov_b32 s7, 0
	s_wait_dscnt 0x0
	v_add_f32_e32 v4, v4, v8
	v_mov_b32_e32 v8, 0
	s_wait_alu 0xfffe
	s_lshl_b64 s[4:5], s[6:7], 2
	s_wait_alu 0xfffe
	s_add_nc_u64 s[4:5], s[0:1], s[4:5]
	global_store_b32 v8, v4, s[4:5]
.LBB81_9:
	s_wait_alu 0xfffe
	s_or_b32 exec_lo, exec_lo, s2
	ds_bpermute_b32 v4, v0, v6
	s_wait_dscnt 0x0
	v_add_f32_e32 v4, v6, v4
	ds_bpermute_b32 v6, v1, v4
	s_wait_dscnt 0x0
	v_add_f32_e32 v4, v4, v6
	ds_bpermute_b32 v6, v7, v4
	s_wait_dscnt 0x0
	v_add_f32_e32 v4, v4, v6
	ds_bpermute_b32 v6, v9, v4
	s_wait_dscnt 0x0
	v_add_f32_e32 v4, v4, v6
	ds_bpermute_b32 v6, v10, v4
	s_and_saveexec_b32 s2, vcc_lo
	s_cbranch_execz .LBB81_11
; %bb.10:
	s_lshl_b32 s4, s6, 1
	s_mov_b32 s5, 0
	s_wait_dscnt 0x0
	v_add_f32_e32 v4, v4, v6
	v_mov_b32_e32 v6, 0
	s_wait_alu 0xfffe
	s_lshl_b64 s[4:5], s[4:5], 2
	s_wait_alu 0xfffe
	s_add_nc_u64 s[4:5], s[0:1], s[4:5]
	global_store_b32 v6, v4, s[4:5]
.LBB81_11:
	s_wait_alu 0xfffe
	s_or_b32 exec_lo, exec_lo, s2
	ds_bpermute_b32 v4, v0, v5
	s_wait_dscnt 0x0
	v_add_f32_e32 v4, v5, v4
	ds_bpermute_b32 v5, v1, v4
	s_wait_dscnt 0x0
	v_add_f32_e32 v4, v4, v5
	;; [unrolled: 3-line block ×4, first 2 shown]
	ds_bpermute_b32 v5, v10, v4
	s_and_saveexec_b32 s2, vcc_lo
	s_cbranch_execz .LBB81_13
; %bb.12:
	s_mul_i32 s4, s6, 3
	s_mov_b32 s5, 0
	s_wait_dscnt 0x0
	v_dual_add_f32 v4, v4, v5 :: v_dual_mov_b32 v5, 0
	s_wait_alu 0xfffe
	s_lshl_b64 s[4:5], s[4:5], 2
	s_wait_alu 0xfffe
	s_add_nc_u64 s[4:5], s[0:1], s[4:5]
	global_store_b32 v5, v4, s[4:5]
.LBB81_13:
	s_wait_alu 0xfffe
	s_or_b32 exec_lo, exec_lo, s2
	ds_bpermute_b32 v4, v0, v3
	s_wait_dscnt 0x0
	v_add_f32_e32 v3, v3, v4
	ds_bpermute_b32 v4, v1, v3
	s_wait_dscnt 0x0
	v_add_f32_e32 v3, v3, v4
	;; [unrolled: 3-line block ×4, first 2 shown]
	ds_bpermute_b32 v4, v10, v3
	s_and_saveexec_b32 s2, vcc_lo
	s_cbranch_execz .LBB81_15
; %bb.14:
	s_lshl_b32 s4, s6, 2
	s_mov_b32 s5, 0
	s_wait_dscnt 0x0
	v_dual_add_f32 v3, v3, v4 :: v_dual_mov_b32 v4, 0
	s_wait_alu 0xfffe
	s_lshl_b64 s[4:5], s[4:5], 2
	s_wait_alu 0xfffe
	s_add_nc_u64 s[4:5], s[0:1], s[4:5]
	global_store_b32 v4, v3, s[4:5]
.LBB81_15:
	s_wait_alu 0xfffe
	s_or_b32 exec_lo, exec_lo, s2
	ds_bpermute_b32 v0, v0, v2
	s_wait_dscnt 0x0
	v_add_f32_e32 v0, v2, v0
	ds_bpermute_b32 v1, v1, v0
	s_wait_dscnt 0x0
	v_add_f32_e32 v0, v0, v1
	;; [unrolled: 3-line block ×4, first 2 shown]
	ds_bpermute_b32 v1, v10, v0
	s_and_b32 exec_lo, exec_lo, vcc_lo
	s_cbranch_execz .LBB81_17
; %bb.16:
	s_mul_i32 s2, s6, 5
	s_mov_b32 s3, 0
	s_wait_dscnt 0x0
	v_dual_add_f32 v0, v0, v1 :: v_dual_mov_b32 v1, 0
	s_wait_alu 0xfffe
	s_lshl_b64 s[2:3], s[2:3], 2
	s_wait_alu 0xfffe
	s_add_nc_u64 s[0:1], s[0:1], s[2:3]
	global_store_b32 v1, v0, s[0:1]
.LBB81_17:
	s_endpgm
	.section	.rodata,"a",@progbits
	.p2align	6, 0x0
	.amdhsa_kernel _ZL13mul_mat_vec_qIL9ggml_type39ELi6ELb0ELb0EEvPKvS2_PKi31ggml_cuda_mm_fusion_args_devicePfj15HIP_vector_typeIjLj3EEjjjS8_jjjS8_jjjj
		.amdhsa_group_segment_fixed_size 0
		.amdhsa_private_segment_fixed_size 0
		.amdhsa_kernarg_size 144
		.amdhsa_user_sgpr_count 2
		.amdhsa_user_sgpr_dispatch_ptr 0
		.amdhsa_user_sgpr_queue_ptr 0
		.amdhsa_user_sgpr_kernarg_segment_ptr 1
		.amdhsa_user_sgpr_dispatch_id 0
		.amdhsa_user_sgpr_private_segment_size 0
		.amdhsa_wavefront_size32 1
		.amdhsa_uses_dynamic_stack 0
		.amdhsa_enable_private_segment 0
		.amdhsa_system_sgpr_workgroup_id_x 1
		.amdhsa_system_sgpr_workgroup_id_y 1
		.amdhsa_system_sgpr_workgroup_id_z 1
		.amdhsa_system_sgpr_workgroup_info 0
		.amdhsa_system_vgpr_workitem_id 1
		.amdhsa_next_free_vgpr 57
		.amdhsa_next_free_sgpr 30
		.amdhsa_reserve_vcc 1
		.amdhsa_float_round_mode_32 0
		.amdhsa_float_round_mode_16_64 0
		.amdhsa_float_denorm_mode_32 3
		.amdhsa_float_denorm_mode_16_64 3
		.amdhsa_fp16_overflow 0
		.amdhsa_workgroup_processor_mode 1
		.amdhsa_memory_ordered 1
		.amdhsa_forward_progress 1
		.amdhsa_inst_pref_size 20
		.amdhsa_round_robin_scheduling 0
		.amdhsa_exception_fp_ieee_invalid_op 0
		.amdhsa_exception_fp_denorm_src 0
		.amdhsa_exception_fp_ieee_div_zero 0
		.amdhsa_exception_fp_ieee_overflow 0
		.amdhsa_exception_fp_ieee_underflow 0
		.amdhsa_exception_fp_ieee_inexact 0
		.amdhsa_exception_int_div_zero 0
	.end_amdhsa_kernel
	.section	.text._ZL13mul_mat_vec_qIL9ggml_type39ELi6ELb0ELb0EEvPKvS2_PKi31ggml_cuda_mm_fusion_args_devicePfj15HIP_vector_typeIjLj3EEjjjS8_jjjS8_jjjj,"axG",@progbits,_ZL13mul_mat_vec_qIL9ggml_type39ELi6ELb0ELb0EEvPKvS2_PKi31ggml_cuda_mm_fusion_args_devicePfj15HIP_vector_typeIjLj3EEjjjS8_jjjS8_jjjj,comdat
.Lfunc_end81:
	.size	_ZL13mul_mat_vec_qIL9ggml_type39ELi6ELb0ELb0EEvPKvS2_PKi31ggml_cuda_mm_fusion_args_devicePfj15HIP_vector_typeIjLj3EEjjjS8_jjjS8_jjjj, .Lfunc_end81-_ZL13mul_mat_vec_qIL9ggml_type39ELi6ELb0ELb0EEvPKvS2_PKi31ggml_cuda_mm_fusion_args_devicePfj15HIP_vector_typeIjLj3EEjjjS8_jjjS8_jjjj
                                        ; -- End function
	.set _ZL13mul_mat_vec_qIL9ggml_type39ELi6ELb0ELb0EEvPKvS2_PKi31ggml_cuda_mm_fusion_args_devicePfj15HIP_vector_typeIjLj3EEjjjS8_jjjS8_jjjj.num_vgpr, 57
	.set _ZL13mul_mat_vec_qIL9ggml_type39ELi6ELb0ELb0EEvPKvS2_PKi31ggml_cuda_mm_fusion_args_devicePfj15HIP_vector_typeIjLj3EEjjjS8_jjjS8_jjjj.num_agpr, 0
	.set _ZL13mul_mat_vec_qIL9ggml_type39ELi6ELb0ELb0EEvPKvS2_PKi31ggml_cuda_mm_fusion_args_devicePfj15HIP_vector_typeIjLj3EEjjjS8_jjjS8_jjjj.numbered_sgpr, 30
	.set _ZL13mul_mat_vec_qIL9ggml_type39ELi6ELb0ELb0EEvPKvS2_PKi31ggml_cuda_mm_fusion_args_devicePfj15HIP_vector_typeIjLj3EEjjjS8_jjjS8_jjjj.num_named_barrier, 0
	.set _ZL13mul_mat_vec_qIL9ggml_type39ELi6ELb0ELb0EEvPKvS2_PKi31ggml_cuda_mm_fusion_args_devicePfj15HIP_vector_typeIjLj3EEjjjS8_jjjS8_jjjj.private_seg_size, 0
	.set _ZL13mul_mat_vec_qIL9ggml_type39ELi6ELb0ELb0EEvPKvS2_PKi31ggml_cuda_mm_fusion_args_devicePfj15HIP_vector_typeIjLj3EEjjjS8_jjjS8_jjjj.uses_vcc, 1
	.set _ZL13mul_mat_vec_qIL9ggml_type39ELi6ELb0ELb0EEvPKvS2_PKi31ggml_cuda_mm_fusion_args_devicePfj15HIP_vector_typeIjLj3EEjjjS8_jjjS8_jjjj.uses_flat_scratch, 0
	.set _ZL13mul_mat_vec_qIL9ggml_type39ELi6ELb0ELb0EEvPKvS2_PKi31ggml_cuda_mm_fusion_args_devicePfj15HIP_vector_typeIjLj3EEjjjS8_jjjS8_jjjj.has_dyn_sized_stack, 0
	.set _ZL13mul_mat_vec_qIL9ggml_type39ELi6ELb0ELb0EEvPKvS2_PKi31ggml_cuda_mm_fusion_args_devicePfj15HIP_vector_typeIjLj3EEjjjS8_jjjS8_jjjj.has_recursion, 0
	.set _ZL13mul_mat_vec_qIL9ggml_type39ELi6ELb0ELb0EEvPKvS2_PKi31ggml_cuda_mm_fusion_args_devicePfj15HIP_vector_typeIjLj3EEjjjS8_jjjS8_jjjj.has_indirect_call, 0
	.section	.AMDGPU.csdata,"",@progbits
; Kernel info:
; codeLenInByte = 2452
; TotalNumSgprs: 32
; NumVgprs: 57
; ScratchSize: 0
; MemoryBound: 0
; FloatMode: 240
; IeeeMode: 1
; LDSByteSize: 0 bytes/workgroup (compile time only)
; SGPRBlocks: 0
; VGPRBlocks: 7
; NumSGPRsForWavesPerEU: 32
; NumVGPRsForWavesPerEU: 57
; Occupancy: 16
; WaveLimiterHint : 0
; COMPUTE_PGM_RSRC2:SCRATCH_EN: 0
; COMPUTE_PGM_RSRC2:USER_SGPR: 2
; COMPUTE_PGM_RSRC2:TRAP_HANDLER: 0
; COMPUTE_PGM_RSRC2:TGID_X_EN: 1
; COMPUTE_PGM_RSRC2:TGID_Y_EN: 1
; COMPUTE_PGM_RSRC2:TGID_Z_EN: 1
; COMPUTE_PGM_RSRC2:TIDIG_COMP_CNT: 1
	.section	.text._ZL13mul_mat_vec_qIL9ggml_type39ELi7ELb0ELb0EEvPKvS2_PKi31ggml_cuda_mm_fusion_args_devicePfj15HIP_vector_typeIjLj3EEjjjS8_jjjS8_jjjj,"axG",@progbits,_ZL13mul_mat_vec_qIL9ggml_type39ELi7ELb0ELb0EEvPKvS2_PKi31ggml_cuda_mm_fusion_args_devicePfj15HIP_vector_typeIjLj3EEjjjS8_jjjS8_jjjj,comdat
	.globl	_ZL13mul_mat_vec_qIL9ggml_type39ELi7ELb0ELb0EEvPKvS2_PKi31ggml_cuda_mm_fusion_args_devicePfj15HIP_vector_typeIjLj3EEjjjS8_jjjS8_jjjj ; -- Begin function _ZL13mul_mat_vec_qIL9ggml_type39ELi7ELb0ELb0EEvPKvS2_PKi31ggml_cuda_mm_fusion_args_devicePfj15HIP_vector_typeIjLj3EEjjjS8_jjjS8_jjjj
	.p2align	8
	.type	_ZL13mul_mat_vec_qIL9ggml_type39ELi7ELb0ELb0EEvPKvS2_PKi31ggml_cuda_mm_fusion_args_devicePfj15HIP_vector_typeIjLj3EEjjjS8_jjjS8_jjjj,@function
_ZL13mul_mat_vec_qIL9ggml_type39ELi7ELb0ELb0EEvPKvS2_PKi31ggml_cuda_mm_fusion_args_devicePfj15HIP_vector_typeIjLj3EEjjjS8_jjjS8_jjjj: ; @_ZL13mul_mat_vec_qIL9ggml_type39ELi7ELb0ELb0EEvPKvS2_PKi31ggml_cuda_mm_fusion_args_devicePfj15HIP_vector_typeIjLj3EEjjjS8_jjjS8_jjjj
; %bb.0:
	v_bfe_u32 v8, v0, 10, 10
	s_clause 0x5
	s_load_b32 s2, s[0:1], 0x40
	s_load_b96 s[16:18], s[0:1], 0x80
	s_load_b128 s[4:7], s[0:1], 0x50
	s_load_b32 s23, s[0:1], 0x60
	s_load_b128 s[8:11], s[0:1], 0x68
	s_load_b32 s24, s[0:1], 0x78
	v_dual_mov_b32 v2, 0 :: v_dual_and_b32 v5, 0x3ff, v0
	v_dual_mov_b32 v3, 0 :: v_dual_lshlrev_b32 v0, 5, v8
	v_dual_mov_b32 v4, 0 :: v_dual_mov_b32 v7, 0
	v_dual_mov_b32 v6, 0 :: v_dual_mov_b32 v11, 0
	s_delay_alu instid0(VALU_DEP_3)
	v_add_nc_u16 v0, v0, v5
	s_and_b32 s19, ttmp7, 0xffff
	s_lshr_b32 s20, ttmp7, 16
	s_mov_b32 s21, exec_lo
	v_mov_b32_e32 v9, 0
	v_lshrrev_b16 v0, 1, v0
	s_wait_kmcnt 0x0
	s_lshr_b32 s22, s2, 5
	s_delay_alu instid0(VALU_DEP_1) | instskip(NEXT) | instid1(VALU_DEP_1)
	v_and_b32_e32 v10, 0xffff, v0
	v_cmpx_gt_u32_e64 s22, v10
	s_cbranch_execz .LBB82_4
; %bb.1:
	s_load_b128 s[12:15], s[0:1], 0x0
	s_mul_i32 s2, s17, s20
	s_mov_b32 s3, 0
	s_mul_hi_u32 s7, s7, s19
	v_dual_mov_b32 v2, 0 :: v_dual_lshlrev_b32 v1, 1, v5
	s_mul_hi_u32 s11, s11, s20
	s_mul_u64 s[26:27], s[2:3], 36
	s_mul_i32 s2, s9, s19
	s_add_co_i32 s7, s19, s7
	s_add_co_i32 s9, s20, s11
	s_mul_u64 s[28:29], s[2:3], 36
	s_lshr_b32 s2, s7, s23
	v_and_b32_e32 v3, 1, v5
	v_and_b32_e32 v0, 0xffff, v0
	v_dual_mov_b32 v7, 0 :: v_dual_and_b32 v4, 2, v1
	s_lshr_b32 s7, s9, s24
	s_mul_i32 s2, s2, s8
	s_mul_i32 s4, s4, ttmp9
	s_wait_kmcnt 0x0
	s_add_nc_u64 s[8:9], s[14:15], s[26:27]
	v_dual_mov_b32 v9, 0 :: v_dual_lshlrev_b32 v12, 2, v4
	s_add_nc_u64 s[8:9], s[8:9], s[28:29]
	v_dual_mov_b32 v11, 0 :: v_dual_lshlrev_b32 v14, 2, v4
	v_dual_mov_b32 v4, 0 :: v_dual_lshlrev_b32 v13, 3, v3
	v_dual_mov_b32 v6, 0 :: v_dual_mov_b32 v3, 0
	v_mad_co_u64_u32 v[0:1], null, v0, 36, s[8:9]
	s_mul_i32 s7, s7, s16
	s_add_co_i32 s2, s2, s4
	s_mul_i32 s11, s5, 3
	s_add_co_i32 s4, s7, s2
	s_lshl_b32 s7, s5, 1
	s_lshl_b32 s14, s5, 2
	s_mul_i32 s15, s5, 5
	s_mul_i32 s16, s5, 6
	s_mov_b32 s17, 0xc080604
	s_mov_b32 s23, 0xf4f8fafc
	;; [unrolled: 1-line block ×3, first 2 shown]
.LBB82_2:                               ; =>This Inner Loop Header: Depth=1
	v_add_nc_u32_e32 v17, s4, v10
	v_add_nc_u32_e32 v21, s5, v10
	;; [unrolled: 1-line block ×5, first 2 shown]
	v_mad_co_i64_i32 v[17:18], null, v17, 17, s[12:13]
	v_mad_co_u64_u32 v[21:22], null, v21, 36, s[8:9]
	v_mad_co_u64_u32 v[23:24], null, v23, 36, s[8:9]
	global_load_b32 v49, v[0:1], off
	v_add_nc_u32_e32 v29, s15, v10
	v_add_co_u32 v15, vcc_lo, v0, v13
	v_mad_co_u64_u32 v[25:26], null, v25, 36, s[8:9]
	v_add_nc_u32_e32 v31, s16, v10
	s_wait_alu 0xfffd
	v_add_co_ci_u32_e64 v16, null, 0, v1, vcc_lo
	v_mad_co_u64_u32 v[27:28], null, v27, 36, s[8:9]
	v_add_co_u32 v33, vcc_lo, v17, v12
	v_mad_co_u64_u32 v[29:30], null, v29, 36, s[8:9]
	s_wait_alu 0xfffd
	v_add_co_ci_u32_e64 v34, null, 0, v18, vcc_lo
	v_add_co_u32 v35, vcc_lo, v21, v14
	v_mad_co_u64_u32 v[31:32], null, v31, 36, s[8:9]
	s_wait_alu 0xfffd
	v_add_co_ci_u32_e64 v36, null, 0, v22, vcc_lo
	v_add_co_u32 v37, vcc_lo, v23, v14
	s_wait_alu 0xfffd
	v_add_co_ci_u32_e64 v38, null, 0, v24, vcc_lo
	v_add_co_u32 v39, vcc_lo, v25, v14
	;; [unrolled: 3-line block ×5, first 2 shown]
	s_wait_alu 0xfffd
	v_add_co_ci_u32_e64 v46, null, 0, v32, vcc_lo
	s_clause 0x1
	global_load_b64 v[19:20], v[15:16], off offset:4
	global_load_b64 v[15:16], v[15:16], off offset:20
	s_clause 0x1
	global_load_b64 v[33:34], v[33:34], off offset:1
	global_load_u8 v50, v[17:18], off
	s_clause 0x11
	global_load_b64 v[17:18], v[35:36], off offset:4
	global_load_b64 v[35:36], v[35:36], off offset:20
	global_load_b32 v51, v[23:24], off
	global_load_b32 v52, v[21:22], off
	global_load_b64 v[21:22], v[37:38], off offset:4
	global_load_b64 v[23:24], v[37:38], off offset:20
	global_load_b64 v[37:38], v[39:40], off offset:4
	global_load_b32 v53, v[25:26], off
	global_load_b64 v[25:26], v[39:40], off offset:20
	global_load_b64 v[39:40], v[41:42], off offset:4
	global_load_b64 v[41:42], v[41:42], off offset:20
	;; [unrolled: 4-line block ×3, first 2 shown]
	global_load_b64 v[43:44], v[43:44], off offset:20
	global_load_b32 v31, v[31:32], off
	global_load_b32 v29, v[29:30], off
	v_add_co_u32 v0, vcc_lo, 0x240, v0
	s_wait_alu 0xfffd
	v_add_co_ci_u32_e64 v1, null, 0, v1, vcc_lo
	s_wait_loadcnt 0x16
	v_cvt_f32_f16_e32 v30, v49
	s_wait_loadcnt 0x13
	v_ashrrev_i32_e32 v32, 4, v33
	v_and_b32_e32 v49, 0x7070707, v33
	v_lshrrev_b32_e32 v33, 1, v33
	s_wait_loadcnt 0x12
	v_lshlrev_b32_e32 v57, 23, v50
	v_add_nc_u32_e32 v10, 16, v10
	v_cmp_ne_u32_e64 s2, 0, v50
	v_perm_b32 v58, s17, 0x3020100, v49
	s_wait_alu 0xfffe
	v_perm_b32 v49, s23, 0xfdfeff00, v49
	v_and_or_b32 v33, v33, s24, 0x3020100
	v_mul_f32_e32 v57, 0.5, v57
	v_ashrrev_i32_e32 v55, 4, v34
	s_wait_loadcnt 0xf
	v_cvt_f32_f16_e32 v51, v51
	s_wait_loadcnt 0xe
	v_cvt_f32_f16_e32 v52, v52
	v_perm_b32 v33, v49, v58, v33
	s_wait_alu 0xf1ff
	v_cndmask_b32_e64 v49, 0x200000, v57, s2
	v_and_b32_e32 v59, 0x7070707, v32
	v_lshrrev_b32_e32 v32, 1, v32
	v_and_b32_e32 v56, 0x7070707, v34
	v_lshrrev_b32_e32 v34, 1, v34
	v_mul_f32_e32 v30, v49, v30
	v_perm_b32 v50, s17, 0x3020100, v59
	v_perm_b32 v59, s23, 0xfdfeff00, v59
	v_and_or_b32 v32, v32, s24, 0x3020100
	s_wait_loadcnt 0x6
	v_cvt_f32_f16_e32 v54, v54
	v_and_b32_e32 v61, 0x7070707, v55
	v_and_or_b32 v34, v34, s24, 0x3020100
	v_lshrrev_b32_e32 v55, 1, v55
	v_perm_b32 v32, v59, v50, v32
	v_dot4_i32_iu8 v19, v33, v19, 0 neg_lo:[1,1,0]
	v_dot4_i32_iu8 v17, v33, v17, 0 neg_lo:[1,1,0]
	;; [unrolled: 1-line block ×3, first 2 shown]
	v_mul_f32_e32 v51, v49, v51
	v_perm_b32 v60, s17, 0x3020100, v56
	v_perm_b32 v56, s23, 0xfdfeff00, v56
	v_dot4_i32_iu8 v37, v33, v37, 0 neg_lo:[1,1,0]
	v_dot4_i32_iu8 v39, v33, v39, 0 neg_lo:[1,1,0]
	s_wait_loadcnt 0x3
	v_dot4_i32_iu8 v47, v33, v47, 0 neg_lo:[1,1,0]
	v_dot4_i32_iu8 v27, v33, v27, 0 neg_lo:[1,1,0]
	v_and_or_b32 v55, v55, s24, 0x3020100
	v_perm_b32 v34, v56, v60, v34
	v_mul_f32_e32 v54, v49, v54
	v_perm_b32 v62, s17, 0x3020100, v61
	v_perm_b32 v61, s23, 0xfdfeff00, v61
	v_dot4_i32_iu8 v15, v32, v15, v19 neg_lo:[1,1,0]
	v_dot4_i32_iu8 v17, v32, v35, v17 neg_lo:[1,1,0]
	;; [unrolled: 1-line block ×5, first 2 shown]
	s_wait_loadcnt 0x2
	v_dot4_i32_iu8 v25, v32, v43, v47 neg_lo:[1,1,0]
	v_dot4_i32_iu8 v27, v32, v45, v27 neg_lo:[1,1,0]
	v_perm_b32 v50, v61, v62, v55
	v_dot4_i32_iu8 v15, v34, v20, v15 neg_lo:[1,1,0]
	v_dot4_i32_iu8 v17, v34, v18, v17 neg_lo:[1,1,0]
	v_dot4_i32_iu8 v18, v34, v22, v19 neg_lo:[1,1,0]
	v_dot4_i32_iu8 v19, v34, v38, v21 neg_lo:[1,1,0]
	v_dot4_i32_iu8 v20, v34, v40, v23 neg_lo:[1,1,0]
	v_dot4_i32_iu8 v21, v34, v48, v25 neg_lo:[1,1,0]
	v_dot4_i32_iu8 v22, v34, v28, v27 neg_lo:[1,1,0]
	v_cvt_f32_f16_e32 v53, v53
	s_wait_loadcnt 0x0
	v_cvt_f32_f16_e32 v29, v29
	v_cvt_f32_f16_e32 v31, v31
	v_dot4_i32_iu8 v15, v50, v16, v15 neg_lo:[1,1,0]
	v_dot4_i32_iu8 v16, v50, v36, v17 neg_lo:[1,1,0]
	;; [unrolled: 1-line block ×7, first 2 shown]
	v_mul_f32_e32 v52, v49, v52
	v_mul_f32_e32 v53, v49, v53
	;; [unrolled: 1-line block ×4, first 2 shown]
	v_cvt_f32_i32_e32 v15, v15
	v_cvt_f32_i32_e32 v16, v16
	;; [unrolled: 1-line block ×7, first 2 shown]
	v_cmp_le_u32_e32 vcc_lo, s22, v10
	v_fmac_f32_e32 v11, v30, v15
	v_fmac_f32_e32 v9, v52, v16
	v_dual_fmac_f32 v7, v51, v17 :: v_dual_fmac_f32 v6, v53, v18
	v_dual_fmac_f32 v4, v54, v19 :: v_dual_fmac_f32 v3, v29, v20
	v_fmac_f32_e32 v2, v31, v21
	s_or_b32 s3, vcc_lo, s3
	s_wait_alu 0xfffe
	s_and_not1_b32 exec_lo, exec_lo, s3
	s_cbranch_execnz .LBB82_2
; %bb.3:
	s_or_b32 exec_lo, exec_lo, s3
.LBB82_4:
	s_delay_alu instid0(SALU_CYCLE_1)
	s_or_b32 exec_lo, exec_lo, s21
	s_mov_b32 s3, 0
	; wave barrier
	global_inv scope:SCOPE_SE
	s_mov_b32 s2, exec_lo
	v_cmpx_eq_u32_e32 0, v8
	s_cbranch_execz .LBB82_19
; %bb.5:
	v_mbcnt_lo_u32_b32 v12, -1, 0
	s_load_b64 s[0:1], s[0:1], 0x38
	s_mul_i32 s2, s10, s19
	s_mul_i32 s4, s18, s20
	s_wait_alu 0xfffe
	s_add_co_i32 s2, s2, ttmp9
	v_xor_b32_e32 v0, 16, v12
	v_xor_b32_e32 v1, 8, v12
	s_wait_alu 0xfffe
	s_add_co_i32 s2, s2, s4
	s_wait_alu 0xfffe
	s_lshl_b64 s[2:3], s[2:3], 2
	v_cmp_gt_i32_e32 vcc_lo, 32, v0
	s_wait_alu 0xfffd
	v_cndmask_b32_e32 v0, v12, v0, vcc_lo
	v_cmp_gt_i32_e32 vcc_lo, 32, v1
	s_wait_alu 0xfffd
	v_cndmask_b32_e32 v1, v12, v1, vcc_lo
	s_wait_kmcnt 0x0
	s_wait_alu 0xfffe
	s_add_nc_u64 s[0:1], s[0:1], s[2:3]
	s_delay_alu instid0(VALU_DEP_1)
	v_lshlrev_b32_e32 v1, 2, v1
	v_lshlrev_b32_e32 v0, 2, v0
	ds_bpermute_b32 v8, v0, v11
	s_wait_dscnt 0x0
	v_add_f32_e32 v10, v11, v8
	v_xor_b32_e32 v8, 4, v12
	ds_bpermute_b32 v11, v1, v10
	v_cmp_gt_i32_e32 vcc_lo, 32, v8
	s_wait_dscnt 0x0
	s_wait_alu 0xfffd
	v_dual_add_f32 v11, v10, v11 :: v_dual_cndmask_b32 v8, v12, v8
	v_xor_b32_e32 v10, 2, v12
	s_delay_alu instid0(VALU_DEP_2) | instskip(NEXT) | instid1(VALU_DEP_2)
	v_lshlrev_b32_e32 v8, 2, v8
	v_cmp_gt_i32_e32 vcc_lo, 32, v10
	ds_bpermute_b32 v13, v8, v11
	s_wait_dscnt 0x0
	s_wait_alu 0xfffd
	v_dual_cndmask_b32 v10, v12, v10 :: v_dual_add_f32 v13, v11, v13
	v_xor_b32_e32 v11, 1, v12
	s_delay_alu instid0(VALU_DEP_1) | instskip(SKIP_3) | instid1(VALU_DEP_2)
	v_cmp_gt_i32_e32 vcc_lo, 32, v11
	s_wait_alu 0xfffd
	v_cndmask_b32_e32 v11, v12, v11, vcc_lo
	v_cmp_eq_u32_e32 vcc_lo, 0, v5
	v_lshlrev_b32_e32 v11, 2, v11
	v_lshlrev_b32_e32 v10, 2, v10
	ds_bpermute_b32 v14, v10, v13
	s_wait_dscnt 0x0
	v_add_f32_e32 v12, v13, v14
	ds_bpermute_b32 v13, v11, v12
	s_and_saveexec_b32 s2, vcc_lo
	s_cbranch_execz .LBB82_7
; %bb.6:
	s_wait_dscnt 0x0
	v_dual_add_f32 v5, v12, v13 :: v_dual_mov_b32 v12, 0
	global_store_b32 v12, v5, s[0:1]
.LBB82_7:
	s_wait_alu 0xfffe
	s_or_b32 exec_lo, exec_lo, s2
	ds_bpermute_b32 v5, v0, v9
	s_wait_dscnt 0x0
	v_add_f32_e32 v5, v9, v5
	ds_bpermute_b32 v9, v1, v5
	s_wait_dscnt 0x0
	v_add_f32_e32 v5, v5, v9
	;; [unrolled: 3-line block ×4, first 2 shown]
	ds_bpermute_b32 v9, v11, v5
	s_and_saveexec_b32 s2, vcc_lo
	s_cbranch_execz .LBB82_9
; %bb.8:
	s_mov_b32 s7, 0
	s_wait_dscnt 0x0
	v_add_f32_e32 v5, v5, v9
	v_mov_b32_e32 v9, 0
	s_wait_alu 0xfffe
	s_lshl_b64 s[4:5], s[6:7], 2
	s_wait_alu 0xfffe
	s_add_nc_u64 s[4:5], s[0:1], s[4:5]
	global_store_b32 v9, v5, s[4:5]
.LBB82_9:
	s_wait_alu 0xfffe
	s_or_b32 exec_lo, exec_lo, s2
	ds_bpermute_b32 v5, v0, v7
	s_wait_dscnt 0x0
	v_add_f32_e32 v5, v7, v5
	ds_bpermute_b32 v7, v1, v5
	s_wait_dscnt 0x0
	v_add_f32_e32 v5, v5, v7
	;; [unrolled: 3-line block ×4, first 2 shown]
	ds_bpermute_b32 v7, v11, v5
	s_and_saveexec_b32 s2, vcc_lo
	s_cbranch_execz .LBB82_11
; %bb.10:
	s_lshl_b32 s4, s6, 1
	s_mov_b32 s5, 0
	s_wait_dscnt 0x0
	v_add_f32_e32 v5, v5, v7
	v_mov_b32_e32 v7, 0
	s_wait_alu 0xfffe
	s_lshl_b64 s[4:5], s[4:5], 2
	s_wait_alu 0xfffe
	s_add_nc_u64 s[4:5], s[0:1], s[4:5]
	global_store_b32 v7, v5, s[4:5]
.LBB82_11:
	s_wait_alu 0xfffe
	s_or_b32 exec_lo, exec_lo, s2
	ds_bpermute_b32 v5, v0, v6
	s_wait_dscnt 0x0
	v_add_f32_e32 v5, v6, v5
	ds_bpermute_b32 v6, v1, v5
	s_wait_dscnt 0x0
	v_add_f32_e32 v5, v5, v6
	ds_bpermute_b32 v6, v8, v5
	s_wait_dscnt 0x0
	v_add_f32_e32 v5, v5, v6
	ds_bpermute_b32 v6, v10, v5
	s_wait_dscnt 0x0
	v_add_f32_e32 v5, v5, v6
	ds_bpermute_b32 v6, v11, v5
	s_and_saveexec_b32 s2, vcc_lo
	s_cbranch_execz .LBB82_13
; %bb.12:
	s_mul_i32 s4, s6, 3
	s_mov_b32 s5, 0
	s_wait_dscnt 0x0
	v_dual_add_f32 v5, v5, v6 :: v_dual_mov_b32 v6, 0
	s_wait_alu 0xfffe
	s_lshl_b64 s[4:5], s[4:5], 2
	s_wait_alu 0xfffe
	s_add_nc_u64 s[4:5], s[0:1], s[4:5]
	global_store_b32 v6, v5, s[4:5]
.LBB82_13:
	s_wait_alu 0xfffe
	s_or_b32 exec_lo, exec_lo, s2
	ds_bpermute_b32 v5, v0, v4
	s_wait_dscnt 0x0
	v_add_f32_e32 v4, v4, v5
	ds_bpermute_b32 v5, v1, v4
	s_wait_dscnt 0x0
	v_add_f32_e32 v4, v4, v5
	ds_bpermute_b32 v5, v8, v4
	s_wait_dscnt 0x0
	v_add_f32_e32 v4, v4, v5
	ds_bpermute_b32 v5, v10, v4
	s_wait_dscnt 0x0
	v_add_f32_e32 v4, v4, v5
	ds_bpermute_b32 v5, v11, v4
	s_and_saveexec_b32 s2, vcc_lo
	s_cbranch_execz .LBB82_15
; %bb.14:
	s_lshl_b32 s4, s6, 2
	s_mov_b32 s5, 0
	s_wait_dscnt 0x0
	v_dual_add_f32 v4, v4, v5 :: v_dual_mov_b32 v5, 0
	s_wait_alu 0xfffe
	s_lshl_b64 s[4:5], s[4:5], 2
	s_wait_alu 0xfffe
	s_add_nc_u64 s[4:5], s[0:1], s[4:5]
	global_store_b32 v5, v4, s[4:5]
.LBB82_15:
	s_wait_alu 0xfffe
	s_or_b32 exec_lo, exec_lo, s2
	ds_bpermute_b32 v4, v0, v3
	s_wait_dscnt 0x0
	v_add_f32_e32 v3, v3, v4
	ds_bpermute_b32 v4, v1, v3
	s_wait_dscnt 0x0
	v_add_f32_e32 v3, v3, v4
	;; [unrolled: 3-line block ×4, first 2 shown]
	ds_bpermute_b32 v4, v11, v3
	s_and_saveexec_b32 s2, vcc_lo
	s_cbranch_execz .LBB82_17
; %bb.16:
	s_mul_i32 s4, s6, 5
	s_mov_b32 s5, 0
	s_wait_dscnt 0x0
	v_dual_add_f32 v3, v3, v4 :: v_dual_mov_b32 v4, 0
	s_wait_alu 0xfffe
	s_lshl_b64 s[4:5], s[4:5], 2
	s_wait_alu 0xfffe
	s_add_nc_u64 s[4:5], s[0:1], s[4:5]
	global_store_b32 v4, v3, s[4:5]
.LBB82_17:
	s_wait_alu 0xfffe
	s_or_b32 exec_lo, exec_lo, s2
	ds_bpermute_b32 v0, v0, v2
	s_wait_dscnt 0x0
	v_add_f32_e32 v0, v2, v0
	ds_bpermute_b32 v1, v1, v0
	s_wait_dscnt 0x0
	v_add_f32_e32 v0, v0, v1
	;; [unrolled: 3-line block ×4, first 2 shown]
	ds_bpermute_b32 v1, v11, v0
	s_and_b32 exec_lo, exec_lo, vcc_lo
	s_cbranch_execz .LBB82_19
; %bb.18:
	s_mul_i32 s2, s6, 6
	s_mov_b32 s3, 0
	s_wait_dscnt 0x0
	v_dual_add_f32 v0, v0, v1 :: v_dual_mov_b32 v1, 0
	s_wait_alu 0xfffe
	s_lshl_b64 s[2:3], s[2:3], 2
	s_wait_alu 0xfffe
	s_add_nc_u64 s[0:1], s[0:1], s[2:3]
	global_store_b32 v1, v0, s[0:1]
.LBB82_19:
	s_endpgm
	.section	.rodata,"a",@progbits
	.p2align	6, 0x0
	.amdhsa_kernel _ZL13mul_mat_vec_qIL9ggml_type39ELi7ELb0ELb0EEvPKvS2_PKi31ggml_cuda_mm_fusion_args_devicePfj15HIP_vector_typeIjLj3EEjjjS8_jjjS8_jjjj
		.amdhsa_group_segment_fixed_size 0
		.amdhsa_private_segment_fixed_size 0
		.amdhsa_kernarg_size 144
		.amdhsa_user_sgpr_count 2
		.amdhsa_user_sgpr_dispatch_ptr 0
		.amdhsa_user_sgpr_queue_ptr 0
		.amdhsa_user_sgpr_kernarg_segment_ptr 1
		.amdhsa_user_sgpr_dispatch_id 0
		.amdhsa_user_sgpr_private_segment_size 0
		.amdhsa_wavefront_size32 1
		.amdhsa_uses_dynamic_stack 0
		.amdhsa_enable_private_segment 0
		.amdhsa_system_sgpr_workgroup_id_x 1
		.amdhsa_system_sgpr_workgroup_id_y 1
		.amdhsa_system_sgpr_workgroup_id_z 1
		.amdhsa_system_sgpr_workgroup_info 0
		.amdhsa_system_vgpr_workitem_id 1
		.amdhsa_next_free_vgpr 63
		.amdhsa_next_free_sgpr 30
		.amdhsa_reserve_vcc 1
		.amdhsa_float_round_mode_32 0
		.amdhsa_float_round_mode_16_64 0
		.amdhsa_float_denorm_mode_32 3
		.amdhsa_float_denorm_mode_16_64 3
		.amdhsa_fp16_overflow 0
		.amdhsa_workgroup_processor_mode 1
		.amdhsa_memory_ordered 1
		.amdhsa_forward_progress 1
		.amdhsa_inst_pref_size 22
		.amdhsa_round_robin_scheduling 0
		.amdhsa_exception_fp_ieee_invalid_op 0
		.amdhsa_exception_fp_denorm_src 0
		.amdhsa_exception_fp_ieee_div_zero 0
		.amdhsa_exception_fp_ieee_overflow 0
		.amdhsa_exception_fp_ieee_underflow 0
		.amdhsa_exception_fp_ieee_inexact 0
		.amdhsa_exception_int_div_zero 0
	.end_amdhsa_kernel
	.section	.text._ZL13mul_mat_vec_qIL9ggml_type39ELi7ELb0ELb0EEvPKvS2_PKi31ggml_cuda_mm_fusion_args_devicePfj15HIP_vector_typeIjLj3EEjjjS8_jjjS8_jjjj,"axG",@progbits,_ZL13mul_mat_vec_qIL9ggml_type39ELi7ELb0ELb0EEvPKvS2_PKi31ggml_cuda_mm_fusion_args_devicePfj15HIP_vector_typeIjLj3EEjjjS8_jjjS8_jjjj,comdat
.Lfunc_end82:
	.size	_ZL13mul_mat_vec_qIL9ggml_type39ELi7ELb0ELb0EEvPKvS2_PKi31ggml_cuda_mm_fusion_args_devicePfj15HIP_vector_typeIjLj3EEjjjS8_jjjS8_jjjj, .Lfunc_end82-_ZL13mul_mat_vec_qIL9ggml_type39ELi7ELb0ELb0EEvPKvS2_PKi31ggml_cuda_mm_fusion_args_devicePfj15HIP_vector_typeIjLj3EEjjjS8_jjjS8_jjjj
                                        ; -- End function
	.set _ZL13mul_mat_vec_qIL9ggml_type39ELi7ELb0ELb0EEvPKvS2_PKi31ggml_cuda_mm_fusion_args_devicePfj15HIP_vector_typeIjLj3EEjjjS8_jjjS8_jjjj.num_vgpr, 63
	.set _ZL13mul_mat_vec_qIL9ggml_type39ELi7ELb0ELb0EEvPKvS2_PKi31ggml_cuda_mm_fusion_args_devicePfj15HIP_vector_typeIjLj3EEjjjS8_jjjS8_jjjj.num_agpr, 0
	.set _ZL13mul_mat_vec_qIL9ggml_type39ELi7ELb0ELb0EEvPKvS2_PKi31ggml_cuda_mm_fusion_args_devicePfj15HIP_vector_typeIjLj3EEjjjS8_jjjS8_jjjj.numbered_sgpr, 30
	.set _ZL13mul_mat_vec_qIL9ggml_type39ELi7ELb0ELb0EEvPKvS2_PKi31ggml_cuda_mm_fusion_args_devicePfj15HIP_vector_typeIjLj3EEjjjS8_jjjS8_jjjj.num_named_barrier, 0
	.set _ZL13mul_mat_vec_qIL9ggml_type39ELi7ELb0ELb0EEvPKvS2_PKi31ggml_cuda_mm_fusion_args_devicePfj15HIP_vector_typeIjLj3EEjjjS8_jjjS8_jjjj.private_seg_size, 0
	.set _ZL13mul_mat_vec_qIL9ggml_type39ELi7ELb0ELb0EEvPKvS2_PKi31ggml_cuda_mm_fusion_args_devicePfj15HIP_vector_typeIjLj3EEjjjS8_jjjS8_jjjj.uses_vcc, 1
	.set _ZL13mul_mat_vec_qIL9ggml_type39ELi7ELb0ELb0EEvPKvS2_PKi31ggml_cuda_mm_fusion_args_devicePfj15HIP_vector_typeIjLj3EEjjjS8_jjjS8_jjjj.uses_flat_scratch, 0
	.set _ZL13mul_mat_vec_qIL9ggml_type39ELi7ELb0ELb0EEvPKvS2_PKi31ggml_cuda_mm_fusion_args_devicePfj15HIP_vector_typeIjLj3EEjjjS8_jjjS8_jjjj.has_dyn_sized_stack, 0
	.set _ZL13mul_mat_vec_qIL9ggml_type39ELi7ELb0ELb0EEvPKvS2_PKi31ggml_cuda_mm_fusion_args_devicePfj15HIP_vector_typeIjLj3EEjjjS8_jjjS8_jjjj.has_recursion, 0
	.set _ZL13mul_mat_vec_qIL9ggml_type39ELi7ELb0ELb0EEvPKvS2_PKi31ggml_cuda_mm_fusion_args_devicePfj15HIP_vector_typeIjLj3EEjjjS8_jjjS8_jjjj.has_indirect_call, 0
	.section	.AMDGPU.csdata,"",@progbits
; Kernel info:
; codeLenInByte = 2720
; TotalNumSgprs: 32
; NumVgprs: 63
; ScratchSize: 0
; MemoryBound: 0
; FloatMode: 240
; IeeeMode: 1
; LDSByteSize: 0 bytes/workgroup (compile time only)
; SGPRBlocks: 0
; VGPRBlocks: 7
; NumSGPRsForWavesPerEU: 32
; NumVGPRsForWavesPerEU: 63
; Occupancy: 16
; WaveLimiterHint : 0
; COMPUTE_PGM_RSRC2:SCRATCH_EN: 0
; COMPUTE_PGM_RSRC2:USER_SGPR: 2
; COMPUTE_PGM_RSRC2:TRAP_HANDLER: 0
; COMPUTE_PGM_RSRC2:TGID_X_EN: 1
; COMPUTE_PGM_RSRC2:TGID_Y_EN: 1
; COMPUTE_PGM_RSRC2:TGID_Z_EN: 1
; COMPUTE_PGM_RSRC2:TIDIG_COMP_CNT: 1
	.section	.text._ZL13mul_mat_vec_qIL9ggml_type39ELi8ELb0ELb0EEvPKvS2_PKi31ggml_cuda_mm_fusion_args_devicePfj15HIP_vector_typeIjLj3EEjjjS8_jjjS8_jjjj,"axG",@progbits,_ZL13mul_mat_vec_qIL9ggml_type39ELi8ELb0ELb0EEvPKvS2_PKi31ggml_cuda_mm_fusion_args_devicePfj15HIP_vector_typeIjLj3EEjjjS8_jjjS8_jjjj,comdat
	.globl	_ZL13mul_mat_vec_qIL9ggml_type39ELi8ELb0ELb0EEvPKvS2_PKi31ggml_cuda_mm_fusion_args_devicePfj15HIP_vector_typeIjLj3EEjjjS8_jjjS8_jjjj ; -- Begin function _ZL13mul_mat_vec_qIL9ggml_type39ELi8ELb0ELb0EEvPKvS2_PKi31ggml_cuda_mm_fusion_args_devicePfj15HIP_vector_typeIjLj3EEjjjS8_jjjS8_jjjj
	.p2align	8
	.type	_ZL13mul_mat_vec_qIL9ggml_type39ELi8ELb0ELb0EEvPKvS2_PKi31ggml_cuda_mm_fusion_args_devicePfj15HIP_vector_typeIjLj3EEjjjS8_jjjS8_jjjj,@function
_ZL13mul_mat_vec_qIL9ggml_type39ELi8ELb0ELb0EEvPKvS2_PKi31ggml_cuda_mm_fusion_args_devicePfj15HIP_vector_typeIjLj3EEjjjS8_jjjS8_jjjj: ; @_ZL13mul_mat_vec_qIL9ggml_type39ELi8ELb0ELb0EEvPKvS2_PKi31ggml_cuda_mm_fusion_args_devicePfj15HIP_vector_typeIjLj3EEjjjS8_jjjS8_jjjj
; %bb.0:
	v_bfe_u32 v9, v0, 10, 10
	s_clause 0x5
	s_load_b32 s2, s[0:1], 0x40
	s_load_b96 s[16:18], s[0:1], 0x80
	s_load_b128 s[4:7], s[0:1], 0x50
	s_load_b32 s23, s[0:1], 0x60
	s_load_b128 s[8:11], s[0:1], 0x68
	s_load_b32 s24, s[0:1], 0x78
	v_dual_mov_b32 v3, 0 :: v_dual_and_b32 v6, 0x3ff, v0
	v_dual_mov_b32 v5, 0 :: v_dual_lshlrev_b32 v0, 5, v9
	v_dual_mov_b32 v4, 0 :: v_dual_mov_b32 v7, 0
	v_mov_b32_e32 v8, 0
	s_delay_alu instid0(VALU_DEP_3)
	v_add_nc_u16 v0, v0, v6
	v_mov_b32_e32 v10, 0
	v_mov_b32_e32 v12, 0
	s_and_b32 s19, ttmp7, 0xffff
	s_lshr_b32 s20, ttmp7, 16
	v_lshrrev_b16 v0, 1, v0
	v_mov_b32_e32 v2, 0
	s_mov_b32 s21, exec_lo
	s_delay_alu instid0(VALU_DEP_2)
	v_and_b32_e32 v11, 0xffff, v0
	s_wait_kmcnt 0x0
	s_lshr_b32 s22, s2, 5
	s_delay_alu instid0(VALU_DEP_1) | instid1(SALU_CYCLE_1)
	v_cmpx_gt_u32_e64 s22, v11
	s_cbranch_execz .LBB83_4
; %bb.1:
	s_load_b128 s[12:15], s[0:1], 0x0
	s_mul_i32 s2, s17, s20
	s_mov_b32 s3, 0
	s_mul_hi_u32 s7, s7, s19
	v_dual_mov_b32 v2, 0 :: v_dual_lshlrev_b32 v1, 1, v6
	s_mul_hi_u32 s11, s11, s20
	s_mul_u64 s[26:27], s[2:3], 36
	s_mul_i32 s2, s9, s19
	s_add_co_i32 s7, s19, s7
	s_add_co_i32 s9, s20, s11
	s_mul_u64 s[28:29], s[2:3], 36
	s_lshr_b32 s2, s7, s23
	v_and_b32_e32 v3, 1, v6
	v_and_b32_e32 v0, 0xffff, v0
	v_dual_mov_b32 v5, 0 :: v_dual_and_b32 v4, 2, v1
	s_lshr_b32 s7, s9, s24
	s_mul_i32 s2, s2, s8
	s_mul_i32 s4, s4, ttmp9
	s_wait_kmcnt 0x0
	s_add_nc_u64 s[8:9], s[14:15], s[26:27]
	v_dual_mov_b32 v8, 0 :: v_dual_lshlrev_b32 v13, 2, v4
	s_add_nc_u64 s[8:9], s[8:9], s[28:29]
	v_dual_mov_b32 v10, 0 :: v_dual_lshlrev_b32 v15, 2, v4
	v_mov_b32_e32 v4, 0
	v_dual_mov_b32 v7, 0 :: v_dual_lshlrev_b32 v14, 3, v3
	v_mov_b32_e32 v3, 0
	v_mad_co_u64_u32 v[0:1], null, v0, 36, s[8:9]
	v_mov_b32_e32 v12, 0
	s_mul_i32 s7, s7, s16
	s_add_co_i32 s2, s2, s4
	s_mul_i32 s11, s5, 3
	s_add_co_i32 s4, s7, s2
	s_lshl_b32 s7, s5, 1
	s_lshl_b32 s14, s5, 2
	s_mul_i32 s15, s5, 5
	s_mul_i32 s16, s5, 6
	;; [unrolled: 1-line block ×3, first 2 shown]
	s_mov_b32 s23, 0xc080604
	s_mov_b32 s24, 0xf4f8fafc
	;; [unrolled: 1-line block ×3, first 2 shown]
.LBB83_2:                               ; =>This Inner Loop Header: Depth=1
	v_add_nc_u32_e32 v18, s4, v11
	v_add_nc_u32_e32 v22, s5, v11
	;; [unrolled: 1-line block ×5, first 2 shown]
	v_mad_co_i64_i32 v[18:19], null, v18, 17, s[12:13]
	v_mad_co_u64_u32 v[22:23], null, v22, 36, s[8:9]
	v_mad_co_u64_u32 v[24:25], null, v24, 36, s[8:9]
	v_add_nc_u32_e32 v30, s15, v11
	v_add_co_u32 v16, vcc_lo, v0, v14
	v_mad_co_u64_u32 v[26:27], null, v26, 36, s[8:9]
	v_add_nc_u32_e32 v32, s16, v11
	s_wait_alu 0xfffd
	v_add_co_ci_u32_e64 v17, null, 0, v1, vcc_lo
	v_mad_co_u64_u32 v[28:29], null, v28, 36, s[8:9]
	v_add_co_u32 v36, vcc_lo, v18, v13
	v_add_nc_u32_e32 v34, s17, v11
	v_mad_co_u64_u32 v[30:31], null, v30, 36, s[8:9]
	s_wait_alu 0xfffd
	v_add_co_ci_u32_e64 v37, null, 0, v19, vcc_lo
	v_add_co_u32 v38, vcc_lo, v22, v15
	global_load_b32 v52, v[0:1], off
	v_mad_co_u64_u32 v[32:33], null, v32, 36, s[8:9]
	s_wait_alu 0xfffd
	v_add_co_ci_u32_e64 v39, null, 0, v23, vcc_lo
	v_add_co_u32 v40, vcc_lo, v24, v15
	v_mad_co_u64_u32 v[34:35], null, v34, 36, s[8:9]
	s_wait_alu 0xfffd
	v_add_co_ci_u32_e64 v41, null, 0, v25, vcc_lo
	v_add_co_u32 v42, vcc_lo, v26, v15
	s_wait_alu 0xfffd
	v_add_co_ci_u32_e64 v43, null, 0, v27, vcc_lo
	v_add_co_u32 v44, vcc_lo, v28, v15
	;; [unrolled: 3-line block ×5, first 2 shown]
	s_wait_alu 0xfffd
	v_add_co_ci_u32_e64 v51, null, 0, v35, vcc_lo
	s_clause 0x1
	global_load_b64 v[20:21], v[16:17], off offset:4
	global_load_b64 v[16:17], v[16:17], off offset:20
	s_clause 0x1
	global_load_b64 v[36:37], v[36:37], off offset:1
	global_load_u8 v53, v[18:19], off
	s_clause 0x14
	global_load_b64 v[18:19], v[38:39], off offset:4
	global_load_b64 v[38:39], v[38:39], off offset:20
	global_load_b32 v54, v[24:25], off
	global_load_b32 v55, v[22:23], off
	global_load_b64 v[22:23], v[40:41], off offset:4
	global_load_b64 v[24:25], v[40:41], off offset:20
	global_load_b64 v[40:41], v[42:43], off offset:4
	global_load_b32 v56, v[26:27], off
	global_load_b64 v[26:27], v[42:43], off offset:20
	global_load_b64 v[42:43], v[44:45], off offset:4
	;; [unrolled: 1-line block ×3, first 2 shown]
	global_load_b32 v57, v[28:29], off
	global_load_b64 v[28:29], v[46:47], off offset:4
	global_load_b64 v[46:47], v[46:47], off offset:20
	global_load_b32 v58, v[32:33], off
	global_load_b32 v59, v[30:31], off
	global_load_b64 v[30:31], v[50:51], off offset:20
	global_load_b64 v[32:33], v[48:49], off offset:4
	;; [unrolled: 1-line block ×4, first 2 shown]
	global_load_b32 v34, v[34:35], off
	v_add_co_u32 v0, vcc_lo, 0x240, v0
	s_wait_alu 0xfffd
	v_add_co_ci_u32_e64 v1, null, 0, v1, vcc_lo
	s_wait_loadcnt 0x19
	v_cvt_f32_f16_e32 v35, v52
	s_wait_loadcnt 0x16
	v_ashrrev_i32_e32 v52, 4, v36
	s_wait_loadcnt 0x15
	v_cmp_ne_u32_e64 s2, 0, v53
	v_ashrrev_i32_e32 v61, 4, v37
	s_wait_loadcnt 0x12
	v_cvt_f32_f16_e32 v54, v54
	s_wait_loadcnt 0x11
	v_cvt_f32_f16_e32 v55, v55
	;; [unrolled: 2-line block ×3, first 2 shown]
	v_lshlrev_b32_e32 v63, 23, v53
	v_and_b32_e32 v60, 0x7070707, v36
	v_lshrrev_b32_e32 v36, 1, v36
	s_wait_loadcnt 0x9
	v_cvt_f32_f16_e32 v57, v57
	v_mul_f32_e32 v63, 0.5, v63
	s_wait_alu 0xfffe
	v_perm_b32 v64, s23, 0x3020100, v60
	v_perm_b32 v60, s24, 0xfdfeff00, v60
	v_and_or_b32 v36, v36, s25, 0x3020100
	s_wait_loadcnt 0x6
	v_cvt_f32_f16_e32 v58, v58
	s_wait_loadcnt 0x5
	v_cvt_f32_f16_e32 v59, v59
	;; [unrolled: 2-line block ×3, first 2 shown]
	v_perm_b32 v36, v60, v64, v36
	s_wait_alu 0xf1ff
	v_cndmask_b32_e64 v60, 0x200000, v63, s2
	v_and_b32_e32 v65, 0x7070707, v52
	v_lshrrev_b32_e32 v52, 1, v52
	v_and_b32_e32 v62, 0x7070707, v37
	v_lshrrev_b32_e32 v37, 1, v37
	v_mul_f32_e32 v58, v60, v58
	v_perm_b32 v53, s23, 0x3020100, v65
	v_perm_b32 v65, s24, 0xfdfeff00, v65
	v_and_or_b32 v52, v52, s25, 0x3020100
	v_dual_mul_f32 v34, v60, v34 :: v_dual_and_b32 v67, 0x7070707, v61
	v_and_or_b32 v37, v37, s25, 0x3020100
	v_lshrrev_b32_e32 v61, 1, v61
	s_delay_alu instid0(VALU_DEP_4)
	v_perm_b32 v52, v65, v53, v52
	v_dot4_i32_iu8 v20, v36, v20, 0 neg_lo:[1,1,0]
	v_mul_f32_e32 v35, v60, v35
	v_perm_b32 v66, s23, 0x3020100, v62
	v_perm_b32 v62, s24, 0xfdfeff00, v62
	;; [unrolled: 1-line block ×4, first 2 shown]
	v_and_or_b32 v61, v61, s25, 0x3020100
	v_dot4_i32_iu8 v18, v36, v18, 0 neg_lo:[1,1,0]
	v_perm_b32 v37, v62, v66, v37
	v_dot4_i32_iu8 v22, v36, v22, 0 neg_lo:[1,1,0]
	v_dot4_i32_iu8 v40, v36, v40, 0 neg_lo:[1,1,0]
	;; [unrolled: 1-line block ×7, first 2 shown]
	v_perm_b32 v53, v67, v68, v61
	v_dot4_i32_iu8 v18, v52, v38, v18 neg_lo:[1,1,0]
	v_dot4_i32_iu8 v20, v52, v24, v22 neg_lo:[1,1,0]
	v_dot4_i32_iu8 v22, v52, v26, v40 neg_lo:[1,1,0]
	v_dot4_i32_iu8 v24, v52, v44, v42 neg_lo:[1,1,0]
	v_dot4_i32_iu8 v26, v52, v46, v28 neg_lo:[1,1,0]
	v_dot4_i32_iu8 v28, v52, v48, v32 neg_lo:[1,1,0]
	v_dot4_i32_iu8 v30, v52, v30, v36 neg_lo:[1,1,0]
	v_dot4_i32_iu8 v16, v37, v21, v16 neg_lo:[1,1,0]
	v_dot4_i32_iu8 v18, v37, v19, v18 neg_lo:[1,1,0]
	v_dot4_i32_iu8 v19, v37, v23, v20 neg_lo:[1,1,0]
	v_dot4_i32_iu8 v20, v37, v41, v22 neg_lo:[1,1,0]
	v_dot4_i32_iu8 v21, v37, v43, v24 neg_lo:[1,1,0]
	v_dot4_i32_iu8 v22, v37, v29, v26 neg_lo:[1,1,0]
	v_dot4_i32_iu8 v23, v37, v33, v28 neg_lo:[1,1,0]
	v_dot4_i32_iu8 v24, v37, v51, v30 neg_lo:[1,1,0]
	v_dot4_i32_iu8 v16, v53, v17, v16 neg_lo:[1,1,0]
	v_dot4_i32_iu8 v17, v53, v39, v18 neg_lo:[1,1,0]
	v_dot4_i32_iu8 v18, v53, v25, v19 neg_lo:[1,1,0]
	v_dot4_i32_iu8 v19, v53, v27, v20 neg_lo:[1,1,0]
	v_dot4_i32_iu8 v20, v53, v45, v21 neg_lo:[1,1,0]
	v_dot4_i32_iu8 v21, v53, v47, v22 neg_lo:[1,1,0]
	v_dot4_i32_iu8 v22, v53, v49, v23 neg_lo:[1,1,0]
	v_dot4_i32_iu8 v23, v53, v31, v24 neg_lo:[1,1,0]
	v_cvt_f32_i32_e32 v16, v16
	v_dual_mul_f32 v54, v60, v54 :: v_dual_add_nc_u32 v11, 16, v11
	v_mul_f32_e32 v55, v60, v55
	v_mul_f32_e32 v56, v60, v56
	;; [unrolled: 1-line block ×3, first 2 shown]
	v_cvt_f32_i32_e32 v17, v17
	v_cvt_f32_i32_e32 v18, v18
	;; [unrolled: 1-line block ×7, first 2 shown]
	v_dual_fmac_f32 v12, v35, v16 :: v_dual_mul_f32 v59, v60, v59
	v_fmac_f32_e32 v10, v55, v17
	v_cmp_le_u32_e32 vcc_lo, s22, v11
	v_dual_fmac_f32 v8, v54, v18 :: v_dual_fmac_f32 v7, v56, v19
	s_delay_alu instid0(VALU_DEP_4)
	v_dual_fmac_f32 v5, v57, v20 :: v_dual_fmac_f32 v4, v59, v21
	v_fmac_f32_e32 v3, v58, v22
	v_fmac_f32_e32 v2, v34, v23
	s_or_b32 s3, vcc_lo, s3
	s_wait_alu 0xfffe
	s_and_not1_b32 exec_lo, exec_lo, s3
	s_cbranch_execnz .LBB83_2
; %bb.3:
	s_or_b32 exec_lo, exec_lo, s3
.LBB83_4:
	s_delay_alu instid0(SALU_CYCLE_1)
	s_or_b32 exec_lo, exec_lo, s21
	s_mov_b32 s3, 0
	; wave barrier
	global_inv scope:SCOPE_SE
	s_mov_b32 s2, exec_lo
	v_cmpx_eq_u32_e32 0, v9
	s_cbranch_execz .LBB83_21
; %bb.5:
	v_mbcnt_lo_u32_b32 v13, -1, 0
	s_load_b64 s[0:1], s[0:1], 0x38
	s_mul_i32 s2, s10, s19
	s_mul_i32 s4, s18, s20
	s_wait_alu 0xfffe
	s_add_co_i32 s2, s2, ttmp9
	v_xor_b32_e32 v0, 16, v13
	v_xor_b32_e32 v1, 8, v13
	s_wait_alu 0xfffe
	s_add_co_i32 s2, s2, s4
	s_wait_alu 0xfffe
	s_lshl_b64 s[2:3], s[2:3], 2
	v_cmp_gt_i32_e32 vcc_lo, 32, v0
	s_wait_alu 0xfffd
	v_cndmask_b32_e32 v0, v13, v0, vcc_lo
	v_cmp_gt_i32_e32 vcc_lo, 32, v1
	s_wait_alu 0xfffd
	v_cndmask_b32_e32 v1, v13, v1, vcc_lo
	s_wait_kmcnt 0x0
	s_wait_alu 0xfffe
	s_add_nc_u64 s[0:1], s[0:1], s[2:3]
	s_delay_alu instid0(VALU_DEP_1)
	v_lshlrev_b32_e32 v1, 2, v1
	v_lshlrev_b32_e32 v0, 2, v0
	ds_bpermute_b32 v9, v0, v12
	s_wait_dscnt 0x0
	v_add_f32_e32 v11, v12, v9
	v_xor_b32_e32 v9, 4, v13
	ds_bpermute_b32 v12, v1, v11
	v_cmp_gt_i32_e32 vcc_lo, 32, v9
	s_wait_dscnt 0x0
	s_wait_alu 0xfffd
	v_dual_add_f32 v12, v11, v12 :: v_dual_cndmask_b32 v9, v13, v9
	v_xor_b32_e32 v11, 2, v13
	s_delay_alu instid0(VALU_DEP_2) | instskip(NEXT) | instid1(VALU_DEP_2)
	v_lshlrev_b32_e32 v9, 2, v9
	v_cmp_gt_i32_e32 vcc_lo, 32, v11
	ds_bpermute_b32 v14, v9, v12
	s_wait_dscnt 0x0
	s_wait_alu 0xfffd
	v_dual_cndmask_b32 v11, v13, v11 :: v_dual_add_f32 v14, v12, v14
	v_xor_b32_e32 v12, 1, v13
	s_delay_alu instid0(VALU_DEP_1) | instskip(SKIP_3) | instid1(VALU_DEP_2)
	v_cmp_gt_i32_e32 vcc_lo, 32, v12
	s_wait_alu 0xfffd
	v_cndmask_b32_e32 v12, v13, v12, vcc_lo
	v_cmp_eq_u32_e32 vcc_lo, 0, v6
	v_lshlrev_b32_e32 v12, 2, v12
	v_lshlrev_b32_e32 v11, 2, v11
	ds_bpermute_b32 v15, v11, v14
	s_wait_dscnt 0x0
	v_add_f32_e32 v13, v14, v15
	ds_bpermute_b32 v14, v12, v13
	s_and_saveexec_b32 s2, vcc_lo
	s_cbranch_execz .LBB83_7
; %bb.6:
	s_wait_dscnt 0x0
	v_dual_add_f32 v6, v13, v14 :: v_dual_mov_b32 v13, 0
	global_store_b32 v13, v6, s[0:1]
.LBB83_7:
	s_wait_alu 0xfffe
	s_or_b32 exec_lo, exec_lo, s2
	ds_bpermute_b32 v6, v0, v10
	s_wait_dscnt 0x0
	v_add_f32_e32 v6, v10, v6
	ds_bpermute_b32 v10, v1, v6
	s_wait_dscnt 0x0
	v_add_f32_e32 v6, v6, v10
	;; [unrolled: 3-line block ×4, first 2 shown]
	ds_bpermute_b32 v10, v12, v6
	s_and_saveexec_b32 s2, vcc_lo
	s_cbranch_execz .LBB83_9
; %bb.8:
	s_mov_b32 s7, 0
	s_wait_dscnt 0x0
	v_add_f32_e32 v6, v6, v10
	v_mov_b32_e32 v10, 0
	s_wait_alu 0xfffe
	s_lshl_b64 s[4:5], s[6:7], 2
	s_wait_alu 0xfffe
	s_add_nc_u64 s[4:5], s[0:1], s[4:5]
	global_store_b32 v10, v6, s[4:5]
.LBB83_9:
	s_wait_alu 0xfffe
	s_or_b32 exec_lo, exec_lo, s2
	ds_bpermute_b32 v6, v0, v8
	s_wait_dscnt 0x0
	v_add_f32_e32 v6, v8, v6
	ds_bpermute_b32 v8, v1, v6
	s_wait_dscnt 0x0
	v_add_f32_e32 v6, v6, v8
	;; [unrolled: 3-line block ×4, first 2 shown]
	ds_bpermute_b32 v8, v12, v6
	s_and_saveexec_b32 s2, vcc_lo
	s_cbranch_execz .LBB83_11
; %bb.10:
	s_lshl_b32 s4, s6, 1
	s_mov_b32 s5, 0
	s_wait_dscnt 0x0
	v_add_f32_e32 v6, v6, v8
	v_mov_b32_e32 v8, 0
	s_wait_alu 0xfffe
	s_lshl_b64 s[4:5], s[4:5], 2
	s_wait_alu 0xfffe
	s_add_nc_u64 s[4:5], s[0:1], s[4:5]
	global_store_b32 v8, v6, s[4:5]
.LBB83_11:
	s_wait_alu 0xfffe
	s_or_b32 exec_lo, exec_lo, s2
	ds_bpermute_b32 v6, v0, v7
	s_wait_dscnt 0x0
	v_add_f32_e32 v6, v7, v6
	ds_bpermute_b32 v7, v1, v6
	s_wait_dscnt 0x0
	v_add_f32_e32 v6, v6, v7
	;; [unrolled: 3-line block ×4, first 2 shown]
	ds_bpermute_b32 v7, v12, v6
	s_and_saveexec_b32 s2, vcc_lo
	s_cbranch_execz .LBB83_13
; %bb.12:
	s_mul_i32 s4, s6, 3
	s_mov_b32 s5, 0
	s_wait_dscnt 0x0
	v_dual_add_f32 v6, v6, v7 :: v_dual_mov_b32 v7, 0
	s_wait_alu 0xfffe
	s_lshl_b64 s[4:5], s[4:5], 2
	s_wait_alu 0xfffe
	s_add_nc_u64 s[4:5], s[0:1], s[4:5]
	global_store_b32 v7, v6, s[4:5]
.LBB83_13:
	s_wait_alu 0xfffe
	s_or_b32 exec_lo, exec_lo, s2
	ds_bpermute_b32 v6, v0, v5
	s_wait_dscnt 0x0
	v_add_f32_e32 v5, v5, v6
	ds_bpermute_b32 v6, v1, v5
	s_wait_dscnt 0x0
	v_add_f32_e32 v5, v5, v6
	;; [unrolled: 3-line block ×4, first 2 shown]
	ds_bpermute_b32 v6, v12, v5
	s_and_saveexec_b32 s2, vcc_lo
	s_cbranch_execz .LBB83_15
; %bb.14:
	s_lshl_b32 s4, s6, 2
	s_mov_b32 s5, 0
	s_wait_dscnt 0x0
	v_dual_add_f32 v5, v5, v6 :: v_dual_mov_b32 v6, 0
	s_wait_alu 0xfffe
	s_lshl_b64 s[4:5], s[4:5], 2
	s_wait_alu 0xfffe
	s_add_nc_u64 s[4:5], s[0:1], s[4:5]
	global_store_b32 v6, v5, s[4:5]
.LBB83_15:
	s_wait_alu 0xfffe
	s_or_b32 exec_lo, exec_lo, s2
	ds_bpermute_b32 v5, v0, v4
	s_wait_dscnt 0x0
	v_add_f32_e32 v4, v4, v5
	ds_bpermute_b32 v5, v1, v4
	s_wait_dscnt 0x0
	v_add_f32_e32 v4, v4, v5
	;; [unrolled: 3-line block ×4, first 2 shown]
	ds_bpermute_b32 v5, v12, v4
	s_and_saveexec_b32 s2, vcc_lo
	s_cbranch_execz .LBB83_17
; %bb.16:
	s_mul_i32 s4, s6, 5
	s_mov_b32 s5, 0
	s_wait_dscnt 0x0
	v_dual_add_f32 v4, v4, v5 :: v_dual_mov_b32 v5, 0
	s_wait_alu 0xfffe
	s_lshl_b64 s[4:5], s[4:5], 2
	s_wait_alu 0xfffe
	s_add_nc_u64 s[4:5], s[0:1], s[4:5]
	global_store_b32 v5, v4, s[4:5]
.LBB83_17:
	s_wait_alu 0xfffe
	s_or_b32 exec_lo, exec_lo, s2
	ds_bpermute_b32 v4, v0, v3
	s_wait_dscnt 0x0
	v_add_f32_e32 v3, v3, v4
	ds_bpermute_b32 v4, v1, v3
	s_wait_dscnt 0x0
	v_add_f32_e32 v3, v3, v4
	;; [unrolled: 3-line block ×4, first 2 shown]
	ds_bpermute_b32 v4, v12, v3
	s_and_saveexec_b32 s2, vcc_lo
	s_cbranch_execz .LBB83_19
; %bb.18:
	s_mul_i32 s4, s6, 6
	s_mov_b32 s5, 0
	s_wait_dscnt 0x0
	v_dual_add_f32 v3, v3, v4 :: v_dual_mov_b32 v4, 0
	s_wait_alu 0xfffe
	s_lshl_b64 s[4:5], s[4:5], 2
	s_wait_alu 0xfffe
	s_add_nc_u64 s[4:5], s[0:1], s[4:5]
	global_store_b32 v4, v3, s[4:5]
.LBB83_19:
	s_wait_alu 0xfffe
	s_or_b32 exec_lo, exec_lo, s2
	ds_bpermute_b32 v0, v0, v2
	s_wait_dscnt 0x0
	v_add_f32_e32 v0, v2, v0
	ds_bpermute_b32 v1, v1, v0
	s_wait_dscnt 0x0
	v_add_f32_e32 v0, v0, v1
	;; [unrolled: 3-line block ×4, first 2 shown]
	ds_bpermute_b32 v1, v12, v0
	s_and_b32 exec_lo, exec_lo, vcc_lo
	s_cbranch_execz .LBB83_21
; %bb.20:
	s_mul_i32 s2, s6, 7
	s_mov_b32 s3, 0
	s_wait_dscnt 0x0
	v_dual_add_f32 v0, v0, v1 :: v_dual_mov_b32 v1, 0
	s_wait_alu 0xfffe
	s_lshl_b64 s[2:3], s[2:3], 2
	s_wait_alu 0xfffe
	s_add_nc_u64 s[0:1], s[0:1], s[2:3]
	global_store_b32 v1, v0, s[0:1]
.LBB83_21:
	s_endpgm
	.section	.rodata,"a",@progbits
	.p2align	6, 0x0
	.amdhsa_kernel _ZL13mul_mat_vec_qIL9ggml_type39ELi8ELb0ELb0EEvPKvS2_PKi31ggml_cuda_mm_fusion_args_devicePfj15HIP_vector_typeIjLj3EEjjjS8_jjjS8_jjjj
		.amdhsa_group_segment_fixed_size 0
		.amdhsa_private_segment_fixed_size 0
		.amdhsa_kernarg_size 144
		.amdhsa_user_sgpr_count 2
		.amdhsa_user_sgpr_dispatch_ptr 0
		.amdhsa_user_sgpr_queue_ptr 0
		.amdhsa_user_sgpr_kernarg_segment_ptr 1
		.amdhsa_user_sgpr_dispatch_id 0
		.amdhsa_user_sgpr_private_segment_size 0
		.amdhsa_wavefront_size32 1
		.amdhsa_uses_dynamic_stack 0
		.amdhsa_enable_private_segment 0
		.amdhsa_system_sgpr_workgroup_id_x 1
		.amdhsa_system_sgpr_workgroup_id_y 1
		.amdhsa_system_sgpr_workgroup_id_z 1
		.amdhsa_system_sgpr_workgroup_info 0
		.amdhsa_system_vgpr_workitem_id 1
		.amdhsa_next_free_vgpr 69
		.amdhsa_next_free_sgpr 30
		.amdhsa_reserve_vcc 1
		.amdhsa_float_round_mode_32 0
		.amdhsa_float_round_mode_16_64 0
		.amdhsa_float_denorm_mode_32 3
		.amdhsa_float_denorm_mode_16_64 3
		.amdhsa_fp16_overflow 0
		.amdhsa_workgroup_processor_mode 1
		.amdhsa_memory_ordered 1
		.amdhsa_forward_progress 1
		.amdhsa_inst_pref_size 24
		.amdhsa_round_robin_scheduling 0
		.amdhsa_exception_fp_ieee_invalid_op 0
		.amdhsa_exception_fp_denorm_src 0
		.amdhsa_exception_fp_ieee_div_zero 0
		.amdhsa_exception_fp_ieee_overflow 0
		.amdhsa_exception_fp_ieee_underflow 0
		.amdhsa_exception_fp_ieee_inexact 0
		.amdhsa_exception_int_div_zero 0
	.end_amdhsa_kernel
	.section	.text._ZL13mul_mat_vec_qIL9ggml_type39ELi8ELb0ELb0EEvPKvS2_PKi31ggml_cuda_mm_fusion_args_devicePfj15HIP_vector_typeIjLj3EEjjjS8_jjjS8_jjjj,"axG",@progbits,_ZL13mul_mat_vec_qIL9ggml_type39ELi8ELb0ELb0EEvPKvS2_PKi31ggml_cuda_mm_fusion_args_devicePfj15HIP_vector_typeIjLj3EEjjjS8_jjjS8_jjjj,comdat
.Lfunc_end83:
	.size	_ZL13mul_mat_vec_qIL9ggml_type39ELi8ELb0ELb0EEvPKvS2_PKi31ggml_cuda_mm_fusion_args_devicePfj15HIP_vector_typeIjLj3EEjjjS8_jjjS8_jjjj, .Lfunc_end83-_ZL13mul_mat_vec_qIL9ggml_type39ELi8ELb0ELb0EEvPKvS2_PKi31ggml_cuda_mm_fusion_args_devicePfj15HIP_vector_typeIjLj3EEjjjS8_jjjS8_jjjj
                                        ; -- End function
	.set _ZL13mul_mat_vec_qIL9ggml_type39ELi8ELb0ELb0EEvPKvS2_PKi31ggml_cuda_mm_fusion_args_devicePfj15HIP_vector_typeIjLj3EEjjjS8_jjjS8_jjjj.num_vgpr, 69
	.set _ZL13mul_mat_vec_qIL9ggml_type39ELi8ELb0ELb0EEvPKvS2_PKi31ggml_cuda_mm_fusion_args_devicePfj15HIP_vector_typeIjLj3EEjjjS8_jjjS8_jjjj.num_agpr, 0
	.set _ZL13mul_mat_vec_qIL9ggml_type39ELi8ELb0ELb0EEvPKvS2_PKi31ggml_cuda_mm_fusion_args_devicePfj15HIP_vector_typeIjLj3EEjjjS8_jjjS8_jjjj.numbered_sgpr, 30
	.set _ZL13mul_mat_vec_qIL9ggml_type39ELi8ELb0ELb0EEvPKvS2_PKi31ggml_cuda_mm_fusion_args_devicePfj15HIP_vector_typeIjLj3EEjjjS8_jjjS8_jjjj.num_named_barrier, 0
	.set _ZL13mul_mat_vec_qIL9ggml_type39ELi8ELb0ELb0EEvPKvS2_PKi31ggml_cuda_mm_fusion_args_devicePfj15HIP_vector_typeIjLj3EEjjjS8_jjjS8_jjjj.private_seg_size, 0
	.set _ZL13mul_mat_vec_qIL9ggml_type39ELi8ELb0ELb0EEvPKvS2_PKi31ggml_cuda_mm_fusion_args_devicePfj15HIP_vector_typeIjLj3EEjjjS8_jjjS8_jjjj.uses_vcc, 1
	.set _ZL13mul_mat_vec_qIL9ggml_type39ELi8ELb0ELb0EEvPKvS2_PKi31ggml_cuda_mm_fusion_args_devicePfj15HIP_vector_typeIjLj3EEjjjS8_jjjS8_jjjj.uses_flat_scratch, 0
	.set _ZL13mul_mat_vec_qIL9ggml_type39ELi8ELb0ELb0EEvPKvS2_PKi31ggml_cuda_mm_fusion_args_devicePfj15HIP_vector_typeIjLj3EEjjjS8_jjjS8_jjjj.has_dyn_sized_stack, 0
	.set _ZL13mul_mat_vec_qIL9ggml_type39ELi8ELb0ELb0EEvPKvS2_PKi31ggml_cuda_mm_fusion_args_devicePfj15HIP_vector_typeIjLj3EEjjjS8_jjjS8_jjjj.has_recursion, 0
	.set _ZL13mul_mat_vec_qIL9ggml_type39ELi8ELb0ELb0EEvPKvS2_PKi31ggml_cuda_mm_fusion_args_devicePfj15HIP_vector_typeIjLj3EEjjjS8_jjjS8_jjjj.has_indirect_call, 0
	.section	.AMDGPU.csdata,"",@progbits
; Kernel info:
; codeLenInByte = 3000
; TotalNumSgprs: 32
; NumVgprs: 69
; ScratchSize: 0
; MemoryBound: 0
; FloatMode: 240
; IeeeMode: 1
; LDSByteSize: 0 bytes/workgroup (compile time only)
; SGPRBlocks: 0
; VGPRBlocks: 8
; NumSGPRsForWavesPerEU: 32
; NumVGPRsForWavesPerEU: 69
; Occupancy: 16
; WaveLimiterHint : 0
; COMPUTE_PGM_RSRC2:SCRATCH_EN: 0
; COMPUTE_PGM_RSRC2:USER_SGPR: 2
; COMPUTE_PGM_RSRC2:TRAP_HANDLER: 0
; COMPUTE_PGM_RSRC2:TGID_X_EN: 1
; COMPUTE_PGM_RSRC2:TGID_Y_EN: 1
; COMPUTE_PGM_RSRC2:TGID_Z_EN: 1
; COMPUTE_PGM_RSRC2:TIDIG_COMP_CNT: 1
	.section	.text._ZL17mul_mat_vec_q_moeIL9ggml_type40ELi2EEvPKvS2_PKiPfj15HIP_vector_typeIjLj3EEjjjjjjjjj,"axG",@progbits,_ZL17mul_mat_vec_q_moeIL9ggml_type40ELi2EEvPKvS2_PKiPfj15HIP_vector_typeIjLj3EEjjjjjjjjj,comdat
	.globl	_ZL17mul_mat_vec_q_moeIL9ggml_type40ELi2EEvPKvS2_PKiPfj15HIP_vector_typeIjLj3EEjjjjjjjjj ; -- Begin function _ZL17mul_mat_vec_q_moeIL9ggml_type40ELi2EEvPKvS2_PKiPfj15HIP_vector_typeIjLj3EEjjjjjjjjj
	.p2align	8
	.type	_ZL17mul_mat_vec_q_moeIL9ggml_type40ELi2EEvPKvS2_PKiPfj15HIP_vector_typeIjLj3EEjjjjjjjjj,@function
_ZL17mul_mat_vec_q_moeIL9ggml_type40ELi2EEvPKvS2_PKiPfj15HIP_vector_typeIjLj3EEjjjjjjjjj: ; @_ZL17mul_mat_vec_q_moeIL9ggml_type40ELi2EEvPKvS2_PKiPfj15HIP_vector_typeIjLj3EEjjjjjjjjj
; %bb.0:
	s_load_b256 s[4:11], s[0:1], 0x30
	v_bfe_u32 v23, v0, 10, 10
	s_mov_b32 s2, exec_lo
	s_wait_kmcnt 0x0
	s_delay_alu instid0(VALU_DEP_1)
	v_cmpx_gt_u32_e64 s11, v23
	s_cbranch_execz .LBB84_31
; %bb.1:
	s_clause 0x2
	s_load_b32 s2, s[0:1], 0x20
	s_load_b32 s20, s[0:1], 0x50
	s_load_b256 s[12:19], s[0:1], 0x0
	v_bfe_u32 v25, v0, 1, 9
	v_and_b32_e32 v24, 0x3ff, v0
	v_mov_b32_e32 v26, 0
	v_mov_b32_e32 v8, 0
	s_mov_b32 s11, exec_lo
	s_wait_kmcnt 0x0
	s_lshr_b32 s3, s2, 6
	s_lshl_b32 s2, ttmp9, 1
	v_cmpx_gt_u32_e64 s3, v25
	s_cbranch_execz .LBB84_29
; %bb.2:
	s_mov_b32 s22, ttmp7
	v_lshrrev_b32_e32 v3, 1, v24
	v_mad_co_u64_u32 v[7:8], null, s20, v23, s[22:23]
	v_mov_b32_e32 v8, 0
	s_load_b96 s[20:22], s[0:1], 0x24
	v_and_b32_e32 v4, 1, v24
	s_mov_b32 s1, 0
	s_delay_alu instid0(VALU_DEP_2) | instskip(NEXT) | instid1(VALU_DEP_1)
	v_lshlrev_b64_e32 v[0:1], 2, v[7:8]
	v_add_co_u32 v0, vcc_lo, s16, v0
	s_delay_alu instid0(VALU_DEP_1)
	v_add_co_ci_u32_e64 v1, null, s17, v1, vcc_lo
	global_load_b32 v2, v[0:1], off
	v_mul_lo_u32 v0, s6, v23
	s_wait_kmcnt 0x0
	s_mul_hi_u32 s0, s20, ttmp7
	s_mov_b32 s6, 0xc080604
	s_add_co_i32 s0, ttmp7, s0
	s_delay_alu instid0(SALU_CYCLE_1) | instskip(NEXT) | instid1(SALU_CYCLE_1)
	s_lshr_b32 s0, s0, s21
	s_mul_i32 s0, s0, s22
	s_delay_alu instid0(VALU_DEP_1) | instskip(SKIP_1) | instid1(SALU_CYCLE_1)
	v_mad_co_u64_u32 v[0:1], null, v0, 36, 0
	s_sub_co_i32 s0, ttmp7, s0
	s_mul_i32 s0, s0, s9
	v_mad_co_u64_u32 v[0:1], null, 0x48, v3, v[0:1]
	v_dual_mov_b32 v26, v8 :: v_dual_lshlrev_b32 v3, 2, v24
	s_delay_alu instid0(VALU_DEP_1) | instskip(NEXT) | instid1(VALU_DEP_3)
	v_and_b32_e32 v3, 4, v3
	v_mad_co_u64_u32 v[0:1], null, s0, 36, v[0:1]
	s_add_co_i32 s0, s2, 1
	v_lshrrev_b32_e32 v27, 1, v3
	v_lshlrev_b32_e32 v29, 2, v3
	v_mad_co_u64_u32 v[0:1], null, v4, 36, v[0:1]
	v_or_b32_e32 v4, 2, v3
	s_delay_alu instid0(VALU_DEP_1) | instskip(NEXT) | instid1(VALU_DEP_3)
	v_lshrrev_b32_e32 v28, 1, v4
	v_add_co_u32 v0, vcc_lo, s14, v0
	s_wait_alu 0xfffd
	s_delay_alu instid0(VALU_DEP_4) | instskip(SKIP_3) | instid1(VALU_DEP_1)
	v_add_co_ci_u32_e64 v1, null, s15, v1, vcc_lo
	s_wait_loadcnt 0x0
	v_mul_lo_u32 v2, v2, s8
	s_mov_b32 s8, 0x4040404
	v_mad_co_u64_u32 v[9:10], null, s2, s5, v[2:3]
	s_wait_alu 0xfffe
	v_mad_co_u64_u32 v[10:11], null, s5, s0, v[2:3]
	v_add_co_u32 v11, vcc_lo, v0, 16
	s_wait_alu 0xfffd
	v_add_co_ci_u32_e64 v12, null, 0, v1, vcc_lo
	s_mov_b32 s5, 0xf4f8fafc
	s_branch .LBB84_4
.LBB84_3:                               ;   in Loop: Header=BB84_4 Depth=1
	s_wait_alu 0xfffe
	s_or_b32 exec_lo, exec_lo, s9
	v_ashrrev_i32_e32 v35, 4, v17
	v_cvt_f32_f16_e32 v4, v4
	v_and_b32_e32 v37, 0x7070707, v17
	v_lshrrev_b32_e32 v17, 1, v17
	v_ashrrev_i32_e32 v22, 4, v18
	v_and_b32_e32 v40, 0x7070707, v35
	v_lshrrev_b32_e32 v35, 1, v35
	v_perm_b32 v41, s5, 0xfdfeff00, v37
	v_perm_b32 v37, s6, 0x3020100, v37
	v_and_or_b32 v17, v17, s8, 0x3020100
	v_perm_b32 v42, s5, 0xfdfeff00, v40
	v_perm_b32 v40, s6, 0x3020100, v40
	v_and_or_b32 v35, v35, s8, 0x3020100
	v_and_b32_e32 v34, 0x7070707, v18
	v_perm_b32 v17, v41, v37, v17
	v_ashrrev_i32_e32 v41, 4, v13
	v_ashrrev_i32_e32 v37, 4, v14
	v_lshrrev_b32_e32 v18, 1, v18
	v_perm_b32 v35, v42, v40, v35
	v_perm_b32 v38, s5, 0xfdfeff00, v34
	v_and_b32_e32 v44, 0x7070707, v41
	v_lshrrev_b32_e32 v41, 1, v41
	v_and_b32_e32 v40, 0x7070707, v37
	v_lshrrev_b32_e32 v37, 1, v37
	v_perm_b32 v34, s6, 0x3020100, v34
	v_perm_b32 v46, s5, 0xfdfeff00, v44
	;; [unrolled: 1-line block ×3, first 2 shown]
	v_and_or_b32 v41, v41, s8, 0x3020100
	v_and_or_b32 v18, v18, s8, 0x3020100
	v_dot4_i32_iu8 v17, v17, v1, 0 neg_lo:[1,1,0]
	v_and_b32_e32 v42, 0x7070707, v13
	v_lshrrev_b32_e32 v13, 1, v13
	v_perm_b32 v41, v46, v44, v41
	v_perm_b32 v44, s5, 0xfdfeff00, v40
	;; [unrolled: 1-line block ×3, first 2 shown]
	v_and_or_b32 v37, v37, s8, 0x3020100
	v_and_b32_e32 v43, 0x7070707, v14
	v_perm_b32 v45, s5, 0xfdfeff00, v42
	v_perm_b32 v42, s6, 0x3020100, v42
	v_and_or_b32 v13, v13, s8, 0x3020100
	v_lshrrev_b32_e32 v14, 1, v14
	v_perm_b32 v18, v38, v34, v18
	v_dot4_i32_iu8 v17, v35, v3, v17 neg_lo:[1,1,0]
	v_perm_b32 v35, v44, v40, v37
	s_wait_loadcnt 0x0
	v_ashrrev_i32_e32 v37, 4, v19
	v_and_b32_e32 v38, 0x7070707, v19
	v_lshrrev_b32_e32 v19, 1, v19
	v_perm_b32 v13, v45, v42, v13
	v_perm_b32 v42, s5, 0xfdfeff00, v43
	;; [unrolled: 1-line block ×3, first 2 shown]
	v_and_or_b32 v14, v14, s8, 0x3020100
	v_perm_b32 v40, s5, 0xfdfeff00, v38
	v_perm_b32 v38, s6, 0x3020100, v38
	v_and_or_b32 v19, v19, s8, 0x3020100
	v_and_b32_e32 v36, 0x7070707, v22
	v_lshrrev_b32_e32 v22, 1, v22
	v_perm_b32 v14, v42, v43, v14
	v_and_b32_e32 v43, 0x7070707, v15
	v_perm_b32 v19, v40, v38, v19
	v_ashrrev_i32_e32 v40, 4, v15
	v_lshrrev_b32_e32 v15, 1, v15
	v_perm_b32 v39, s5, 0xfdfeff00, v36
	v_perm_b32 v36, s6, 0x3020100, v36
	v_and_or_b32 v22, v22, s8, 0x3020100
	v_dot4_i32_iu8 v13, v13, v5, 0 neg_lo:[1,1,0]
	v_and_b32_e32 v45, 0x7070707, v40
	v_lshrrev_b32_e32 v40, 1, v40
	v_perm_b32 v46, s5, 0xfdfeff00, v43
	v_perm_b32 v43, s6, 0x3020100, v43
	v_and_or_b32 v15, v15, s8, 0x3020100
	v_dot4_i32_iu8 v13, v41, v7, v13 neg_lo:[1,1,0]
	v_perm_b32 v22, v39, v36, v22
	v_and_b32_e32 v39, 0x7070707, v37
	v_lshrrev_b32_e32 v37, 1, v37
	v_ashrrev_i32_e32 v41, 4, v16
	v_and_b32_e32 v44, 0x7070707, v16
	v_lshrrev_b32_e32 v16, 1, v16
	v_perm_b32 v47, s5, 0xfdfeff00, v45
	v_perm_b32 v45, s6, 0x3020100, v45
	v_and_or_b32 v40, v40, s8, 0x3020100
	v_perm_b32 v15, v46, v43, v15
	v_ashrrev_i32_e32 v34, 4, v20
	v_dot4_i32_iu8 v17, v18, v2, v17 neg_lo:[1,1,0]
	v_and_b32_e32 v18, 0x7070707, v20
	v_lshrrev_b32_e32 v20, 1, v20
	v_perm_b32 v42, s5, 0xfdfeff00, v39
	v_perm_b32 v39, s6, 0x3020100, v39
	v_and_or_b32 v37, v37, s8, 0x3020100
	v_and_b32_e32 v38, 0x7070707, v41
	v_lshrrev_b32_e32 v41, 1, v41
	v_perm_b32 v43, s5, 0xfdfeff00, v44
	v_perm_b32 v44, s6, 0x3020100, v44
	v_and_or_b32 v16, v16, s8, 0x3020100
	v_perm_b32 v40, v47, v45, v40
	v_dot4_i32_iu8 v5, v15, v5, 0 neg_lo:[1,1,0]
	v_dot4_i32_iu8 v13, v14, v6, v13 neg_lo:[1,1,0]
	v_and_b32_e32 v14, 0x7070707, v34
	v_lshrrev_b32_e32 v34, 1, v34
	v_perm_b32 v36, s5, 0xfdfeff00, v18
	v_perm_b32 v18, s6, 0x3020100, v18
	v_and_or_b32 v20, v20, s8, 0x3020100
	v_perm_b32 v15, s5, 0xfdfeff00, v38
	v_perm_b32 v38, s6, 0x3020100, v38
	v_and_or_b32 v41, v41, s8, 0x3020100
	v_perm_b32 v16, v43, v44, v16
	v_dot4_i32_iu8 v5, v40, v7, v5 neg_lo:[1,1,0]
	v_perm_b32 v7, v42, v39, v37
	v_dot4_i32_iu8 v1, v19, v1, 0 neg_lo:[1,1,0]
	v_dot4_i32_iu8 v13, v35, v0, v13 neg_lo:[1,1,0]
	v_perm_b32 v35, s5, 0xfdfeff00, v14
	v_perm_b32 v14, s6, 0x3020100, v14
	v_and_or_b32 v19, v34, s8, 0x3020100
	v_perm_b32 v15, v15, v38, v41
	v_dot4_i32_iu8 v5, v16, v6, v5 neg_lo:[1,1,0]
	v_perm_b32 v6, v36, v18, v20
	v_dot4_i32_iu8 v1, v7, v3, v1 neg_lo:[1,1,0]
	v_mul_f32_e32 v3, v31, v4
	v_cvt_f32_i32_e32 v7, v13
	v_dot4_i32_iu8 v0, v15, v0, v5 neg_lo:[1,1,0]
	v_perm_b32 v5, v35, v14, v19
	v_dot4_i32_iu8 v1, v6, v2, v1 neg_lo:[1,1,0]
	v_mul_f32_e32 v6, v33, v4
	v_dot4_i32_iu8 v2, v22, v30, v17 neg_lo:[1,1,0]
	v_cvt_f32_i32_e32 v0, v0
	v_fma_f32 v3, v3, v7, 0
	v_dot4_i32_iu8 v1, v5, v30, v1 neg_lo:[1,1,0]
	v_mul_f32_e32 v5, v32, v4
	v_mul_f32_e32 v4, v21, v4
	v_fma_f32 v0, v6, v0, 0
	v_cvt_f32_i32_e32 v2, v2
	v_cvt_f32_i32_e32 v1, v1
	v_add_co_u32 v11, s0, 0x480, v11
	s_wait_alu 0xf1ff
	v_add_co_ci_u32_e64 v12, null, 0, v12, s0
	s_delay_alu instid0(VALU_DEP_3) | instskip(SKIP_1) | instid1(VALU_DEP_2)
	v_fmac_f32_e32 v0, v4, v1
	v_add_nc_u32_e32 v25, 16, v25
	v_dual_fmac_f32 v3, v5, v2 :: v_dual_add_f32 v26, v26, v0
	s_delay_alu instid0(VALU_DEP_2) | instskip(NEXT) | instid1(VALU_DEP_2)
	v_cmp_le_u32_e32 vcc_lo, s3, v25
	v_add_f32_e32 v8, v8, v3
	s_or_b32 s1, vcc_lo, s1
	s_wait_alu 0xfffe
	s_and_not1_b32 exec_lo, exec_lo, s1
	s_cbranch_execz .LBB84_28
.LBB84_4:                               ; =>This Inner Loop Header: Depth=1
	v_add_nc_u32_e32 v0, v9, v25
	s_mov_b32 s0, 0
	s_mov_b32 s9, exec_lo
	s_delay_alu instid0(VALU_DEP_1) | instskip(NEXT) | instid1(VALU_DEP_1)
	v_mad_co_i64_i32 v[15:16], null, v0, 36, s[12:13]
	v_add_co_u32 v0, vcc_lo, v15, v27
	s_wait_alu 0xfffd
	s_delay_alu instid0(VALU_DEP_2)
	v_add_co_ci_u32_e64 v1, null, 0, v16, vcc_lo
	v_add_co_u32 v17, vcc_lo, v15, v29
	s_wait_alu 0xfffd
	v_add_co_ci_u32_e64 v18, null, 0, v16, vcc_lo
	s_clause 0x1
	global_load_u8 v19, v[0:1], off
	global_load_b64 v[13:14], v[17:18], off offset:4
	s_clause 0x2
	global_load_b32 v30, v[11:12], off offset:16
	global_load_b128 v[0:3], v[11:12], off
	global_load_b128 v[4:7], v[11:12], off offset:-16
	s_wait_loadcnt 0x4
	v_cmpx_lt_i16_e32 0x7e, v19
	s_wait_alu 0xfffe
	s_xor_b32 s9, exec_lo, s9
	s_cbranch_execnz .LBB84_19
; %bb.5:                                ;   in Loop: Header=BB84_4 Depth=1
	s_wait_alu 0xfffe
	s_and_not1_saveexec_b32 s9, s9
	s_cbranch_execnz .LBB84_20
.LBB84_6:                               ;   in Loop: Header=BB84_4 Depth=1
	s_wait_alu 0xfffe
	s_or_b32 exec_lo, exec_lo, s9
	v_mov_b32_e32 v31, 0
	s_and_saveexec_b32 s9, s0
	s_cbranch_execz .LBB84_8
.LBB84_7:                               ;   in Loop: Header=BB84_4 Depth=1
	v_and_b32_e32 v19, 0xffff, v19
	s_delay_alu instid0(VALU_DEP_1) | instskip(SKIP_1) | instid1(VALU_DEP_2)
	v_and_b32_e32 v20, 7, v19
	v_bfe_u32 v19, v19, 3, 4
	v_cvt_f32_ubyte0_e32 v20, v20
	s_delay_alu instid0(VALU_DEP_2) | instskip(SKIP_1) | instid1(VALU_DEP_3)
	v_add_nc_u32_e32 v21, -7, v19
	v_cmp_eq_u32_e32 vcc_lo, 0, v19
	v_fma_f32 v22, 0x3e000000, v20, 1.0
	s_wait_alu 0xfffd
	s_delay_alu instid0(VALU_DEP_1) | instskip(SKIP_1) | instid1(VALU_DEP_1)
	v_cndmask_b32_e32 v19, v22, v20, vcc_lo
	v_cndmask_b32_e64 v20, v21, -9, vcc_lo
	v_ldexp_f32 v19, v19, v20
	s_delay_alu instid0(VALU_DEP_1)
	v_mul_f32_e32 v31, 0.5, v19
.LBB84_8:                               ;   in Loop: Header=BB84_4 Depth=1
	s_wait_alu 0xfffe
	s_or_b32 exec_lo, exec_lo, s9
	v_add_co_u32 v15, vcc_lo, v15, v28
	s_wait_alu 0xfffd
	v_add_co_ci_u32_e64 v16, null, 0, v16, vcc_lo
	s_mov_b32 s0, 0
	s_mov_b32 s9, exec_lo
	s_clause 0x1
	global_load_u8 v15, v[15:16], off
	global_load_b64 v[17:18], v[17:18], off offset:12
	s_wait_loadcnt 0x1
	v_cmpx_lt_i16_e32 0x7e, v15
	s_wait_alu 0xfffe
	s_xor_b32 s9, exec_lo, s9
	s_cbranch_execnz .LBB84_21
; %bb.9:                                ;   in Loop: Header=BB84_4 Depth=1
	s_wait_alu 0xfffe
	s_and_not1_saveexec_b32 s9, s9
	s_cbranch_execnz .LBB84_22
.LBB84_10:                              ;   in Loop: Header=BB84_4 Depth=1
	s_wait_alu 0xfffe
	s_or_b32 exec_lo, exec_lo, s9
	v_mov_b32_e32 v32, 0
	s_and_saveexec_b32 s9, s0
	s_cbranch_execz .LBB84_12
.LBB84_11:                              ;   in Loop: Header=BB84_4 Depth=1
	v_and_b32_e32 v15, 0xffff, v15
	s_delay_alu instid0(VALU_DEP_1) | instskip(SKIP_1) | instid1(VALU_DEP_2)
	v_and_b32_e32 v16, 7, v15
	v_bfe_u32 v15, v15, 3, 4
	v_cvt_f32_ubyte0_e32 v16, v16
	s_delay_alu instid0(VALU_DEP_2) | instskip(SKIP_1) | instid1(VALU_DEP_3)
	v_add_nc_u32_e32 v19, -7, v15
	v_cmp_eq_u32_e32 vcc_lo, 0, v15
	v_fma_f32 v20, 0x3e000000, v16, 1.0
	s_wait_alu 0xfffd
	s_delay_alu instid0(VALU_DEP_1) | instskip(SKIP_1) | instid1(VALU_DEP_1)
	v_cndmask_b32_e32 v15, v20, v16, vcc_lo
	v_cndmask_b32_e64 v16, v19, -9, vcc_lo
	v_ldexp_f32 v15, v15, v16
	s_delay_alu instid0(VALU_DEP_1)
	v_mul_f32_e32 v32, 0.5, v15
.LBB84_12:                              ;   in Loop: Header=BB84_4 Depth=1
	s_wait_alu 0xfffe
	s_or_b32 exec_lo, exec_lo, s9
	v_add_nc_u32_e32 v15, v10, v25
	s_mov_b32 s0, 0
	s_mov_b32 s9, exec_lo
	s_delay_alu instid0(VALU_DEP_1) | instskip(NEXT) | instid1(VALU_DEP_1)
	v_mad_co_i64_i32 v[19:20], null, v15, 36, s[12:13]
	v_add_co_u32 v15, vcc_lo, v19, v27
	s_wait_alu 0xfffd
	s_delay_alu instid0(VALU_DEP_2)
	v_add_co_ci_u32_e64 v16, null, 0, v20, vcc_lo
	v_add_co_u32 v21, vcc_lo, v19, v29
	s_wait_alu 0xfffd
	v_add_co_ci_u32_e64 v22, null, 0, v20, vcc_lo
	s_clause 0x1
	global_load_u8 v34, v[15:16], off
	global_load_b64 v[15:16], v[21:22], off offset:4
	s_wait_loadcnt 0x1
	v_cmpx_lt_i16_e32 0x7e, v34
	s_wait_alu 0xfffe
	s_xor_b32 s9, exec_lo, s9
	s_cbranch_execnz .LBB84_23
; %bb.13:                               ;   in Loop: Header=BB84_4 Depth=1
	s_wait_alu 0xfffe
	s_and_not1_saveexec_b32 s9, s9
	s_cbranch_execnz .LBB84_24
.LBB84_14:                              ;   in Loop: Header=BB84_4 Depth=1
	s_wait_alu 0xfffe
	s_or_b32 exec_lo, exec_lo, s9
	v_mov_b32_e32 v33, 0
	s_and_saveexec_b32 s9, s0
	s_cbranch_execz .LBB84_16
.LBB84_15:                              ;   in Loop: Header=BB84_4 Depth=1
	v_and_b32_e32 v33, 0xffff, v34
	s_delay_alu instid0(VALU_DEP_1) | instskip(SKIP_1) | instid1(VALU_DEP_2)
	v_and_b32_e32 v34, 7, v33
	v_bfe_u32 v33, v33, 3, 4
	v_cvt_f32_ubyte0_e32 v34, v34
	s_delay_alu instid0(VALU_DEP_2) | instskip(SKIP_1) | instid1(VALU_DEP_3)
	v_add_nc_u32_e32 v35, -7, v33
	v_cmp_eq_u32_e32 vcc_lo, 0, v33
	v_fma_f32 v36, 0x3e000000, v34, 1.0
	s_wait_alu 0xfffd
	s_delay_alu instid0(VALU_DEP_1) | instskip(SKIP_1) | instid1(VALU_DEP_1)
	v_cndmask_b32_e32 v33, v36, v34, vcc_lo
	v_cndmask_b32_e64 v34, v35, -9, vcc_lo
	v_ldexp_f32 v33, v33, v34
	s_delay_alu instid0(VALU_DEP_1)
	v_mul_f32_e32 v33, 0.5, v33
.LBB84_16:                              ;   in Loop: Header=BB84_4 Depth=1
	s_wait_alu 0xfffe
	s_or_b32 exec_lo, exec_lo, s9
	v_add_co_u32 v19, vcc_lo, v19, v28
	s_wait_alu 0xfffd
	v_add_co_ci_u32_e64 v20, null, 0, v20, vcc_lo
	s_mov_b32 s0, 0
	s_mov_b32 s9, exec_lo
	s_clause 0x1
	global_load_u8 v34, v[19:20], off
	global_load_b64 v[19:20], v[21:22], off offset:12
	s_wait_loadcnt 0x1
	v_cmpx_lt_i16_e32 0x7e, v34
	s_wait_alu 0xfffe
	s_xor_b32 s9, exec_lo, s9
	s_cbranch_execnz .LBB84_25
; %bb.17:                               ;   in Loop: Header=BB84_4 Depth=1
	s_wait_alu 0xfffe
	s_and_not1_saveexec_b32 s9, s9
	s_cbranch_execnz .LBB84_26
.LBB84_18:                              ;   in Loop: Header=BB84_4 Depth=1
	s_wait_alu 0xfffe
	s_or_b32 exec_lo, exec_lo, s9
	v_mov_b32_e32 v21, 0
	s_and_saveexec_b32 s9, s0
	s_cbranch_execz .LBB84_3
	s_branch .LBB84_27
.LBB84_19:                              ;   in Loop: Header=BB84_4 Depth=1
	v_cmp_ne_u16_e32 vcc_lo, 0x7f, v19
	s_and_b32 s0, vcc_lo, exec_lo
	s_wait_alu 0xfffe
	s_and_not1_saveexec_b32 s9, s9
	s_cbranch_execz .LBB84_6
.LBB84_20:                              ;   in Loop: Header=BB84_4 Depth=1
	v_cmp_ne_u16_e32 vcc_lo, 0, v19
	s_and_not1_b32 s0, s0, exec_lo
	s_and_b32 s14, vcc_lo, exec_lo
	s_wait_alu 0xfffe
	s_or_b32 s0, s0, s14
	s_or_b32 exec_lo, exec_lo, s9
	v_mov_b32_e32 v31, 0
	s_wait_alu 0xfffe
	s_and_saveexec_b32 s9, s0
	s_cbranch_execnz .LBB84_7
	s_branch .LBB84_8
.LBB84_21:                              ;   in Loop: Header=BB84_4 Depth=1
	v_cmp_ne_u16_e32 vcc_lo, 0x7f, v15
	s_and_b32 s0, vcc_lo, exec_lo
	s_wait_alu 0xfffe
	s_and_not1_saveexec_b32 s9, s9
	s_cbranch_execz .LBB84_10
.LBB84_22:                              ;   in Loop: Header=BB84_4 Depth=1
	v_cmp_ne_u16_e32 vcc_lo, 0, v15
	s_and_not1_b32 s0, s0, exec_lo
	s_and_b32 s14, vcc_lo, exec_lo
	s_wait_alu 0xfffe
	s_or_b32 s0, s0, s14
	s_or_b32 exec_lo, exec_lo, s9
	v_mov_b32_e32 v32, 0
	s_wait_alu 0xfffe
	s_and_saveexec_b32 s9, s0
	s_cbranch_execnz .LBB84_11
	s_branch .LBB84_12
.LBB84_23:                              ;   in Loop: Header=BB84_4 Depth=1
	v_cmp_ne_u16_e32 vcc_lo, 0x7f, v34
	s_and_b32 s0, vcc_lo, exec_lo
	s_wait_alu 0xfffe
	s_and_not1_saveexec_b32 s9, s9
	s_cbranch_execz .LBB84_14
.LBB84_24:                              ;   in Loop: Header=BB84_4 Depth=1
	v_cmp_ne_u16_e32 vcc_lo, 0, v34
	s_and_not1_b32 s0, s0, exec_lo
	s_and_b32 s14, vcc_lo, exec_lo
	s_wait_alu 0xfffe
	s_or_b32 s0, s0, s14
	s_or_b32 exec_lo, exec_lo, s9
	v_mov_b32_e32 v33, 0
	s_wait_alu 0xfffe
	s_and_saveexec_b32 s9, s0
	s_cbranch_execnz .LBB84_15
	s_branch .LBB84_16
.LBB84_25:                              ;   in Loop: Header=BB84_4 Depth=1
	v_cmp_ne_u16_e32 vcc_lo, 0x7f, v34
	s_and_b32 s0, vcc_lo, exec_lo
	s_wait_alu 0xfffe
	s_and_not1_saveexec_b32 s9, s9
	s_cbranch_execz .LBB84_18
.LBB84_26:                              ;   in Loop: Header=BB84_4 Depth=1
	v_cmp_ne_u16_e32 vcc_lo, 0, v34
	s_and_not1_b32 s0, s0, exec_lo
	s_and_b32 s14, vcc_lo, exec_lo
	s_wait_alu 0xfffe
	s_or_b32 s0, s0, s14
	s_or_b32 exec_lo, exec_lo, s9
	v_mov_b32_e32 v21, 0
	s_wait_alu 0xfffe
	s_and_saveexec_b32 s9, s0
	s_cbranch_execz .LBB84_3
.LBB84_27:                              ;   in Loop: Header=BB84_4 Depth=1
	v_and_b32_e32 v21, 0xffff, v34
	s_delay_alu instid0(VALU_DEP_1) | instskip(SKIP_1) | instid1(VALU_DEP_2)
	v_and_b32_e32 v22, 7, v21
	v_bfe_u32 v21, v21, 3, 4
	v_cvt_f32_ubyte0_e32 v22, v22
	s_delay_alu instid0(VALU_DEP_2) | instskip(NEXT) | instid1(VALU_DEP_2)
	v_cmp_eq_u32_e32 vcc_lo, 0, v21
	v_fma_f32 v35, 0x3e000000, v22, 1.0
	s_wait_alu 0xfffd
	s_delay_alu instid0(VALU_DEP_1) | instskip(NEXT) | instid1(VALU_DEP_1)
	v_dual_cndmask_b32 v21, v35, v22 :: v_dual_add_nc_u32 v34, -7, v21
	v_cndmask_b32_e64 v22, v34, -9, vcc_lo
	s_delay_alu instid0(VALU_DEP_1) | instskip(NEXT) | instid1(VALU_DEP_1)
	v_ldexp_f32 v21, v21, v22
	v_mul_f32_e32 v21, 0.5, v21
	s_branch .LBB84_3
.LBB84_28:
	s_or_b32 exec_lo, exec_lo, s1
.LBB84_29:
	s_wait_alu 0xfffe
	s_or_b32 exec_lo, exec_lo, s11
	v_mbcnt_lo_u32_b32 v0, -1, 0
	s_delay_alu instid0(VALU_DEP_1) | instskip(SKIP_2) | instid1(VALU_DEP_3)
	v_xor_b32_e32 v1, 16, v0
	v_xor_b32_e32 v3, 8, v0
	;; [unrolled: 1-line block ×3, first 2 shown]
	v_cmp_gt_i32_e32 vcc_lo, 32, v1
	s_wait_alu 0xfffd
	v_cndmask_b32_e32 v1, v0, v1, vcc_lo
	v_cmp_gt_i32_e32 vcc_lo, 32, v3
	s_delay_alu instid0(VALU_DEP_2)
	v_lshlrev_b32_e32 v1, 2, v1
	s_wait_alu 0xfffd
	v_cndmask_b32_e32 v3, v0, v3, vcc_lo
	v_cmp_gt_i32_e32 vcc_lo, 32, v5
	ds_bpermute_b32 v2, v1, v8
	s_wait_dscnt 0x0
	v_dual_add_f32 v2, v8, v2 :: v_dual_lshlrev_b32 v3, 2, v3
	ds_bpermute_b32 v1, v1, v26
	ds_bpermute_b32 v4, v3, v2
	s_wait_dscnt 0x1
	v_add_f32_e32 v1, v26, v1
	s_wait_dscnt 0x0
	v_add_f32_e32 v2, v2, v4
	ds_bpermute_b32 v3, v3, v1
	s_wait_alu 0xfffd
	v_cndmask_b32_e32 v5, v0, v5, vcc_lo
	s_delay_alu instid0(VALU_DEP_1)
	v_lshlrev_b32_e32 v5, 2, v5
	s_wait_dscnt 0x0
	v_add_f32_e32 v1, v1, v3
	ds_bpermute_b32 v3, v5, v2
	ds_bpermute_b32 v4, v5, v1
	v_xor_b32_e32 v5, 2, v0
	s_delay_alu instid0(VALU_DEP_1) | instskip(SKIP_3) | instid1(VALU_DEP_1)
	v_cmp_gt_i32_e32 vcc_lo, 32, v5
	s_wait_alu 0xfffd
	v_cndmask_b32_e32 v5, v0, v5, vcc_lo
	s_wait_dscnt 0x1
	v_dual_add_f32 v2, v2, v3 :: v_dual_lshlrev_b32 v5, 2, v5
	s_wait_dscnt 0x0
	v_add_f32_e32 v1, v1, v4
	ds_bpermute_b32 v3, v5, v2
	ds_bpermute_b32 v4, v5, v1
	v_xor_b32_e32 v5, 1, v0
	s_delay_alu instid0(VALU_DEP_1) | instskip(SKIP_4) | instid1(VALU_DEP_2)
	v_cmp_gt_i32_e32 vcc_lo, 32, v5
	s_wait_alu 0xfffd
	v_cndmask_b32_e32 v0, v0, v5, vcc_lo
	v_cmp_gt_u32_e32 vcc_lo, 2, v24
	s_wait_dscnt 0x1
	v_dual_add_f32 v0, v2, v3 :: v_dual_lshlrev_b32 v5, 2, v0
	s_wait_dscnt 0x0
	v_add_f32_e32 v1, v1, v4
	v_add_nc_u32_e32 v4, s2, v24
	ds_bpermute_b32 v2, v5, v0
	ds_bpermute_b32 v3, v5, v1
	v_cmp_gt_u32_e64 s0, s4, v4
	s_and_b32 s0, vcc_lo, s0
	s_wait_alu 0xfffe
	s_and_b32 exec_lo, exec_lo, s0
	s_cbranch_execz .LBB84_31
; %bb.30:
	v_mul_lo_u32 v4, s7, v23
	v_or_b32_e32 v6, s2, v24
	s_mul_i32 s0, s10, ttmp7
	s_wait_dscnt 0x1
	v_dual_mov_b32 v5, 0 :: v_dual_add_f32 v2, v0, v2
	s_wait_dscnt 0x0
	v_add_f32_e32 v3, v1, v3
	v_cmp_eq_u32_e32 vcc_lo, 1, v24
	s_wait_alu 0xfffe
	v_add3_u32 v4, v6, v4, s0
	s_wait_alu 0xfffd
	v_cndmask_b32_e32 v2, v2, v3, vcc_lo
	s_delay_alu instid0(VALU_DEP_2) | instskip(NEXT) | instid1(VALU_DEP_1)
	v_lshlrev_b64_e32 v[0:1], 2, v[4:5]
	v_add_co_u32 v0, vcc_lo, s18, v0
	s_wait_alu 0xfffd
	s_delay_alu instid0(VALU_DEP_2)
	v_add_co_ci_u32_e64 v1, null, s19, v1, vcc_lo
	global_store_b32 v[0:1], v2, off
.LBB84_31:
	s_endpgm
	.section	.rodata,"a",@progbits
	.p2align	6, 0x0
	.amdhsa_kernel _ZL17mul_mat_vec_q_moeIL9ggml_type40ELi2EEvPKvS2_PKiPfj15HIP_vector_typeIjLj3EEjjjjjjjjj
		.amdhsa_group_segment_fixed_size 0
		.amdhsa_private_segment_fixed_size 0
		.amdhsa_kernarg_size 84
		.amdhsa_user_sgpr_count 2
		.amdhsa_user_sgpr_dispatch_ptr 0
		.amdhsa_user_sgpr_queue_ptr 0
		.amdhsa_user_sgpr_kernarg_segment_ptr 1
		.amdhsa_user_sgpr_dispatch_id 0
		.amdhsa_user_sgpr_private_segment_size 0
		.amdhsa_wavefront_size32 1
		.amdhsa_uses_dynamic_stack 0
		.amdhsa_enable_private_segment 0
		.amdhsa_system_sgpr_workgroup_id_x 1
		.amdhsa_system_sgpr_workgroup_id_y 1
		.amdhsa_system_sgpr_workgroup_id_z 0
		.amdhsa_system_sgpr_workgroup_info 0
		.amdhsa_system_vgpr_workitem_id 1
		.amdhsa_next_free_vgpr 48
		.amdhsa_next_free_sgpr 24
		.amdhsa_reserve_vcc 1
		.amdhsa_float_round_mode_32 0
		.amdhsa_float_round_mode_16_64 0
		.amdhsa_float_denorm_mode_32 3
		.amdhsa_float_denorm_mode_16_64 3
		.amdhsa_fp16_overflow 0
		.amdhsa_workgroup_processor_mode 1
		.amdhsa_memory_ordered 1
		.amdhsa_forward_progress 1
		.amdhsa_inst_pref_size 26
		.amdhsa_round_robin_scheduling 0
		.amdhsa_exception_fp_ieee_invalid_op 0
		.amdhsa_exception_fp_denorm_src 0
		.amdhsa_exception_fp_ieee_div_zero 0
		.amdhsa_exception_fp_ieee_overflow 0
		.amdhsa_exception_fp_ieee_underflow 0
		.amdhsa_exception_fp_ieee_inexact 0
		.amdhsa_exception_int_div_zero 0
	.end_amdhsa_kernel
	.section	.text._ZL17mul_mat_vec_q_moeIL9ggml_type40ELi2EEvPKvS2_PKiPfj15HIP_vector_typeIjLj3EEjjjjjjjjj,"axG",@progbits,_ZL17mul_mat_vec_q_moeIL9ggml_type40ELi2EEvPKvS2_PKiPfj15HIP_vector_typeIjLj3EEjjjjjjjjj,comdat
.Lfunc_end84:
	.size	_ZL17mul_mat_vec_q_moeIL9ggml_type40ELi2EEvPKvS2_PKiPfj15HIP_vector_typeIjLj3EEjjjjjjjjj, .Lfunc_end84-_ZL17mul_mat_vec_q_moeIL9ggml_type40ELi2EEvPKvS2_PKiPfj15HIP_vector_typeIjLj3EEjjjjjjjjj
                                        ; -- End function
	.set _ZL17mul_mat_vec_q_moeIL9ggml_type40ELi2EEvPKvS2_PKiPfj15HIP_vector_typeIjLj3EEjjjjjjjjj.num_vgpr, 48
	.set _ZL17mul_mat_vec_q_moeIL9ggml_type40ELi2EEvPKvS2_PKiPfj15HIP_vector_typeIjLj3EEjjjjjjjjj.num_agpr, 0
	.set _ZL17mul_mat_vec_q_moeIL9ggml_type40ELi2EEvPKvS2_PKiPfj15HIP_vector_typeIjLj3EEjjjjjjjjj.numbered_sgpr, 24
	.set _ZL17mul_mat_vec_q_moeIL9ggml_type40ELi2EEvPKvS2_PKiPfj15HIP_vector_typeIjLj3EEjjjjjjjjj.num_named_barrier, 0
	.set _ZL17mul_mat_vec_q_moeIL9ggml_type40ELi2EEvPKvS2_PKiPfj15HIP_vector_typeIjLj3EEjjjjjjjjj.private_seg_size, 0
	.set _ZL17mul_mat_vec_q_moeIL9ggml_type40ELi2EEvPKvS2_PKiPfj15HIP_vector_typeIjLj3EEjjjjjjjjj.uses_vcc, 1
	.set _ZL17mul_mat_vec_q_moeIL9ggml_type40ELi2EEvPKvS2_PKiPfj15HIP_vector_typeIjLj3EEjjjjjjjjj.uses_flat_scratch, 0
	.set _ZL17mul_mat_vec_q_moeIL9ggml_type40ELi2EEvPKvS2_PKiPfj15HIP_vector_typeIjLj3EEjjjjjjjjj.has_dyn_sized_stack, 0
	.set _ZL17mul_mat_vec_q_moeIL9ggml_type40ELi2EEvPKvS2_PKiPfj15HIP_vector_typeIjLj3EEjjjjjjjjj.has_recursion, 0
	.set _ZL17mul_mat_vec_q_moeIL9ggml_type40ELi2EEvPKvS2_PKiPfj15HIP_vector_typeIjLj3EEjjjjjjjjj.has_indirect_call, 0
	.section	.AMDGPU.csdata,"",@progbits
; Kernel info:
; codeLenInByte = 3256
; TotalNumSgprs: 26
; NumVgprs: 48
; ScratchSize: 0
; MemoryBound: 0
; FloatMode: 240
; IeeeMode: 1
; LDSByteSize: 0 bytes/workgroup (compile time only)
; SGPRBlocks: 0
; VGPRBlocks: 5
; NumSGPRsForWavesPerEU: 26
; NumVGPRsForWavesPerEU: 48
; Occupancy: 16
; WaveLimiterHint : 1
; COMPUTE_PGM_RSRC2:SCRATCH_EN: 0
; COMPUTE_PGM_RSRC2:USER_SGPR: 2
; COMPUTE_PGM_RSRC2:TRAP_HANDLER: 0
; COMPUTE_PGM_RSRC2:TGID_X_EN: 1
; COMPUTE_PGM_RSRC2:TGID_Y_EN: 1
; COMPUTE_PGM_RSRC2:TGID_Z_EN: 0
; COMPUTE_PGM_RSRC2:TIDIG_COMP_CNT: 1
	.section	.text._ZL13mul_mat_vec_qIL9ggml_type40ELi1ELb1ELb1EEvPKvS2_PKi31ggml_cuda_mm_fusion_args_devicePfj15HIP_vector_typeIjLj3EEjjjS8_jjjS8_jjjj,"axG",@progbits,_ZL13mul_mat_vec_qIL9ggml_type40ELi1ELb1ELb1EEvPKvS2_PKi31ggml_cuda_mm_fusion_args_devicePfj15HIP_vector_typeIjLj3EEjjjS8_jjjS8_jjjj,comdat
	.globl	_ZL13mul_mat_vec_qIL9ggml_type40ELi1ELb1ELb1EEvPKvS2_PKi31ggml_cuda_mm_fusion_args_devicePfj15HIP_vector_typeIjLj3EEjjjS8_jjjS8_jjjj ; -- Begin function _ZL13mul_mat_vec_qIL9ggml_type40ELi1ELb1ELb1EEvPKvS2_PKi31ggml_cuda_mm_fusion_args_devicePfj15HIP_vector_typeIjLj3EEjjjS8_jjjS8_jjjj
	.p2align	8
	.type	_ZL13mul_mat_vec_qIL9ggml_type40ELi1ELb1ELb1EEvPKvS2_PKi31ggml_cuda_mm_fusion_args_devicePfj15HIP_vector_typeIjLj3EEjjjS8_jjjS8_jjjj,@function
_ZL13mul_mat_vec_qIL9ggml_type40ELi1ELb1ELb1EEvPKvS2_PKi31ggml_cuda_mm_fusion_args_devicePfj15HIP_vector_typeIjLj3EEjjjS8_jjjS8_jjjj: ; @_ZL13mul_mat_vec_qIL9ggml_type40ELi1ELb1ELb1EEvPKvS2_PKi31ggml_cuda_mm_fusion_args_devicePfj15HIP_vector_typeIjLj3EEjjjS8_jjjS8_jjjj
; %bb.0:
	s_clause 0x3
	s_load_b256 s[8:15], s[0:1], 0x0
	s_load_b128 s[16:19], s[0:1], 0x20
	s_load_b128 s[20:23], s[0:1], 0x40
	;; [unrolled: 1-line block ×3, first 2 shown]
	s_and_b32 s27, ttmp7, 0xffff
	s_wait_kmcnt 0x0
	s_cmp_lg_u64 s[12:13], 0
	s_cselect_b32 s2, -1, 0
	s_cmp_eq_u64 s[12:13], 0
	s_cbranch_scc1 .LBB85_48
; %bb.1:
	s_lshl_b32 s3, s27, 2
	s_load_b32 s28, s[12:13], s3 offset:0x0
	s_clause 0x1
	s_load_b32 s30, s[0:1], 0x50
	s_load_b32 s29, s[0:1], 0x78
	s_cbranch_execnz .LBB85_3
.LBB85_2:
	s_load_b64 s[12:13], s[0:1], 0x5c
	s_wait_kmcnt 0x0
	s_mul_hi_u32 s3, s12, s27
	s_delay_alu instid0(SALU_CYCLE_1) | instskip(NEXT) | instid1(SALU_CYCLE_1)
	s_add_co_i32 s3, s27, s3
	s_lshr_b32 s28, s3, s13
.LBB85_3:
	s_and_not1_b32 vcc_lo, exec_lo, s2
	s_mov_b32 s3, s27
	s_mov_b32 s31, s27
	s_cbranch_vccnz .LBB85_5
; %bb.4:
	s_mul_hi_u32 s2, s21, s27
	s_wait_kmcnt 0x0
	s_mov_b32 s3, s28
	s_add_co_i32 s2, s27, s2
	s_delay_alu instid0(SALU_CYCLE_1) | instskip(NEXT) | instid1(SALU_CYCLE_1)
	s_lshr_b32 s2, s2, s22
	s_mul_i32 s2, s2, s23
	s_delay_alu instid0(SALU_CYCLE_1)
	s_sub_co_i32 s31, s27, s2
.LBB85_5:
	s_load_b96 s[24:26], s[0:1], 0x80
	v_bfe_u32 v23, v0, 10, 10
	v_dual_mov_b32 v21, 0 :: v_dual_and_b32 v20, 0x3ff, v0
	s_lshr_b32 s21, ttmp7, 16
	s_cmp_lg_u64 s[14:15], 0
	v_mov_b32_e32 v22, 0
	s_delay_alu instid0(VALU_DEP_2) | instskip(SKIP_3) | instid1(VALU_DEP_1)
	v_or_b32_e32 v0, v20, v23
	s_cselect_b32 s2, -1, 0
	s_mov_b32 s23, 0
	s_mul_i32 s12, s3, s6
	v_cmp_eq_u32_e32 vcc_lo, 0, v0
	s_and_b32 s13, s2, vcc_lo
	s_delay_alu instid0(SALU_CYCLE_1)
	s_and_saveexec_b32 s3, s13
	s_cbranch_execz .LBB85_7
; %bb.6:
	s_wait_kmcnt 0x0
	s_mul_i32 s22, s26, s21
	s_mov_b32 s13, s23
	s_lshl_b64 s[22:23], s[22:23], 2
	s_mov_b32 s34, ttmp9
	s_lshl_b64 s[36:37], s[12:13], 2
	s_add_nc_u64 s[14:15], s[14:15], s[22:23]
	s_ashr_i32 s35, ttmp9, 31
	v_lshlrev_b32_e32 v0, 2, v20
	s_add_nc_u64 s[14:15], s[14:15], s[36:37]
	s_lshl_b64 s[22:23], s[34:35], 2
	s_delay_alu instid0(SALU_CYCLE_1)
	s_add_nc_u64 s[14:15], s[14:15], s[22:23]
	global_load_b32 v22, v0, s[14:15]
.LBB85_7:
	s_or_b32 exec_lo, exec_lo, s3
	s_cmp_lg_u64 s[16:17], 0
	s_cselect_b32 s14, -1, 0
	s_cmp_lg_u64 s[18:19], 0
	s_cselect_b32 s3, -1, 0
	s_delay_alu instid0(SALU_CYCLE_1) | instskip(NEXT) | instid1(SALU_CYCLE_1)
	s_and_b32 s13, s3, s14
	s_and_b32 s13, s13, vcc_lo
	s_delay_alu instid0(SALU_CYCLE_1)
	s_and_saveexec_b32 s15, s13
	s_cbranch_execz .LBB85_9
; %bb.8:
	s_wait_kmcnt 0x0
	s_mul_i32 s34, s26, s21
	s_mov_b32 s35, 0
	s_mov_b32 s22, ttmp9
	s_lshl_b64 s[36:37], s[34:35], 2
	s_mov_b32 s13, s35
	s_add_nc_u64 s[18:19], s[18:19], s[36:37]
	s_lshl_b64 s[12:13], s[12:13], 2
	s_ashr_i32 s23, ttmp9, 31
	v_lshlrev_b32_e32 v0, 2, v20
	s_add_nc_u64 s[12:13], s[18:19], s[12:13]
	s_lshl_b64 s[18:19], s[22:23], 2
	s_delay_alu instid0(SALU_CYCLE_1)
	s_add_nc_u64 s[12:13], s[12:13], s[18:19]
	global_load_b32 v21, v0, s[12:13]
.LBB85_9:
	s_or_b32 exec_lo, exec_lo, s15
	v_dual_mov_b32 v25, 0 :: v_dual_lshlrev_b32 v0, 5, v23
	v_cndmask_b32_e64 v24, 0, 1, s14
	s_lshr_b32 s15, s20, 6
	s_mov_b32 s18, exec_lo
	s_delay_alu instid0(VALU_DEP_2) | instskip(SKIP_1) | instid1(VALU_DEP_2)
	v_add_nc_u16 v1, v0, v20
	v_mov_b32_e32 v26, 0
	v_lshrrev_b16 v1, 1, v1
	s_delay_alu instid0(VALU_DEP_1) | instskip(SKIP_1) | instid1(VALU_DEP_1)
	v_and_b32_e32 v27, 0xffff, v1
	s_wait_alu 0xfffe
	v_cmpx_gt_u32_e64 s15, v27
	s_cbranch_execz .LBB85_39
; %bb.10:
	v_dual_mov_b32 v25, 0 :: v_dual_add_nc_u32 v0, v0, v20
	s_mul_i32 s12, s31, s5
	s_mov_b32 s13, 0
	s_mul_hi_u32 s5, s7, s21
	s_delay_alu instid0(VALU_DEP_1)
	v_lshrrev_b32_e32 v0, 1, v0
	s_mul_u64 s[22:23], s[12:13], 36
	s_wait_kmcnt 0x0
	s_mul_i32 s7, s25, s21
	v_dual_mov_b32 v26, 0 :: v_dual_and_b32 v3, 1, v20
	v_mad_co_u64_u32 v[0:1], null, 0x48, v0, s[22:23]
	v_lshlrev_b32_e32 v2, 2, v20
	s_add_co_i32 s5, s21, s5
	s_mul_i32 s30, s30, ttmp9
	s_lshr_b32 s5, s5, s29
	s_mul_i32 s4, s28, s4
	v_and_b32_e32 v2, 4, v2
	s_delay_alu instid0(VALU_DEP_3)
	v_mad_co_u64_u32 v[0:1], null, s7, 36, v[0:1]
	s_mul_i32 s5, s5, s24
	s_mov_b32 s7, 0xf4f8fafc
	v_lshrrev_b32_e32 v28, 1, v2
	v_lshlrev_b32_e32 v29, 2, v2
	s_add_co_i32 s5, s5, s30
	s_delay_alu instid0(SALU_CYCLE_1) | instskip(SKIP_2) | instid1(VALU_DEP_1)
	s_add_co_i32 s5, s4, s5
	v_mad_co_u64_u32 v[0:1], null, v3, 36, v[0:1]
	v_or_b32_e32 v3, 2, v2
	v_lshrrev_b32_e32 v30, 1, v3
	s_delay_alu instid0(VALU_DEP_3) | instskip(NEXT) | instid1(VALU_DEP_1)
	v_add_co_u32 v0, vcc_lo, s10, v0
	v_add_co_ci_u32_e64 v1, null, s11, v1, vcc_lo
	s_mov_b32 s10, 0xc080604
	v_add_co_u32 v12, vcc_lo, v0, 16
	s_wait_alu 0xfffd
	v_add_co_ci_u32_e64 v13, null, 0, v1, vcc_lo
	s_mov_b32 s11, 0x4040404
	s_branch .LBB85_13
.LBB85_11:                              ;   in Loop: Header=BB85_13 Depth=1
	s_or_b32 exec_lo, exec_lo, s12
	s_wait_loadcnt 0x0
	v_ashrrev_i32_e32 v36, 4, v16
	v_and_b32_e32 v38, 0x7070707, v16
	v_lshrrev_b32_e32 v16, 1, v16
	v_and_b32_e32 v45, 0x7070707, v14
	v_ashrrev_i32_e32 v43, 4, v15
	v_and_b32_e32 v46, 0x7070707, v15
	v_perm_b32 v42, s7, 0xfdfeff00, v38
	v_perm_b32 v38, s10, 0x3020100, v38
	v_and_or_b32 v16, v16, s11, 0x3020100
	v_perm_b32 v48, s7, 0xfdfeff00, v45
	v_perm_b32 v45, s10, 0x3020100, v45
	v_lshrrev_b32_e32 v15, 1, v15
	v_and_b32_e32 v41, 0x7070707, v36
	v_perm_b32 v16, v42, v38, v16
	v_ashrrev_i32_e32 v42, 4, v14
	v_lshrrev_b32_e32 v14, 1, v14
	v_lshrrev_b32_e32 v36, 1, v36
	v_and_b32_e32 v38, 0x7070707, v43
	v_lshrrev_b32_e32 v43, 1, v43
	v_and_b32_e32 v47, 0x7070707, v42
	v_lshrrev_b32_e32 v42, 1, v42
	v_and_or_b32 v14, v14, s11, 0x3020100
	v_and_or_b32 v15, v15, s11, 0x3020100
	v_ashrrev_i32_e32 v19, 4, v17
	v_perm_b32 v49, s7, 0xfdfeff00, v47
	v_perm_b32 v47, s10, 0x3020100, v47
	v_and_or_b32 v42, v42, s11, 0x3020100
	v_perm_b32 v14, v48, v45, v14
	v_perm_b32 v45, s7, 0xfdfeff00, v46
	;; [unrolled: 1-line block ×3, first 2 shown]
	v_and_b32_e32 v35, 0x7070707, v17
	v_perm_b32 v42, v49, v47, v42
	v_dot4_i32_iu8 v14, v14, v5, 0 neg_lo:[1,1,0]
	v_lshrrev_b32_e32 v17, 1, v17
	v_perm_b32 v44, s7, 0xfdfeff00, v41
	v_perm_b32 v41, s10, 0x3020100, v41
	v_and_or_b32 v36, v36, s11, 0x3020100
	v_perm_b32 v47, s7, 0xfdfeff00, v38
	v_perm_b32 v38, s10, 0x3020100, v38
	v_and_or_b32 v43, v43, s11, 0x3020100
	v_perm_b32 v15, v45, v46, v15
	v_dot4_i32_iu8 v14, v42, v7, v14 neg_lo:[1,1,0]
	v_perm_b32 v39, s7, 0xfdfeff00, v35
	v_perm_b32 v35, s10, 0x3020100, v35
	v_and_or_b32 v17, v17, s11, 0x3020100
	v_perm_b32 v36, v44, v41, v36
	v_dot4_i32_iu8 v16, v16, v1, 0 neg_lo:[1,1,0]
	v_perm_b32 v38, v47, v38, v43
	v_dot4_i32_iu8 v14, v15, v6, v14 neg_lo:[1,1,0]
	v_perm_b32 v15, v39, v35, v17
	v_and_b32_e32 v37, 0x7070707, v19
	v_dot4_i32_iu8 v16, v36, v3, v16 neg_lo:[1,1,0]
	v_lshrrev_b32_e32 v19, 1, v19
	v_dot4_i32_iu8 v14, v38, v0, v14 neg_lo:[1,1,0]
	s_delay_alu instid0(VALU_DEP_3) | instskip(SKIP_1) | instid1(VALU_DEP_3)
	v_dot4_i32_iu8 v15, v15, v2, v16 neg_lo:[1,1,0]
	v_mul_f32_e32 v16, v34, v4
	v_cvt_f32_i32_e32 v14, v14
	v_and_or_b32 v19, v19, s11, 0x3020100
	s_delay_alu instid0(VALU_DEP_2) | instskip(SKIP_3) | instid1(VALU_DEP_1)
	v_fma_f32 v14, v16, v14, 0
	v_mul_f32_e32 v16, v18, v4
	v_perm_b32 v40, s7, 0xfdfeff00, v37
	v_perm_b32 v37, s10, 0x3020100, v37
	;; [unrolled: 1-line block ×3, first 2 shown]
	s_delay_alu instid0(VALU_DEP_1) | instskip(NEXT) | instid1(VALU_DEP_1)
	v_dot4_i32_iu8 v15, v17, v31, v15 neg_lo:[1,1,0]
	v_cvt_f32_i32_e32 v15, v15
	s_delay_alu instid0(VALU_DEP_1) | instskip(NEXT) | instid1(VALU_DEP_1)
	v_fmac_f32_e32 v14, v16, v15
	v_add_f32_e32 v25, v25, v14
.LBB85_12:                              ;   in Loop: Header=BB85_13 Depth=1
	v_ashrrev_i32_e32 v16, 4, v10
	v_and_b32_e32 v17, 0x7070707, v10
	v_lshrrev_b32_e32 v10, 1, v10
	v_ashrrev_i32_e32 v14, 4, v11
	v_and_b32_e32 v15, 0x7070707, v11
	v_and_b32_e32 v34, 0x7070707, v16
	v_lshrrev_b32_e32 v16, 1, v16
	v_perm_b32 v36, s7, 0xfdfeff00, v17
	v_perm_b32 v17, s10, 0x3020100, v17
	v_and_or_b32 v10, v10, s11, 0x3020100
	v_perm_b32 v37, s7, 0xfdfeff00, v34
	v_perm_b32 v34, s10, 0x3020100, v34
	v_and_or_b32 v16, v16, s11, 0x3020100
	v_lshrrev_b32_e32 v11, 1, v11
	v_perm_b32 v10, v36, v17, v10
	v_and_b32_e32 v36, 0x7070707, v8
	v_ashrrev_i32_e32 v17, 4, v9
	v_perm_b32 v16, v37, v34, v16
	v_ashrrev_i32_e32 v34, 4, v8
	v_lshrrev_b32_e32 v8, 1, v8
	v_perm_b32 v39, s7, 0xfdfeff00, v36
	v_perm_b32 v36, s10, 0x3020100, v36
	v_and_b32_e32 v37, 0x7070707, v9
	v_and_b32_e32 v38, 0x7070707, v34
	v_lshrrev_b32_e32 v34, 1, v34
	v_and_or_b32 v8, v8, s11, 0x3020100
	v_lshrrev_b32_e32 v9, 1, v9
	v_dot4_i32_iu8 v1, v10, v1, 0 neg_lo:[1,1,0]
	v_perm_b32 v40, s7, 0xfdfeff00, v38
	v_perm_b32 v38, s10, 0x3020100, v38
	v_and_or_b32 v34, v34, s11, 0x3020100
	v_perm_b32 v8, v39, v36, v8
	v_and_b32_e32 v10, 0x7070707, v17
	v_lshrrev_b32_e32 v17, 1, v17
	v_perm_b32 v36, s7, 0xfdfeff00, v37
	v_perm_b32 v37, s10, 0x3020100, v37
	v_and_or_b32 v9, v9, s11, 0x3020100
	v_perm_b32 v34, v40, v38, v34
	v_dot4_i32_iu8 v5, v8, v5, 0 neg_lo:[1,1,0]
	v_and_b32_e32 v18, 0x7070707, v14
	v_lshrrev_b32_e32 v14, 1, v14
	v_perm_b32 v19, s7, 0xfdfeff00, v15
	v_perm_b32 v15, s10, 0x3020100, v15
	v_and_or_b32 v11, v11, s11, 0x3020100
	v_perm_b32 v8, s7, 0xfdfeff00, v10
	v_perm_b32 v10, s10, 0x3020100, v10
	v_and_or_b32 v17, v17, s11, 0x3020100
	v_perm_b32 v9, v36, v37, v9
	v_dot4_i32_iu8 v5, v34, v7, v5 neg_lo:[1,1,0]
	v_perm_b32 v35, s7, 0xfdfeff00, v18
	v_perm_b32 v18, s10, 0x3020100, v18
	v_and_or_b32 v7, v14, s11, 0x3020100
	v_perm_b32 v11, v19, v15, v11
	v_dot4_i32_iu8 v1, v16, v3, v1 neg_lo:[1,1,0]
	v_perm_b32 v3, v8, v10, v17
	v_dot4_i32_iu8 v5, v9, v6, v5 neg_lo:[1,1,0]
	v_perm_b32 v6, v35, v18, v7
	v_add_co_u32 v12, s4, 0x480, v12
	v_dot4_i32_iu8 v1, v11, v2, v1 neg_lo:[1,1,0]
	s_delay_alu instid0(VALU_DEP_4)
	v_dot4_i32_iu8 v0, v3, v0, v5 neg_lo:[1,1,0]
	v_dual_mul_f32 v2, v32, v4 :: v_dual_add_nc_u32 v27, 16, v27
	s_wait_alu 0xf1ff
	v_add_co_ci_u32_e64 v13, null, 0, v13, s4
	v_dot4_i32_iu8 v1, v6, v31, v1 neg_lo:[1,1,0]
	v_cvt_f32_i32_e32 v0, v0
	v_cmp_le_u32_e32 vcc_lo, s15, v27
	s_delay_alu instid0(VALU_DEP_3) | instskip(NEXT) | instid1(VALU_DEP_3)
	v_cvt_f32_i32_e32 v1, v1
	v_fma_f32 v0, v2, v0, 0
	v_mul_f32_e32 v2, v33, v4
	s_or_b32 s13, vcc_lo, s13
	s_delay_alu instid0(VALU_DEP_1) | instskip(NEXT) | instid1(VALU_DEP_1)
	v_fmac_f32_e32 v0, v2, v1
	v_add_f32_e32 v26, v26, v0
	s_and_not1_b32 exec_lo, exec_lo, s13
	s_cbranch_execz .LBB85_38
.LBB85_13:                              ; =>This Inner Loop Header: Depth=1
	v_add_nc_u32_e32 v14, s5, v27
	s_mov_b32 s4, 0
	s_mov_b32 s12, exec_lo
	s_delay_alu instid0(VALU_DEP_1) | instskip(NEXT) | instid1(VALU_DEP_1)
	v_mad_co_i64_i32 v[0:1], null, v14, 36, s[8:9]
	v_add_co_u32 v2, vcc_lo, v0, v28
	s_wait_alu 0xfffd
	s_delay_alu instid0(VALU_DEP_2)
	v_add_co_ci_u32_e64 v3, null, 0, v1, vcc_lo
	v_add_co_u32 v0, vcc_lo, v0, v29
	s_wait_alu 0xfffd
	v_add_co_ci_u32_e64 v1, null, 0, v1, vcc_lo
	s_clause 0x1
	global_load_u16 v15, v[2:3], off
	global_load_b128 v[8:11], v[0:1], off offset:4
	s_clause 0x2
	global_load_b32 v31, v[12:13], off offset:16
	global_load_b128 v[0:3], v[12:13], off
	global_load_b128 v[4:7], v[12:13], off offset:-16
	s_wait_loadcnt 0x4
	v_and_b32_e32 v16, 0xff, v15
	s_delay_alu instid0(VALU_DEP_1)
	v_cmpx_lt_i16_e32 0x7e, v16
	s_xor_b32 s12, exec_lo, s12
	s_cbranch_execnz .LBB85_21
; %bb.14:                               ;   in Loop: Header=BB85_13 Depth=1
	s_and_not1_saveexec_b32 s12, s12
	s_cbranch_execnz .LBB85_22
.LBB85_15:                              ;   in Loop: Header=BB85_13 Depth=1
	s_or_b32 exec_lo, exec_lo, s12
	v_mov_b32_e32 v32, 0
	s_wait_alu 0xfffe
	s_and_saveexec_b32 s12, s4
	s_cbranch_execz .LBB85_17
.LBB85_16:                              ;   in Loop: Header=BB85_13 Depth=1
	v_and_b32_e32 v16, 7, v15
	v_lshrrev_b16 v17, 3, v15
	s_delay_alu instid0(VALU_DEP_2) | instskip(NEXT) | instid1(VALU_DEP_1)
	v_cvt_f32_ubyte0_e32 v16, v16
	v_fma_f32 v18, 0x3e000000, v16, 1.0
	s_delay_alu instid0(VALU_DEP_3) | instskip(NEXT) | instid1(VALU_DEP_1)
	v_and_b32_e32 v17, 15, v17
	v_cmp_eq_u32_e32 vcc_lo, 0, v17
	s_wait_alu 0xfffd
	s_delay_alu instid0(VALU_DEP_3) | instskip(NEXT) | instid1(VALU_DEP_1)
	v_dual_cndmask_b32 v16, v18, v16 :: v_dual_add_nc_u32 v19, -7, v17
	v_cndmask_b32_e64 v17, v19, -9, vcc_lo
	s_delay_alu instid0(VALU_DEP_1) | instskip(NEXT) | instid1(VALU_DEP_1)
	v_ldexp_f32 v16, v16, v17
	v_mul_f32_e32 v32, 0.5, v16
.LBB85_17:                              ;   in Loop: Header=BB85_13 Depth=1
	s_or_b32 exec_lo, exec_lo, s12
	v_lshrrev_b16 v15, 8, v15
	s_mov_b32 s4, 0
	s_mov_b32 s12, exec_lo
	s_delay_alu instid0(VALU_DEP_1)
	v_cmpx_lt_i16_e32 0x7e, v15
	s_xor_b32 s12, exec_lo, s12
	s_cbranch_execnz .LBB85_23
; %bb.18:                               ;   in Loop: Header=BB85_13 Depth=1
	s_and_not1_saveexec_b32 s12, s12
	s_cbranch_execnz .LBB85_24
.LBB85_19:                              ;   in Loop: Header=BB85_13 Depth=1
	s_or_b32 exec_lo, exec_lo, s12
	v_mov_b32_e32 v33, 0
	s_wait_alu 0xfffe
	s_and_saveexec_b32 s12, s4
	s_cbranch_execnz .LBB85_25
.LBB85_20:                              ;   in Loop: Header=BB85_13 Depth=1
	s_or_b32 exec_lo, exec_lo, s12
	s_wait_loadcnt 0x0
	v_cvt_f32_f16_e32 v4, v4
	s_and_not1_b32 vcc_lo, exec_lo, s14
	s_wait_alu 0xfffe
	s_cbranch_vccz .LBB85_26
	s_branch .LBB85_12
.LBB85_21:                              ;   in Loop: Header=BB85_13 Depth=1
	v_cmp_ne_u16_e32 vcc_lo, 0x7f, v16
                                        ; implicit-def: $vgpr16
	s_and_b32 s4, vcc_lo, exec_lo
	s_and_not1_saveexec_b32 s12, s12
	s_cbranch_execz .LBB85_15
.LBB85_22:                              ;   in Loop: Header=BB85_13 Depth=1
	v_cmp_ne_u16_e32 vcc_lo, 0, v16
	s_wait_alu 0xfffe
	s_and_not1_b32 s4, s4, exec_lo
	s_and_b32 s19, vcc_lo, exec_lo
	s_wait_alu 0xfffe
	s_or_b32 s4, s4, s19
	s_or_b32 exec_lo, exec_lo, s12
	v_mov_b32_e32 v32, 0
	s_wait_alu 0xfffe
	s_and_saveexec_b32 s12, s4
	s_cbranch_execnz .LBB85_16
	s_branch .LBB85_17
.LBB85_23:                              ;   in Loop: Header=BB85_13 Depth=1
	v_cmp_ne_u16_e32 vcc_lo, 0x7f, v15
	s_and_b32 s4, vcc_lo, exec_lo
	s_and_not1_saveexec_b32 s12, s12
	s_cbranch_execz .LBB85_19
.LBB85_24:                              ;   in Loop: Header=BB85_13 Depth=1
	v_cmp_ne_u16_e32 vcc_lo, 0, v15
	s_wait_alu 0xfffe
	s_and_not1_b32 s4, s4, exec_lo
	s_and_b32 s19, vcc_lo, exec_lo
	s_wait_alu 0xfffe
	s_or_b32 s4, s4, s19
	s_or_b32 exec_lo, exec_lo, s12
	v_mov_b32_e32 v33, 0
	s_wait_alu 0xfffe
	s_and_saveexec_b32 s12, s4
	s_cbranch_execz .LBB85_20
.LBB85_25:                              ;   in Loop: Header=BB85_13 Depth=1
	v_and_b32_e32 v15, 0xffff, v15
	s_delay_alu instid0(VALU_DEP_1) | instskip(SKIP_1) | instid1(VALU_DEP_2)
	v_and_b32_e32 v16, 7, v15
	v_bfe_u32 v15, v15, 3, 4
	v_cvt_f32_ubyte0_e32 v16, v16
	s_delay_alu instid0(VALU_DEP_2) | instskip(SKIP_1) | instid1(VALU_DEP_3)
	v_add_nc_u32_e32 v17, -7, v15
	v_cmp_eq_u32_e32 vcc_lo, 0, v15
	v_fma_f32 v18, 0x3e000000, v16, 1.0
	s_wait_alu 0xfffd
	s_delay_alu instid0(VALU_DEP_1) | instskip(SKIP_1) | instid1(VALU_DEP_1)
	v_cndmask_b32_e32 v15, v18, v16, vcc_lo
	v_cndmask_b32_e64 v16, v17, -9, vcc_lo
	v_ldexp_f32 v15, v15, v16
	s_delay_alu instid0(VALU_DEP_1)
	v_mul_f32_e32 v33, 0.5, v15
	s_or_b32 exec_lo, exec_lo, s12
	s_wait_loadcnt 0x0
	v_cvt_f32_f16_e32 v4, v4
	s_and_not1_b32 vcc_lo, exec_lo, s14
	s_wait_alu 0xfffe
	s_cbranch_vccnz .LBB85_12
.LBB85_26:                              ;   in Loop: Header=BB85_13 Depth=1
	v_mad_co_i64_i32 v[16:17], null, v14, 36, s[16:17]
	s_mov_b32 s4, 0
	s_mov_b32 s12, exec_lo
	v_add_co_u32 v14, vcc_lo, v16, v28
	s_wait_alu 0xfffd
	v_add_co_ci_u32_e64 v15, null, 0, v17, vcc_lo
	v_add_co_u32 v18, vcc_lo, v16, v29
	s_wait_alu 0xfffd
	v_add_co_ci_u32_e64 v19, null, 0, v17, vcc_lo
	s_clause 0x1
	global_load_u8 v35, v[14:15], off
	global_load_b64 v[14:15], v[18:19], off offset:4
	s_wait_loadcnt 0x1
	v_cmpx_lt_i16_e32 0x7e, v35
	s_xor_b32 s12, exec_lo, s12
	s_cbranch_execnz .LBB85_33
; %bb.27:                               ;   in Loop: Header=BB85_13 Depth=1
	s_and_not1_saveexec_b32 s12, s12
	s_cbranch_execnz .LBB85_34
.LBB85_28:                              ;   in Loop: Header=BB85_13 Depth=1
	s_or_b32 exec_lo, exec_lo, s12
	v_mov_b32_e32 v34, 0
	s_wait_alu 0xfffe
	s_and_saveexec_b32 s12, s4
	s_cbranch_execz .LBB85_30
.LBB85_29:                              ;   in Loop: Header=BB85_13 Depth=1
	v_and_b32_e32 v34, 0xffff, v35
	s_delay_alu instid0(VALU_DEP_1) | instskip(SKIP_1) | instid1(VALU_DEP_2)
	v_and_b32_e32 v35, 7, v34
	v_bfe_u32 v34, v34, 3, 4
	v_cvt_f32_ubyte0_e32 v35, v35
	s_delay_alu instid0(VALU_DEP_2) | instskip(SKIP_1) | instid1(VALU_DEP_3)
	v_add_nc_u32_e32 v36, -7, v34
	v_cmp_eq_u32_e32 vcc_lo, 0, v34
	v_fma_f32 v37, 0x3e000000, v35, 1.0
	s_wait_alu 0xfffd
	s_delay_alu instid0(VALU_DEP_1) | instskip(SKIP_1) | instid1(VALU_DEP_1)
	v_cndmask_b32_e32 v34, v37, v35, vcc_lo
	v_cndmask_b32_e64 v35, v36, -9, vcc_lo
	v_ldexp_f32 v34, v34, v35
	s_delay_alu instid0(VALU_DEP_1)
	v_mul_f32_e32 v34, 0.5, v34
.LBB85_30:                              ;   in Loop: Header=BB85_13 Depth=1
	s_or_b32 exec_lo, exec_lo, s12
	v_add_co_u32 v16, vcc_lo, v16, v30
	s_wait_alu 0xfffd
	v_add_co_ci_u32_e64 v17, null, 0, v17, vcc_lo
	s_mov_b32 s4, 0
	s_mov_b32 s12, exec_lo
	s_clause 0x1
	global_load_u8 v35, v[16:17], off
	global_load_b64 v[16:17], v[18:19], off offset:12
	s_wait_loadcnt 0x1
	v_cmpx_lt_i16_e32 0x7e, v35
	s_xor_b32 s12, exec_lo, s12
	s_cbranch_execnz .LBB85_35
; %bb.31:                               ;   in Loop: Header=BB85_13 Depth=1
	s_and_not1_saveexec_b32 s12, s12
	s_cbranch_execnz .LBB85_36
.LBB85_32:                              ;   in Loop: Header=BB85_13 Depth=1
	s_or_b32 exec_lo, exec_lo, s12
	v_mov_b32_e32 v18, 0
	s_wait_alu 0xfffe
	s_and_saveexec_b32 s12, s4
	s_cbranch_execz .LBB85_11
	s_branch .LBB85_37
.LBB85_33:                              ;   in Loop: Header=BB85_13 Depth=1
	v_cmp_ne_u16_e32 vcc_lo, 0x7f, v35
	s_and_b32 s4, vcc_lo, exec_lo
	s_and_not1_saveexec_b32 s12, s12
	s_cbranch_execz .LBB85_28
.LBB85_34:                              ;   in Loop: Header=BB85_13 Depth=1
	v_cmp_ne_u16_e32 vcc_lo, 0, v35
	s_wait_alu 0xfffe
	s_and_not1_b32 s4, s4, exec_lo
	s_and_b32 s19, vcc_lo, exec_lo
	s_wait_alu 0xfffe
	s_or_b32 s4, s4, s19
	s_or_b32 exec_lo, exec_lo, s12
	v_mov_b32_e32 v34, 0
	s_wait_alu 0xfffe
	s_and_saveexec_b32 s12, s4
	s_cbranch_execnz .LBB85_29
	s_branch .LBB85_30
.LBB85_35:                              ;   in Loop: Header=BB85_13 Depth=1
	v_cmp_ne_u16_e32 vcc_lo, 0x7f, v35
	s_and_b32 s4, vcc_lo, exec_lo
	s_and_not1_saveexec_b32 s12, s12
	s_cbranch_execz .LBB85_32
.LBB85_36:                              ;   in Loop: Header=BB85_13 Depth=1
	v_cmp_ne_u16_e32 vcc_lo, 0, v35
	s_wait_alu 0xfffe
	s_and_not1_b32 s4, s4, exec_lo
	s_and_b32 s19, vcc_lo, exec_lo
	s_wait_alu 0xfffe
	s_or_b32 s4, s4, s19
	s_or_b32 exec_lo, exec_lo, s12
	v_mov_b32_e32 v18, 0
	s_wait_alu 0xfffe
	s_and_saveexec_b32 s12, s4
	s_cbranch_execz .LBB85_11
.LBB85_37:                              ;   in Loop: Header=BB85_13 Depth=1
	v_and_b32_e32 v18, 0xffff, v35
	s_delay_alu instid0(VALU_DEP_1) | instskip(SKIP_1) | instid1(VALU_DEP_2)
	v_and_b32_e32 v19, 7, v18
	v_bfe_u32 v18, v18, 3, 4
	v_cvt_f32_ubyte0_e32 v19, v19
	s_delay_alu instid0(VALU_DEP_2) | instskip(NEXT) | instid1(VALU_DEP_2)
	v_cmp_eq_u32_e32 vcc_lo, 0, v18
	v_fma_f32 v36, 0x3e000000, v19, 1.0
	s_wait_alu 0xfffd
	s_delay_alu instid0(VALU_DEP_1) | instskip(NEXT) | instid1(VALU_DEP_1)
	v_dual_cndmask_b32 v18, v36, v19 :: v_dual_add_nc_u32 v35, -7, v18
	v_cndmask_b32_e64 v19, v35, -9, vcc_lo
	s_delay_alu instid0(VALU_DEP_1) | instskip(NEXT) | instid1(VALU_DEP_1)
	v_ldexp_f32 v18, v18, v19
	v_mul_f32_e32 v18, 0.5, v18
	s_branch .LBB85_11
.LBB85_38:
	s_or_b32 exec_lo, exec_lo, s13
.LBB85_39:
	s_delay_alu instid0(SALU_CYCLE_1)
	s_or_b32 exec_lo, exec_lo, s18
	s_load_b32 s4, s[0:1], 0x30
	s_wait_loadcnt 0x0
	; wave barrier
	global_inv scope:SCOPE_SE
	s_mov_b32 s5, exec_lo
	v_cmpx_eq_u32_e32 0, v23
	s_cbranch_execz .LBB85_67
; %bb.40:
	v_mbcnt_lo_u32_b32 v1, -1, 0
	s_delay_alu instid0(VALU_DEP_1) | instskip(SKIP_2) | instid1(VALU_DEP_3)
	v_xor_b32_e32 v0, 16, v1
	v_xor_b32_e32 v3, 8, v1
	;; [unrolled: 1-line block ×3, first 2 shown]
	v_cmp_gt_i32_e32 vcc_lo, 32, v0
	s_wait_alu 0xfffd
	v_cndmask_b32_e32 v0, v1, v0, vcc_lo
	v_cmp_gt_i32_e32 vcc_lo, 32, v3
	s_wait_alu 0xfffd
	v_cndmask_b32_e32 v3, v1, v3, vcc_lo
	v_cmp_gt_i32_e32 vcc_lo, 32, v4
	s_delay_alu instid0(VALU_DEP_2)
	v_lshlrev_b32_e32 v3, 2, v3
	v_lshlrev_b32_e32 v0, 2, v0
	s_wait_alu 0xfffd
	v_cndmask_b32_e32 v4, v1, v4, vcc_lo
	ds_bpermute_b32 v2, v0, v26
	s_wait_dscnt 0x0
	v_add_f32_e32 v2, v26, v2
	ds_bpermute_b32 v5, v3, v2
	s_wait_dscnt 0x0
	v_add_f32_e32 v2, v2, v5
	v_xor_b32_e32 v5, 2, v1
	s_delay_alu instid0(VALU_DEP_1) | instskip(SKIP_2) | instid1(VALU_DEP_1)
	v_cmp_gt_i32_e32 vcc_lo, 32, v5
	s_wait_alu 0xfffd
	v_cndmask_b32_e32 v5, v1, v5, vcc_lo
	v_lshlrev_b32_e32 v5, 2, v5
	v_lshlrev_b32_e32 v4, 2, v4
	ds_bpermute_b32 v6, v4, v2
	s_wait_dscnt 0x0
	v_add_f32_e32 v2, v2, v6
	v_xor_b32_e32 v6, 1, v1
	ds_bpermute_b32 v7, v5, v2
	v_cmp_gt_i32_e32 vcc_lo, 32, v6
	s_wait_alu 0xfffd
	v_cndmask_b32_e32 v1, v1, v6, vcc_lo
	v_cmp_ne_u32_e32 vcc_lo, 1, v24
	s_delay_alu instid0(VALU_DEP_2)
	v_lshlrev_b32_e32 v6, 2, v1
	s_wait_dscnt 0x0
	v_add_f32_e32 v1, v2, v7
	ds_bpermute_b32 v2, v6, v1
	s_cbranch_vccnz .LBB85_42
; %bb.41:
	ds_bpermute_b32 v0, v0, v25
	s_wait_dscnt 0x0
	v_add_f32_e32 v0, v25, v0
	ds_bpermute_b32 v3, v3, v0
	s_wait_dscnt 0x0
	v_add_f32_e32 v0, v0, v3
	;; [unrolled: 3-line block ×5, first 2 shown]
.LBB85_42:
	v_cmp_eq_u32_e32 vcc_lo, 0, v20
	s_and_b32 exec_lo, exec_lo, vcc_lo
	s_cbranch_execz .LBB85_67
; %bb.43:
	s_wait_dscnt 0x0
	v_add_f32_e32 v0, v1, v2
	v_cmp_ne_u32_e32 vcc_lo, 1, v24
	s_delay_alu instid0(VALU_DEP_2) | instskip(NEXT) | instid1(VALU_DEP_1)
	v_add_f32_e32 v1, v22, v0
	v_cndmask_b32_e64 v0, v0, v1, s2
	s_cbranch_vccnz .LBB85_66
; %bb.44:
	v_add_f32_e32 v1, v21, v25
	s_wait_kmcnt 0x0
	s_cmp_lt_i32 s4, 2
	s_mov_b32 s2, 0
	s_delay_alu instid0(VALU_DEP_1)
	v_cndmask_b32_e64 v1, v25, v1, s3
	s_cbranch_scc1 .LBB85_49
; %bb.45:
	s_cmp_gt_i32 s4, 2
	s_cbranch_scc0 .LBB85_50
; %bb.46:
	s_cmp_eq_u32 s4, 3
	s_cbranch_scc0 .LBB85_51
; %bb.47:
	v_max_num_f32_e32 v2, v1, v1
	s_mov_b32 s3, 0xc0e00000
	s_delay_alu instid0(VALU_DEP_1) | instskip(NEXT) | instid1(VALU_DEP_1)
	v_min_num_f32_e32 v2, 0x40e00000, v2
	v_mul_f32_e32 v3, 0xbfd9db23, v2
	s_delay_alu instid0(VALU_DEP_1) | instskip(NEXT) | instid1(VALU_DEP_1)
	v_mul_f32_e32 v4, 0x3fb8aa3b, v3
	v_fma_f32 v5, 0x3fb8aa3b, v3, -v4
	v_rndne_f32_e32 v6, v4
	s_delay_alu instid0(VALU_DEP_1) | instskip(NEXT) | instid1(VALU_DEP_1)
	v_dual_fmamk_f32 v5, v3, 0x32a5705f, v5 :: v_dual_sub_f32 v4, v4, v6
	v_add_f32_e32 v4, v4, v5
	v_cvt_i32_f32_e32 v5, v6
	v_cmp_ngt_f32_e32 vcc_lo, 0xc2ce8ed0, v3
	s_delay_alu instid0(VALU_DEP_3) | instskip(NEXT) | instid1(TRANS32_DEP_1)
	v_exp_f32_e32 v4, v4
	v_ldexp_f32 v4, v4, v5
	s_wait_alu 0xfffd
	s_delay_alu instid0(VALU_DEP_1) | instskip(SKIP_2) | instid1(VALU_DEP_2)
	v_cndmask_b32_e32 v4, 0, v4, vcc_lo
	v_cmp_nlt_f32_e32 vcc_lo, 0x42b17218, v3
	s_wait_alu 0xfffd
	v_cndmask_b32_e32 v3, 0x7f800000, v4, vcc_lo
	s_delay_alu instid0(VALU_DEP_1) | instskip(NEXT) | instid1(VALU_DEP_1)
	v_add_f32_e32 v3, 1.0, v3
	v_div_scale_f32 v4, null, v3, v3, v2
	v_div_scale_f32 v7, vcc_lo, v2, v3, v2
	s_delay_alu instid0(VALU_DEP_2) | instskip(NEXT) | instid1(TRANS32_DEP_1)
	v_rcp_f32_e32 v5, v4
	v_fma_f32 v6, -v4, v5, 1.0
	s_delay_alu instid0(VALU_DEP_1) | instskip(NEXT) | instid1(VALU_DEP_1)
	v_fmac_f32_e32 v5, v6, v5
	v_mul_f32_e32 v6, v7, v5
	s_delay_alu instid0(VALU_DEP_1) | instskip(NEXT) | instid1(VALU_DEP_1)
	v_fma_f32 v8, -v4, v6, v7
	v_fmac_f32_e32 v6, v8, v5
	s_delay_alu instid0(VALU_DEP_1) | instskip(SKIP_1) | instid1(VALU_DEP_1)
	v_fma_f32 v4, -v4, v6, v7
	s_wait_alu 0xfffd
	v_div_fmas_f32 v4, v4, v5, v6
	s_delay_alu instid0(VALU_DEP_1) | instskip(SKIP_2) | instid1(VALU_DEP_1)
	v_div_fixup_f32 v2, v4, v3, v2
	v_max_num_f32_e32 v7, v0, v0
	s_wait_alu 0xfffe
	v_minmax_num_f32 v5, v7, 0x40e00000, s3
	s_mov_b32 s3, 0
	s_delay_alu instid0(VALU_DEP_1) | instskip(NEXT) | instid1(VALU_DEP_1)
	v_add_f32_e32 v3, 1.0, v5
	v_mul_f32_e32 v2, v3, v2
	s_branch .LBB85_52
.LBB85_48:
                                        ; implicit-def: $sgpr28
	s_clause 0x1
	s_load_b32 s30, s[0:1], 0x50
	s_load_b32 s29, s[0:1], 0x78
	s_branch .LBB85_2
.LBB85_49:
	s_mov_b32 s3, 0
                                        ; implicit-def: $vgpr2
	s_cbranch_execnz .LBB85_56
	s_branch .LBB85_57
.LBB85_50:
	s_mov_b32 s5, -1
	s_mov_b32 s3, 0
                                        ; implicit-def: $vgpr2
	s_branch .LBB85_53
.LBB85_51:
	s_mov_b32 s3, -1
                                        ; implicit-def: $vgpr2
.LBB85_52:
	s_mov_b32 s5, 0
.LBB85_53:
	s_wait_alu 0xfffe
	s_and_b32 vcc_lo, exec_lo, s5
	s_wait_alu 0xfffe
	s_cbranch_vccz .LBB85_55
; %bb.54:
	v_mul_f32_e32 v2, 0xbfb8aa3b, v1
	v_cmp_nlt_f32_e32 vcc_lo, 0x42ce8ed0, v1
	s_delay_alu instid0(VALU_DEP_2) | instskip(SKIP_1) | instid1(VALU_DEP_2)
	v_rndne_f32_e32 v3, v2
	v_fma_f32 v4, 0xbfb8aa3b, v1, -v2
	v_sub_f32_e32 v2, v2, v3
	s_delay_alu instid0(VALU_DEP_2) | instskip(SKIP_1) | instid1(VALU_DEP_2)
	v_fmamk_f32 v4, v1, 0xb2a5705f, v4
	v_cvt_i32_f32_e32 v3, v3
	v_add_f32_e32 v2, v2, v4
	s_delay_alu instid0(VALU_DEP_1) | instskip(NEXT) | instid1(TRANS32_DEP_1)
	v_exp_f32_e32 v2, v2
	v_ldexp_f32 v2, v2, v3
	s_wait_alu 0xfffd
	s_delay_alu instid0(VALU_DEP_1) | instskip(SKIP_2) | instid1(VALU_DEP_2)
	v_cndmask_b32_e32 v2, 0, v2, vcc_lo
	v_cmp_ngt_f32_e32 vcc_lo, 0xc2b17218, v1
	s_wait_alu 0xfffd
	v_cndmask_b32_e32 v2, 0x7f800000, v2, vcc_lo
	s_delay_alu instid0(VALU_DEP_1) | instskip(NEXT) | instid1(VALU_DEP_1)
	v_add_f32_e32 v2, 1.0, v2
	v_div_scale_f32 v3, null, v2, v2, v1
	s_delay_alu instid0(VALU_DEP_1) | instskip(NEXT) | instid1(TRANS32_DEP_1)
	v_rcp_f32_e32 v4, v3
	v_fma_f32 v5, -v3, v4, 1.0
	s_delay_alu instid0(VALU_DEP_1) | instskip(SKIP_1) | instid1(VALU_DEP_1)
	v_fmac_f32_e32 v4, v5, v4
	v_div_scale_f32 v5, vcc_lo, v1, v2, v1
	v_mul_f32_e32 v6, v5, v4
	s_delay_alu instid0(VALU_DEP_1) | instskip(NEXT) | instid1(VALU_DEP_1)
	v_fma_f32 v7, -v3, v6, v5
	v_fmac_f32_e32 v6, v7, v4
	s_delay_alu instid0(VALU_DEP_1) | instskip(SKIP_1) | instid1(VALU_DEP_1)
	v_fma_f32 v3, -v3, v6, v5
	s_wait_alu 0xfffd
	v_div_fmas_f32 v3, v3, v4, v6
	s_delay_alu instid0(VALU_DEP_1) | instskip(NEXT) | instid1(VALU_DEP_1)
	v_div_fixup_f32 v2, v3, v2, v1
	v_mul_f32_e32 v2, v0, v2
.LBB85_55:
	s_branch .LBB85_57
.LBB85_56:
	s_cmp_lg_u32 s4, 1
	s_mov_b32 s2, -1
	s_cselect_b32 s3, -1, 0
.LBB85_57:
	s_wait_alu 0xfffe
	s_and_not1_b32 vcc_lo, exec_lo, s3
	s_wait_alu 0xfffe
	s_cbranch_vccz .LBB85_59
; %bb.58:
	s_and_not1_b32 vcc_lo, exec_lo, s2
	s_wait_alu 0xfffe
	s_cbranch_vccz .LBB85_60
	s_branch .LBB85_65
.LBB85_59:
	v_mul_f32_e32 v2, v1, v0
	s_cbranch_execnz .LBB85_65
.LBB85_60:
	v_mul_f32_e32 v2, 0x3d372713, v1
	v_mul_f32_e32 v3, 0x3f4c422a, v1
	s_delay_alu instid0(VALU_DEP_2) | instskip(NEXT) | instid1(VALU_DEP_1)
	v_fma_f32 v2, v1, v2, 1.0
	v_mul_f32_e32 v2, v3, v2
                                        ; implicit-def: $vgpr3
	s_delay_alu instid0(VALU_DEP_1)
	v_cmp_ngt_f32_e64 s2, 0x3f200000, |v2|
	s_and_saveexec_b32 s3, s2
	s_wait_alu 0xfffe
	s_xor_b32 s2, exec_lo, s3
	s_cbranch_execz .LBB85_62
; %bb.61:
	v_add_f32_e64 v3, |v2|, |v2|
	s_delay_alu instid0(VALU_DEP_1) | instskip(SKIP_1) | instid1(VALU_DEP_2)
	v_mul_f32_e32 v4, 0x3fb8aa3b, v3
	v_cmp_ngt_f32_e32 vcc_lo, 0xc2ce8ed0, v3
	v_rndne_f32_e32 v5, v4
	v_fma_f32 v6, 0x3fb8aa3b, v3, -v4
	s_delay_alu instid0(VALU_DEP_2) | instskip(NEXT) | instid1(VALU_DEP_2)
	v_sub_f32_e32 v4, v4, v5
	v_fmamk_f32 v6, v3, 0x32a5705f, v6
	v_cvt_i32_f32_e32 v5, v5
	s_delay_alu instid0(VALU_DEP_2) | instskip(NEXT) | instid1(VALU_DEP_1)
	v_add_f32_e32 v4, v4, v6
	v_exp_f32_e32 v4, v4
	s_delay_alu instid0(TRANS32_DEP_1) | instskip(SKIP_1) | instid1(VALU_DEP_1)
	v_ldexp_f32 v4, v4, v5
	s_wait_alu 0xfffd
	v_cndmask_b32_e32 v4, 0, v4, vcc_lo
	v_cmp_nlt_f32_e32 vcc_lo, 0x42b17218, v3
	s_wait_alu 0xfffd
	s_delay_alu instid0(VALU_DEP_2) | instskip(NEXT) | instid1(VALU_DEP_1)
	v_cndmask_b32_e32 v3, 0x7f800000, v4, vcc_lo
	v_add_f32_e32 v3, 1.0, v3
	s_delay_alu instid0(VALU_DEP_1) | instskip(NEXT) | instid1(TRANS32_DEP_1)
	v_rcp_f32_e32 v3, v3
	v_fma_f32 v3, v3, -2.0, 1.0
.LBB85_62:
	s_wait_alu 0xfffe
	s_and_not1_saveexec_b32 s2, s2
	s_cbranch_execz .LBB85_64
; %bb.63:
	v_mul_f32_e32 v3, v2, v2
	s_mov_b32 s3, 0xbbbac73d
	s_wait_alu 0xfffe
	s_delay_alu instid0(VALU_DEP_1) | instskip(NEXT) | instid1(VALU_DEP_1)
	v_fmaak_f32 v4, s3, v3, 0x3ca908c9
	v_fmaak_f32 v4, v3, v4, 0xbd5c1c4e
	s_delay_alu instid0(VALU_DEP_1) | instskip(NEXT) | instid1(VALU_DEP_1)
	v_fmaak_f32 v4, v3, v4, 0x3e088382
	v_fmaak_f32 v4, v3, v4, 0xbeaaaa99
	s_delay_alu instid0(VALU_DEP_1) | instskip(NEXT) | instid1(VALU_DEP_1)
	v_mul_f32_e64 v4, |v2|, v4
	v_fma_f32 v3, v3, v4, |v2|
.LBB85_64:
	s_wait_alu 0xfffe
	s_or_b32 exec_lo, exec_lo, s2
	s_delay_alu instid0(VALU_DEP_1) | instskip(NEXT) | instid1(VALU_DEP_1)
	v_bfi_b32 v2, 0x7fffffff, v3, v2
	v_dual_mul_f32 v1, 0.5, v1 :: v_dual_add_f32 v2, 1.0, v2
	s_delay_alu instid0(VALU_DEP_1) | instskip(NEXT) | instid1(VALU_DEP_1)
	v_mul_f32_e32 v1, v1, v2
	v_mul_f32_e32 v2, v0, v1
.LBB85_65:
	s_delay_alu instid0(VALU_DEP_1)
	v_mov_b32_e32 v0, v2
.LBB85_66:
	s_load_b64 s[0:1], s[0:1], 0x38
	s_mul_i32 s2, s6, s27
	s_wait_kmcnt 0x0
	s_mul_i32 s3, s26, s21
	s_wait_alu 0xfffe
	s_add_co_i32 s2, s2, ttmp9
	v_lshlrev_b32_e32 v1, 2, v20
	s_wait_alu 0xfffe
	s_add_co_i32 s2, s2, s3
	s_mov_b32 s3, 0
	s_wait_alu 0xfffe
	s_lshl_b64 s[2:3], s[2:3], 2
	s_wait_alu 0xfffe
	s_add_nc_u64 s[0:1], s[0:1], s[2:3]
	global_store_b32 v1, v0, s[0:1]
.LBB85_67:
	s_endpgm
	.section	.rodata,"a",@progbits
	.p2align	6, 0x0
	.amdhsa_kernel _ZL13mul_mat_vec_qIL9ggml_type40ELi1ELb1ELb1EEvPKvS2_PKi31ggml_cuda_mm_fusion_args_devicePfj15HIP_vector_typeIjLj3EEjjjS8_jjjS8_jjjj
		.amdhsa_group_segment_fixed_size 0
		.amdhsa_private_segment_fixed_size 0
		.amdhsa_kernarg_size 144
		.amdhsa_user_sgpr_count 2
		.amdhsa_user_sgpr_dispatch_ptr 0
		.amdhsa_user_sgpr_queue_ptr 0
		.amdhsa_user_sgpr_kernarg_segment_ptr 1
		.amdhsa_user_sgpr_dispatch_id 0
		.amdhsa_user_sgpr_private_segment_size 0
		.amdhsa_wavefront_size32 1
		.amdhsa_uses_dynamic_stack 0
		.amdhsa_enable_private_segment 0
		.amdhsa_system_sgpr_workgroup_id_x 1
		.amdhsa_system_sgpr_workgroup_id_y 1
		.amdhsa_system_sgpr_workgroup_id_z 1
		.amdhsa_system_sgpr_workgroup_info 0
		.amdhsa_system_vgpr_workitem_id 1
		.amdhsa_next_free_vgpr 50
		.amdhsa_next_free_sgpr 38
		.amdhsa_reserve_vcc 1
		.amdhsa_float_round_mode_32 0
		.amdhsa_float_round_mode_16_64 0
		.amdhsa_float_denorm_mode_32 3
		.amdhsa_float_denorm_mode_16_64 3
		.amdhsa_fp16_overflow 0
		.amdhsa_workgroup_processor_mode 1
		.amdhsa_memory_ordered 1
		.amdhsa_forward_progress 1
		.amdhsa_inst_pref_size 36
		.amdhsa_round_robin_scheduling 0
		.amdhsa_exception_fp_ieee_invalid_op 0
		.amdhsa_exception_fp_denorm_src 0
		.amdhsa_exception_fp_ieee_div_zero 0
		.amdhsa_exception_fp_ieee_overflow 0
		.amdhsa_exception_fp_ieee_underflow 0
		.amdhsa_exception_fp_ieee_inexact 0
		.amdhsa_exception_int_div_zero 0
	.end_amdhsa_kernel
	.section	.text._ZL13mul_mat_vec_qIL9ggml_type40ELi1ELb1ELb1EEvPKvS2_PKi31ggml_cuda_mm_fusion_args_devicePfj15HIP_vector_typeIjLj3EEjjjS8_jjjS8_jjjj,"axG",@progbits,_ZL13mul_mat_vec_qIL9ggml_type40ELi1ELb1ELb1EEvPKvS2_PKi31ggml_cuda_mm_fusion_args_devicePfj15HIP_vector_typeIjLj3EEjjjS8_jjjS8_jjjj,comdat
.Lfunc_end85:
	.size	_ZL13mul_mat_vec_qIL9ggml_type40ELi1ELb1ELb1EEvPKvS2_PKi31ggml_cuda_mm_fusion_args_devicePfj15HIP_vector_typeIjLj3EEjjjS8_jjjS8_jjjj, .Lfunc_end85-_ZL13mul_mat_vec_qIL9ggml_type40ELi1ELb1ELb1EEvPKvS2_PKi31ggml_cuda_mm_fusion_args_devicePfj15HIP_vector_typeIjLj3EEjjjS8_jjjS8_jjjj
                                        ; -- End function
	.set _ZL13mul_mat_vec_qIL9ggml_type40ELi1ELb1ELb1EEvPKvS2_PKi31ggml_cuda_mm_fusion_args_devicePfj15HIP_vector_typeIjLj3EEjjjS8_jjjS8_jjjj.num_vgpr, 50
	.set _ZL13mul_mat_vec_qIL9ggml_type40ELi1ELb1ELb1EEvPKvS2_PKi31ggml_cuda_mm_fusion_args_devicePfj15HIP_vector_typeIjLj3EEjjjS8_jjjS8_jjjj.num_agpr, 0
	.set _ZL13mul_mat_vec_qIL9ggml_type40ELi1ELb1ELb1EEvPKvS2_PKi31ggml_cuda_mm_fusion_args_devicePfj15HIP_vector_typeIjLj3EEjjjS8_jjjS8_jjjj.numbered_sgpr, 38
	.set _ZL13mul_mat_vec_qIL9ggml_type40ELi1ELb1ELb1EEvPKvS2_PKi31ggml_cuda_mm_fusion_args_devicePfj15HIP_vector_typeIjLj3EEjjjS8_jjjS8_jjjj.num_named_barrier, 0
	.set _ZL13mul_mat_vec_qIL9ggml_type40ELi1ELb1ELb1EEvPKvS2_PKi31ggml_cuda_mm_fusion_args_devicePfj15HIP_vector_typeIjLj3EEjjjS8_jjjS8_jjjj.private_seg_size, 0
	.set _ZL13mul_mat_vec_qIL9ggml_type40ELi1ELb1ELb1EEvPKvS2_PKi31ggml_cuda_mm_fusion_args_devicePfj15HIP_vector_typeIjLj3EEjjjS8_jjjS8_jjjj.uses_vcc, 1
	.set _ZL13mul_mat_vec_qIL9ggml_type40ELi1ELb1ELb1EEvPKvS2_PKi31ggml_cuda_mm_fusion_args_devicePfj15HIP_vector_typeIjLj3EEjjjS8_jjjS8_jjjj.uses_flat_scratch, 0
	.set _ZL13mul_mat_vec_qIL9ggml_type40ELi1ELb1ELb1EEvPKvS2_PKi31ggml_cuda_mm_fusion_args_devicePfj15HIP_vector_typeIjLj3EEjjjS8_jjjS8_jjjj.has_dyn_sized_stack, 0
	.set _ZL13mul_mat_vec_qIL9ggml_type40ELi1ELb1ELb1EEvPKvS2_PKi31ggml_cuda_mm_fusion_args_devicePfj15HIP_vector_typeIjLj3EEjjjS8_jjjS8_jjjj.has_recursion, 0
	.set _ZL13mul_mat_vec_qIL9ggml_type40ELi1ELb1ELb1EEvPKvS2_PKi31ggml_cuda_mm_fusion_args_devicePfj15HIP_vector_typeIjLj3EEjjjS8_jjjS8_jjjj.has_indirect_call, 0
	.section	.AMDGPU.csdata,"",@progbits
; Kernel info:
; codeLenInByte = 4568
; TotalNumSgprs: 40
; NumVgprs: 50
; ScratchSize: 0
; MemoryBound: 0
; FloatMode: 240
; IeeeMode: 1
; LDSByteSize: 0 bytes/workgroup (compile time only)
; SGPRBlocks: 0
; VGPRBlocks: 6
; NumSGPRsForWavesPerEU: 40
; NumVGPRsForWavesPerEU: 50
; Occupancy: 16
; WaveLimiterHint : 0
; COMPUTE_PGM_RSRC2:SCRATCH_EN: 0
; COMPUTE_PGM_RSRC2:USER_SGPR: 2
; COMPUTE_PGM_RSRC2:TRAP_HANDLER: 0
; COMPUTE_PGM_RSRC2:TGID_X_EN: 1
; COMPUTE_PGM_RSRC2:TGID_Y_EN: 1
; COMPUTE_PGM_RSRC2:TGID_Z_EN: 1
; COMPUTE_PGM_RSRC2:TIDIG_COMP_CNT: 1
	.section	.text._ZL13mul_mat_vec_qIL9ggml_type40ELi1ELb0ELb1EEvPKvS2_PKi31ggml_cuda_mm_fusion_args_devicePfj15HIP_vector_typeIjLj3EEjjjS8_jjjS8_jjjj,"axG",@progbits,_ZL13mul_mat_vec_qIL9ggml_type40ELi1ELb0ELb1EEvPKvS2_PKi31ggml_cuda_mm_fusion_args_devicePfj15HIP_vector_typeIjLj3EEjjjS8_jjjS8_jjjj,comdat
	.globl	_ZL13mul_mat_vec_qIL9ggml_type40ELi1ELb0ELb1EEvPKvS2_PKi31ggml_cuda_mm_fusion_args_devicePfj15HIP_vector_typeIjLj3EEjjjS8_jjjS8_jjjj ; -- Begin function _ZL13mul_mat_vec_qIL9ggml_type40ELi1ELb0ELb1EEvPKvS2_PKi31ggml_cuda_mm_fusion_args_devicePfj15HIP_vector_typeIjLj3EEjjjS8_jjjS8_jjjj
	.p2align	8
	.type	_ZL13mul_mat_vec_qIL9ggml_type40ELi1ELb0ELb1EEvPKvS2_PKi31ggml_cuda_mm_fusion_args_devicePfj15HIP_vector_typeIjLj3EEjjjS8_jjjS8_jjjj,@function
_ZL13mul_mat_vec_qIL9ggml_type40ELi1ELb0ELb1EEvPKvS2_PKi31ggml_cuda_mm_fusion_args_devicePfj15HIP_vector_typeIjLj3EEjjjS8_jjjS8_jjjj: ; @_ZL13mul_mat_vec_qIL9ggml_type40ELi1ELb0ELb1EEvPKvS2_PKi31ggml_cuda_mm_fusion_args_devicePfj15HIP_vector_typeIjLj3EEjjjS8_jjjS8_jjjj
; %bb.0:
	s_clause 0x1
	s_load_b64 s[2:3], s[0:1], 0x10
	s_load_b128 s[8:11], s[0:1], 0x40
	s_and_b32 s15, ttmp7, 0xffff
	s_wait_kmcnt 0x0
	s_cmp_lg_u64 s[2:3], 0
	s_cselect_b32 s12, -1, 0
	s_cmp_eq_u64 s[2:3], 0
	s_cbranch_scc1 .LBB86_25
; %bb.1:
	s_lshl_b32 s4, s15, 2
	s_load_b32 s19, s[2:3], s4 offset:0x0
	s_clause 0x1
	s_load_b128 s[4:7], s[0:1], 0x68
	s_load_b32 s20, s[0:1], 0x50
	s_cbranch_execnz .LBB86_3
.LBB86_2:
	s_load_b64 s[2:3], s[0:1], 0x5c
	s_wait_kmcnt 0x0
	s_mul_hi_u32 s2, s2, s15
	s_delay_alu instid0(SALU_CYCLE_1) | instskip(NEXT) | instid1(SALU_CYCLE_1)
	s_add_co_i32 s2, s15, s2
	s_lshr_b32 s19, s2, s3
.LBB86_3:
	s_load_b32 s21, s[0:1], 0x78
	s_and_not1_b32 vcc_lo, exec_lo, s12
	s_mov_b32 s2, s15
	s_cbranch_vccnz .LBB86_5
; %bb.4:
	s_mul_hi_u32 s2, s9, s15
	s_delay_alu instid0(SALU_CYCLE_1) | instskip(NEXT) | instid1(SALU_CYCLE_1)
	s_add_co_i32 s2, s15, s2
	s_lshr_b32 s2, s2, s10
	s_delay_alu instid0(SALU_CYCLE_1) | instskip(NEXT) | instid1(SALU_CYCLE_1)
	s_mul_i32 s2, s2, s11
	s_sub_co_i32 s2, s15, s2
.LBB86_5:
	v_bfe_u32 v15, v0, 10, 10
	v_and_b32_e32 v14, 0x3ff, v0
	s_load_b96 s[12:14], s[0:1], 0x80
	s_lshr_b32 s18, s8, 6
	s_lshr_b32 s16, ttmp7, 16
	v_lshlrev_b32_e32 v0, 5, v15
	s_mov_b32 s17, exec_lo
	v_mov_b32_e32 v16, 0
	s_delay_alu instid0(VALU_DEP_2) | instskip(NEXT) | instid1(VALU_DEP_1)
	v_add_nc_u16 v1, v0, v14
	v_lshrrev_b16 v1, 1, v1
	s_delay_alu instid0(VALU_DEP_1) | instskip(NEXT) | instid1(VALU_DEP_1)
	v_and_b32_e32 v17, 0xffff, v1
	v_cmpx_gt_u32_e64 s18, v17
	s_cbranch_execz .LBB86_21
; %bb.6:
	v_or_b32_e32 v0, v0, v14
	s_wait_kmcnt 0x0
	s_mul_i32 s2, s2, s5
	s_mov_b32 s3, 0
	v_and_b32_e32 v2, 1, v14
	s_mul_u64 s[8:9], s[2:3], 36
	v_lshrrev_b32_e32 v0, 1, v0
	s_mul_i32 s2, s13, s16
	v_dual_mov_b32 v16, 0 :: v_dual_lshlrev_b32 v3, 2, v14
	s_mul_i32 s20, s20, ttmp9
	s_delay_alu instid0(VALU_DEP_2)
	v_mad_co_u64_u32 v[0:1], null, 0x48, v0, s[8:9]
	s_load_b128 s[8:11], s[0:1], 0x0
	s_mul_i32 s4, s19, s4
	s_mov_b32 s5, 0xf4f8fafc
	v_mad_co_u64_u32 v[0:1], null, s2, 36, v[0:1]
	s_mul_hi_u32 s2, s7, s16
	s_mov_b32 s7, 0xc080604
	s_wait_alu 0xfffe
	s_add_co_i32 s2, s16, s2
	s_wait_alu 0xfffe
	s_lshr_b32 s2, s2, s21
	s_wait_alu 0xfffe
	s_mul_i32 s2, s2, s12
	v_mad_co_u64_u32 v[0:1], null, v2, 36, v[0:1]
	v_and_b32_e32 v2, 4, v3
	s_wait_alu 0xfffe
	s_add_co_i32 s2, s2, s20
	s_wait_alu 0xfffe
	s_add_co_i32 s4, s4, s2
	v_lshrrev_b32_e32 v18, 1, v2
	s_wait_kmcnt 0x0
	v_add_co_u32 v0, vcc_lo, s10, v0
	s_delay_alu instid0(VALU_DEP_1) | instskip(SKIP_1) | instid1(VALU_DEP_3)
	v_add_co_ci_u32_e64 v1, null, s11, v1, vcc_lo
	v_lshlrev_b32_e32 v19, 2, v2
	v_add_co_u32 v12, vcc_lo, v0, 16
	s_wait_alu 0xfffd
	s_delay_alu instid0(VALU_DEP_3)
	v_add_co_ci_u32_e64 v13, null, 0, v1, vcc_lo
	s_mov_b32 s10, 0x4040404
	s_branch .LBB86_8
.LBB86_7:                               ;   in Loop: Header=BB86_8 Depth=1
	s_wait_alu 0xfffe
	s_or_b32 exec_lo, exec_lo, s11
	s_wait_loadcnt 0x3
	v_ashrrev_i32_e32 v25, 4, v10
	v_and_b32_e32 v26, 0x7070707, v10
	v_lshrrev_b32_e32 v10, 1, v10
	v_ashrrev_i32_e32 v23, 4, v11
	v_and_b32_e32 v24, 0x7070707, v11
	v_and_b32_e32 v29, 0x7070707, v25
	v_lshrrev_b32_e32 v25, 1, v25
	v_perm_b32 v31, s5, 0xfdfeff00, v26
	v_perm_b32 v26, s7, 0x3020100, v26
	v_and_or_b32 v10, v10, s10, 0x3020100
	v_perm_b32 v32, s5, 0xfdfeff00, v29
	v_perm_b32 v29, s7, 0x3020100, v29
	v_and_or_b32 v25, v25, s10, 0x3020100
	v_lshrrev_b32_e32 v11, 1, v11
	v_perm_b32 v10, v31, v26, v10
	v_and_b32_e32 v31, 0x7070707, v8
	v_ashrrev_i32_e32 v26, 4, v9
	v_perm_b32 v25, v32, v29, v25
	v_ashrrev_i32_e32 v29, 4, v8
	v_lshrrev_b32_e32 v8, 1, v8
	v_perm_b32 v34, s5, 0xfdfeff00, v31
	v_perm_b32 v31, s7, 0x3020100, v31
	v_and_b32_e32 v32, 0x7070707, v9
	v_and_b32_e32 v33, 0x7070707, v29
	v_lshrrev_b32_e32 v29, 1, v29
	v_and_or_b32 v8, v8, s10, 0x3020100
	v_lshrrev_b32_e32 v9, 1, v9
	v_perm_b32 v28, s5, 0xfdfeff00, v24
	v_perm_b32 v35, s5, 0xfdfeff00, v33
	;; [unrolled: 1-line block ×3, first 2 shown]
	v_and_or_b32 v29, v29, s10, 0x3020100
	v_perm_b32 v8, v34, v31, v8
	v_perm_b32 v24, s7, 0x3020100, v24
	v_and_or_b32 v11, v11, s10, 0x3020100
	s_wait_loadcnt 0x1
	v_dot4_i32_iu8 v1, v10, v1, 0 neg_lo:[1,1,0]
	v_and_b32_e32 v10, 0x7070707, v26
	v_lshrrev_b32_e32 v26, 1, v26
	v_perm_b32 v31, s5, 0xfdfeff00, v32
	v_perm_b32 v32, s7, 0x3020100, v32
	v_and_or_b32 v9, v9, s10, 0x3020100
	v_perm_b32 v29, v35, v33, v29
	s_wait_loadcnt 0x0
	v_dot4_i32_iu8 v5, v8, v5, 0 neg_lo:[1,1,0]
	v_perm_b32 v8, s5, 0xfdfeff00, v10
	v_perm_b32 v10, s7, 0x3020100, v10
	v_and_or_b32 v26, v26, s10, 0x3020100
	v_perm_b32 v9, v31, v32, v9
	v_dot4_i32_iu8 v5, v29, v7, v5 neg_lo:[1,1,0]
	v_perm_b32 v11, v28, v24, v11
	v_dot4_i32_iu8 v1, v25, v3, v1 neg_lo:[1,1,0]
	v_perm_b32 v3, v8, v10, v26
	v_add_nc_u32_e32 v17, 16, v17
	v_dot4_i32_iu8 v5, v9, v6, v5 neg_lo:[1,1,0]
	v_add_co_u32 v12, s2, 0x480, v12
	v_dot4_i32_iu8 v1, v11, v2, v1 neg_lo:[1,1,0]
	v_cvt_f32_f16_e32 v2, v4
	v_and_b32_e32 v27, 0x7070707, v23
	v_lshrrev_b32_e32 v23, 1, v23
	v_dot4_i32_iu8 v0, v3, v0, v5 neg_lo:[1,1,0]
	v_cmp_le_u32_e32 vcc_lo, s18, v17
	v_mul_f32_e32 v3, v21, v2
	v_mul_f32_e32 v2, v22, v2
	v_perm_b32 v30, s5, 0xfdfeff00, v27
	v_perm_b32 v27, s7, 0x3020100, v27
	v_and_or_b32 v7, v23, s10, 0x3020100
	v_cvt_f32_i32_e32 v0, v0
	s_wait_alu 0xf1ff
	v_add_co_ci_u32_e64 v13, null, 0, v13, s2
	s_or_b32 s3, vcc_lo, s3
	v_perm_b32 v6, v30, v27, v7
	v_fma_f32 v0, v3, v0, 0
	s_delay_alu instid0(VALU_DEP_2) | instskip(NEXT) | instid1(VALU_DEP_1)
	v_dot4_i32_iu8 v1, v6, v20, v1 neg_lo:[1,1,0]
	v_cvt_f32_i32_e32 v1, v1
	s_delay_alu instid0(VALU_DEP_1) | instskip(NEXT) | instid1(VALU_DEP_1)
	v_fmac_f32_e32 v0, v2, v1
	v_add_f32_e32 v16, v16, v0
	s_wait_alu 0xfffe
	s_and_not1_b32 exec_lo, exec_lo, s3
	s_cbranch_execz .LBB86_20
.LBB86_8:                               ; =>This Inner Loop Header: Depth=1
	v_add_nc_u32_e32 v0, s4, v17
	s_mov_b32 s2, 0
	s_mov_b32 s11, exec_lo
	s_delay_alu instid0(VALU_DEP_1) | instskip(NEXT) | instid1(VALU_DEP_1)
	v_mad_co_i64_i32 v[0:1], null, v0, 36, s[8:9]
	v_add_co_u32 v2, vcc_lo, v0, v18
	s_wait_alu 0xfffd
	s_delay_alu instid0(VALU_DEP_2)
	v_add_co_ci_u32_e64 v3, null, 0, v1, vcc_lo
	v_add_co_u32 v0, vcc_lo, v0, v19
	s_wait_alu 0xfffd
	v_add_co_ci_u32_e64 v1, null, 0, v1, vcc_lo
	s_clause 0x1
	global_load_u16 v22, v[2:3], off
	global_load_b128 v[8:11], v[0:1], off offset:4
	s_clause 0x2
	global_load_b32 v20, v[12:13], off offset:16
	global_load_b128 v[0:3], v[12:13], off
	global_load_b128 v[4:7], v[12:13], off offset:-16
	s_wait_loadcnt 0x4
	v_and_b32_e32 v21, 0xff, v22
	s_delay_alu instid0(VALU_DEP_1)
	v_cmpx_lt_i16_e32 0x7e, v21
	s_wait_alu 0xfffe
	s_xor_b32 s11, exec_lo, s11
	s_cbranch_execnz .LBB86_15
; %bb.9:                                ;   in Loop: Header=BB86_8 Depth=1
	s_wait_alu 0xfffe
	s_and_not1_saveexec_b32 s11, s11
	s_cbranch_execnz .LBB86_16
.LBB86_10:                              ;   in Loop: Header=BB86_8 Depth=1
	s_wait_alu 0xfffe
	s_or_b32 exec_lo, exec_lo, s11
	v_mov_b32_e32 v21, 0
	s_and_saveexec_b32 s11, s2
	s_cbranch_execz .LBB86_12
.LBB86_11:                              ;   in Loop: Header=BB86_8 Depth=1
	v_and_b32_e32 v21, 7, v22
	v_lshrrev_b16 v23, 3, v22
	s_delay_alu instid0(VALU_DEP_2) | instskip(NEXT) | instid1(VALU_DEP_2)
	v_cvt_f32_ubyte0_e32 v21, v21
	v_and_b32_e32 v23, 15, v23
	s_delay_alu instid0(VALU_DEP_2) | instskip(NEXT) | instid1(VALU_DEP_2)
	v_fma_f32 v24, 0x3e000000, v21, 1.0
	v_add_nc_u32_e32 v25, -7, v23
	v_cmp_eq_u32_e32 vcc_lo, 0, v23
	s_wait_alu 0xfffd
	s_delay_alu instid0(VALU_DEP_3) | instskip(NEXT) | instid1(VALU_DEP_3)
	v_cndmask_b32_e32 v21, v24, v21, vcc_lo
	v_cndmask_b32_e64 v23, v25, -9, vcc_lo
	s_delay_alu instid0(VALU_DEP_1) | instskip(NEXT) | instid1(VALU_DEP_1)
	v_ldexp_f32 v21, v21, v23
	v_mul_f32_e32 v21, 0.5, v21
.LBB86_12:                              ;   in Loop: Header=BB86_8 Depth=1
	s_wait_alu 0xfffe
	s_or_b32 exec_lo, exec_lo, s11
	v_lshrrev_b16 v23, 8, v22
	s_mov_b32 s2, 0
	s_mov_b32 s11, exec_lo
	s_delay_alu instid0(VALU_DEP_1)
	v_cmpx_lt_i16_e32 0x7e, v23
	s_wait_alu 0xfffe
	s_xor_b32 s11, exec_lo, s11
	s_cbranch_execnz .LBB86_17
; %bb.13:                               ;   in Loop: Header=BB86_8 Depth=1
	s_wait_alu 0xfffe
	s_and_not1_saveexec_b32 s11, s11
	s_cbranch_execnz .LBB86_18
.LBB86_14:                              ;   in Loop: Header=BB86_8 Depth=1
	s_wait_alu 0xfffe
	s_or_b32 exec_lo, exec_lo, s11
	v_mov_b32_e32 v22, 0
	s_and_saveexec_b32 s11, s2
	s_cbranch_execz .LBB86_7
	s_branch .LBB86_19
.LBB86_15:                              ;   in Loop: Header=BB86_8 Depth=1
	v_cmp_ne_u16_e32 vcc_lo, 0x7f, v21
                                        ; implicit-def: $vgpr21
	s_and_b32 s2, vcc_lo, exec_lo
	s_wait_alu 0xfffe
	s_and_not1_saveexec_b32 s11, s11
	s_cbranch_execz .LBB86_10
.LBB86_16:                              ;   in Loop: Header=BB86_8 Depth=1
	v_cmp_ne_u16_e32 vcc_lo, 0, v21
	s_and_not1_b32 s2, s2, exec_lo
	s_and_b32 s12, vcc_lo, exec_lo
	s_wait_alu 0xfffe
	s_or_b32 s2, s2, s12
	s_or_b32 exec_lo, exec_lo, s11
	v_mov_b32_e32 v21, 0
	s_wait_alu 0xfffe
	s_and_saveexec_b32 s11, s2
	s_cbranch_execnz .LBB86_11
	s_branch .LBB86_12
.LBB86_17:                              ;   in Loop: Header=BB86_8 Depth=1
	v_cmp_ne_u16_e32 vcc_lo, 0x7f, v23
	s_and_b32 s2, vcc_lo, exec_lo
	s_wait_alu 0xfffe
	s_and_not1_saveexec_b32 s11, s11
	s_cbranch_execz .LBB86_14
.LBB86_18:                              ;   in Loop: Header=BB86_8 Depth=1
	v_cmp_ne_u16_e32 vcc_lo, 0, v23
	s_and_not1_b32 s2, s2, exec_lo
	s_and_b32 s12, vcc_lo, exec_lo
	s_wait_alu 0xfffe
	s_or_b32 s2, s2, s12
	s_or_b32 exec_lo, exec_lo, s11
	v_mov_b32_e32 v22, 0
	s_wait_alu 0xfffe
	s_and_saveexec_b32 s11, s2
	s_cbranch_execz .LBB86_7
.LBB86_19:                              ;   in Loop: Header=BB86_8 Depth=1
	v_and_b32_e32 v22, 0xffff, v23
	s_delay_alu instid0(VALU_DEP_1) | instskip(SKIP_1) | instid1(VALU_DEP_2)
	v_and_b32_e32 v23, 7, v22
	v_bfe_u32 v22, v22, 3, 4
	v_cvt_f32_ubyte0_e32 v23, v23
	s_delay_alu instid0(VALU_DEP_2) | instskip(SKIP_1) | instid1(VALU_DEP_3)
	v_add_nc_u32_e32 v24, -7, v22
	v_cmp_eq_u32_e32 vcc_lo, 0, v22
	v_fma_f32 v25, 0x3e000000, v23, 1.0
	s_wait_alu 0xfffd
	s_delay_alu instid0(VALU_DEP_1) | instskip(SKIP_1) | instid1(VALU_DEP_1)
	v_cndmask_b32_e32 v22, v25, v23, vcc_lo
	v_cndmask_b32_e64 v23, v24, -9, vcc_lo
	v_ldexp_f32 v22, v22, v23
	s_delay_alu instid0(VALU_DEP_1)
	v_mul_f32_e32 v22, 0.5, v22
	s_branch .LBB86_7
.LBB86_20:
	s_or_b32 exec_lo, exec_lo, s3
.LBB86_21:
	s_delay_alu instid0(SALU_CYCLE_1)
	s_or_b32 exec_lo, exec_lo, s17
	; wave barrier
	global_inv scope:SCOPE_SE
	s_mov_b32 s2, exec_lo
	v_cmpx_eq_u32_e32 0, v15
	s_cbranch_execz .LBB86_24
; %bb.22:
	v_mbcnt_lo_u32_b32 v0, -1, 0
	s_delay_alu instid0(VALU_DEP_1) | instskip(SKIP_2) | instid1(VALU_DEP_3)
	v_xor_b32_e32 v1, 16, v0
	v_xor_b32_e32 v2, 8, v0
	;; [unrolled: 1-line block ×3, first 2 shown]
	v_cmp_gt_i32_e32 vcc_lo, 32, v1
	s_wait_alu 0xfffd
	v_cndmask_b32_e32 v1, v0, v1, vcc_lo
	v_cmp_gt_i32_e32 vcc_lo, 32, v2
	s_wait_alu 0xfffd
	v_cndmask_b32_e32 v2, v0, v2, vcc_lo
	v_cmp_gt_i32_e32 vcc_lo, 32, v3
	s_wait_alu 0xfffd
	v_cndmask_b32_e32 v3, v0, v3, vcc_lo
	s_delay_alu instid0(VALU_DEP_1)
	v_lshlrev_b32_e32 v3, 2, v3
	v_lshlrev_b32_e32 v2, 2, v2
	;; [unrolled: 1-line block ×3, first 2 shown]
	ds_bpermute_b32 v1, v1, v16
	s_wait_dscnt 0x0
	v_add_f32_e32 v1, v16, v1
	ds_bpermute_b32 v2, v2, v1
	s_wait_dscnt 0x0
	v_add_f32_e32 v1, v1, v2
	ds_bpermute_b32 v2, v3, v1
	v_xor_b32_e32 v3, 2, v0
	s_delay_alu instid0(VALU_DEP_1) | instskip(SKIP_2) | instid1(VALU_DEP_1)
	v_cmp_gt_i32_e32 vcc_lo, 32, v3
	s_wait_alu 0xfffd
	v_cndmask_b32_e32 v3, v0, v3, vcc_lo
	v_lshlrev_b32_e32 v3, 2, v3
	s_wait_dscnt 0x0
	v_add_f32_e32 v1, v1, v2
	ds_bpermute_b32 v2, v3, v1
	v_xor_b32_e32 v3, 1, v0
	s_delay_alu instid0(VALU_DEP_1) | instskip(SKIP_4) | instid1(VALU_DEP_2)
	v_cmp_gt_i32_e32 vcc_lo, 32, v3
	s_wait_alu 0xfffd
	v_cndmask_b32_e32 v0, v0, v3, vcc_lo
	v_cmp_eq_u32_e32 vcc_lo, 0, v14
	s_wait_dscnt 0x0
	v_dual_add_f32 v0, v1, v2 :: v_dual_lshlrev_b32 v3, 2, v0
	ds_bpermute_b32 v1, v3, v0
	s_and_b32 exec_lo, exec_lo, vcc_lo
	s_cbranch_execz .LBB86_24
; %bb.23:
	s_load_b64 s[0:1], s[0:1], 0x38
	s_wait_kmcnt 0x0
	s_mul_i32 s2, s6, s15
	s_mul_i32 s3, s14, s16
	s_wait_alu 0xfffe
	s_add_co_i32 s2, s2, ttmp9
	s_wait_dscnt 0x0
	v_dual_add_f32 v0, v0, v1 :: v_dual_mov_b32 v1, 0
	s_wait_alu 0xfffe
	s_add_co_i32 s2, s2, s3
	s_mov_b32 s3, 0
	s_wait_alu 0xfffe
	s_lshl_b64 s[2:3], s[2:3], 2
	s_wait_alu 0xfffe
	s_add_nc_u64 s[0:1], s[0:1], s[2:3]
	global_store_b32 v1, v0, s[0:1]
.LBB86_24:
	s_endpgm
.LBB86_25:
                                        ; implicit-def: $sgpr19
	s_clause 0x1
	s_load_b128 s[4:7], s[0:1], 0x68
	s_load_b32 s20, s[0:1], 0x50
	s_branch .LBB86_2
	.section	.rodata,"a",@progbits
	.p2align	6, 0x0
	.amdhsa_kernel _ZL13mul_mat_vec_qIL9ggml_type40ELi1ELb0ELb1EEvPKvS2_PKi31ggml_cuda_mm_fusion_args_devicePfj15HIP_vector_typeIjLj3EEjjjS8_jjjS8_jjjj
		.amdhsa_group_segment_fixed_size 0
		.amdhsa_private_segment_fixed_size 0
		.amdhsa_kernarg_size 144
		.amdhsa_user_sgpr_count 2
		.amdhsa_user_sgpr_dispatch_ptr 0
		.amdhsa_user_sgpr_queue_ptr 0
		.amdhsa_user_sgpr_kernarg_segment_ptr 1
		.amdhsa_user_sgpr_dispatch_id 0
		.amdhsa_user_sgpr_private_segment_size 0
		.amdhsa_wavefront_size32 1
		.amdhsa_uses_dynamic_stack 0
		.amdhsa_enable_private_segment 0
		.amdhsa_system_sgpr_workgroup_id_x 1
		.amdhsa_system_sgpr_workgroup_id_y 1
		.amdhsa_system_sgpr_workgroup_id_z 1
		.amdhsa_system_sgpr_workgroup_info 0
		.amdhsa_system_vgpr_workitem_id 1
		.amdhsa_next_free_vgpr 36
		.amdhsa_next_free_sgpr 22
		.amdhsa_reserve_vcc 1
		.amdhsa_float_round_mode_32 0
		.amdhsa_float_round_mode_16_64 0
		.amdhsa_float_denorm_mode_32 3
		.amdhsa_float_denorm_mode_16_64 3
		.amdhsa_fp16_overflow 0
		.amdhsa_workgroup_processor_mode 1
		.amdhsa_memory_ordered 1
		.amdhsa_forward_progress 1
		.amdhsa_inst_pref_size 17
		.amdhsa_round_robin_scheduling 0
		.amdhsa_exception_fp_ieee_invalid_op 0
		.amdhsa_exception_fp_denorm_src 0
		.amdhsa_exception_fp_ieee_div_zero 0
		.amdhsa_exception_fp_ieee_overflow 0
		.amdhsa_exception_fp_ieee_underflow 0
		.amdhsa_exception_fp_ieee_inexact 0
		.amdhsa_exception_int_div_zero 0
	.end_amdhsa_kernel
	.section	.text._ZL13mul_mat_vec_qIL9ggml_type40ELi1ELb0ELb1EEvPKvS2_PKi31ggml_cuda_mm_fusion_args_devicePfj15HIP_vector_typeIjLj3EEjjjS8_jjjS8_jjjj,"axG",@progbits,_ZL13mul_mat_vec_qIL9ggml_type40ELi1ELb0ELb1EEvPKvS2_PKi31ggml_cuda_mm_fusion_args_devicePfj15HIP_vector_typeIjLj3EEjjjS8_jjjS8_jjjj,comdat
.Lfunc_end86:
	.size	_ZL13mul_mat_vec_qIL9ggml_type40ELi1ELb0ELb1EEvPKvS2_PKi31ggml_cuda_mm_fusion_args_devicePfj15HIP_vector_typeIjLj3EEjjjS8_jjjS8_jjjj, .Lfunc_end86-_ZL13mul_mat_vec_qIL9ggml_type40ELi1ELb0ELb1EEvPKvS2_PKi31ggml_cuda_mm_fusion_args_devicePfj15HIP_vector_typeIjLj3EEjjjS8_jjjS8_jjjj
                                        ; -- End function
	.set _ZL13mul_mat_vec_qIL9ggml_type40ELi1ELb0ELb1EEvPKvS2_PKi31ggml_cuda_mm_fusion_args_devicePfj15HIP_vector_typeIjLj3EEjjjS8_jjjS8_jjjj.num_vgpr, 36
	.set _ZL13mul_mat_vec_qIL9ggml_type40ELi1ELb0ELb1EEvPKvS2_PKi31ggml_cuda_mm_fusion_args_devicePfj15HIP_vector_typeIjLj3EEjjjS8_jjjS8_jjjj.num_agpr, 0
	.set _ZL13mul_mat_vec_qIL9ggml_type40ELi1ELb0ELb1EEvPKvS2_PKi31ggml_cuda_mm_fusion_args_devicePfj15HIP_vector_typeIjLj3EEjjjS8_jjjS8_jjjj.numbered_sgpr, 22
	.set _ZL13mul_mat_vec_qIL9ggml_type40ELi1ELb0ELb1EEvPKvS2_PKi31ggml_cuda_mm_fusion_args_devicePfj15HIP_vector_typeIjLj3EEjjjS8_jjjS8_jjjj.num_named_barrier, 0
	.set _ZL13mul_mat_vec_qIL9ggml_type40ELi1ELb0ELb1EEvPKvS2_PKi31ggml_cuda_mm_fusion_args_devicePfj15HIP_vector_typeIjLj3EEjjjS8_jjjS8_jjjj.private_seg_size, 0
	.set _ZL13mul_mat_vec_qIL9ggml_type40ELi1ELb0ELb1EEvPKvS2_PKi31ggml_cuda_mm_fusion_args_devicePfj15HIP_vector_typeIjLj3EEjjjS8_jjjS8_jjjj.uses_vcc, 1
	.set _ZL13mul_mat_vec_qIL9ggml_type40ELi1ELb0ELb1EEvPKvS2_PKi31ggml_cuda_mm_fusion_args_devicePfj15HIP_vector_typeIjLj3EEjjjS8_jjjS8_jjjj.uses_flat_scratch, 0
	.set _ZL13mul_mat_vec_qIL9ggml_type40ELi1ELb0ELb1EEvPKvS2_PKi31ggml_cuda_mm_fusion_args_devicePfj15HIP_vector_typeIjLj3EEjjjS8_jjjS8_jjjj.has_dyn_sized_stack, 0
	.set _ZL13mul_mat_vec_qIL9ggml_type40ELi1ELb0ELb1EEvPKvS2_PKi31ggml_cuda_mm_fusion_args_devicePfj15HIP_vector_typeIjLj3EEjjjS8_jjjS8_jjjj.has_recursion, 0
	.set _ZL13mul_mat_vec_qIL9ggml_type40ELi1ELb0ELb1EEvPKvS2_PKi31ggml_cuda_mm_fusion_args_devicePfj15HIP_vector_typeIjLj3EEjjjS8_jjjS8_jjjj.has_indirect_call, 0
	.section	.AMDGPU.csdata,"",@progbits
; Kernel info:
; codeLenInByte = 2056
; TotalNumSgprs: 24
; NumVgprs: 36
; ScratchSize: 0
; MemoryBound: 0
; FloatMode: 240
; IeeeMode: 1
; LDSByteSize: 0 bytes/workgroup (compile time only)
; SGPRBlocks: 0
; VGPRBlocks: 4
; NumSGPRsForWavesPerEU: 24
; NumVGPRsForWavesPerEU: 36
; Occupancy: 16
; WaveLimiterHint : 0
; COMPUTE_PGM_RSRC2:SCRATCH_EN: 0
; COMPUTE_PGM_RSRC2:USER_SGPR: 2
; COMPUTE_PGM_RSRC2:TRAP_HANDLER: 0
; COMPUTE_PGM_RSRC2:TGID_X_EN: 1
; COMPUTE_PGM_RSRC2:TGID_Y_EN: 1
; COMPUTE_PGM_RSRC2:TGID_Z_EN: 1
; COMPUTE_PGM_RSRC2:TIDIG_COMP_CNT: 1
	.section	.text._ZL13mul_mat_vec_qIL9ggml_type40ELi1ELb1ELb0EEvPKvS2_PKi31ggml_cuda_mm_fusion_args_devicePfj15HIP_vector_typeIjLj3EEjjjS8_jjjS8_jjjj,"axG",@progbits,_ZL13mul_mat_vec_qIL9ggml_type40ELi1ELb1ELb0EEvPKvS2_PKi31ggml_cuda_mm_fusion_args_devicePfj15HIP_vector_typeIjLj3EEjjjS8_jjjS8_jjjj,comdat
	.globl	_ZL13mul_mat_vec_qIL9ggml_type40ELi1ELb1ELb0EEvPKvS2_PKi31ggml_cuda_mm_fusion_args_devicePfj15HIP_vector_typeIjLj3EEjjjS8_jjjS8_jjjj ; -- Begin function _ZL13mul_mat_vec_qIL9ggml_type40ELi1ELb1ELb0EEvPKvS2_PKi31ggml_cuda_mm_fusion_args_devicePfj15HIP_vector_typeIjLj3EEjjjS8_jjjS8_jjjj
	.p2align	8
	.type	_ZL13mul_mat_vec_qIL9ggml_type40ELi1ELb1ELb0EEvPKvS2_PKi31ggml_cuda_mm_fusion_args_devicePfj15HIP_vector_typeIjLj3EEjjjS8_jjjS8_jjjj,@function
_ZL13mul_mat_vec_qIL9ggml_type40ELi1ELb1ELb0EEvPKvS2_PKi31ggml_cuda_mm_fusion_args_devicePfj15HIP_vector_typeIjLj3EEjjjS8_jjjS8_jjjj: ; @_ZL13mul_mat_vec_qIL9ggml_type40ELi1ELb1ELb0EEvPKvS2_PKi31ggml_cuda_mm_fusion_args_devicePfj15HIP_vector_typeIjLj3EEjjjS8_jjjS8_jjjj
; %bb.0:
	s_clause 0x3
	s_load_b256 s[8:15], s[0:1], 0x0
	s_load_b128 s[16:19], s[0:1], 0x20
	s_load_b128 s[20:23], s[0:1], 0x40
	;; [unrolled: 1-line block ×3, first 2 shown]
	s_and_b32 s27, ttmp7, 0xffff
	s_wait_kmcnt 0x0
	s_cmp_lg_u64 s[12:13], 0
	s_cselect_b32 s2, -1, 0
	s_cmp_eq_u64 s[12:13], 0
	s_cbranch_scc1 .LBB87_48
; %bb.1:
	s_lshl_b32 s3, s27, 2
	s_load_b32 s28, s[12:13], s3 offset:0x0
	s_clause 0x1
	s_load_b32 s30, s[0:1], 0x50
	s_load_b32 s29, s[0:1], 0x78
	s_cbranch_execnz .LBB87_3
.LBB87_2:
	s_load_b64 s[12:13], s[0:1], 0x5c
	s_wait_kmcnt 0x0
	s_mul_hi_u32 s3, s12, s27
	s_delay_alu instid0(SALU_CYCLE_1) | instskip(NEXT) | instid1(SALU_CYCLE_1)
	s_add_co_i32 s3, s27, s3
	s_lshr_b32 s28, s3, s13
.LBB87_3:
	s_and_not1_b32 vcc_lo, exec_lo, s2
	s_mov_b32 s3, s27
	s_mov_b32 s31, s27
	s_cbranch_vccnz .LBB87_5
; %bb.4:
	s_mul_hi_u32 s2, s21, s27
	s_wait_kmcnt 0x0
	s_mov_b32 s3, s28
	s_add_co_i32 s2, s27, s2
	s_delay_alu instid0(SALU_CYCLE_1) | instskip(NEXT) | instid1(SALU_CYCLE_1)
	s_lshr_b32 s2, s2, s22
	s_mul_i32 s2, s2, s23
	s_delay_alu instid0(SALU_CYCLE_1)
	s_sub_co_i32 s31, s27, s2
.LBB87_5:
	s_load_b96 s[24:26], s[0:1], 0x80
	v_bfe_u32 v23, v0, 10, 10
	v_dual_mov_b32 v21, 0 :: v_dual_and_b32 v20, 0x3ff, v0
	s_lshr_b32 s21, ttmp7, 16
	s_cmp_lg_u64 s[14:15], 0
	v_mov_b32_e32 v22, 0
	s_delay_alu instid0(VALU_DEP_2) | instskip(SKIP_3) | instid1(VALU_DEP_1)
	v_or_b32_e32 v0, v20, v23
	s_cselect_b32 s2, -1, 0
	s_mov_b32 s23, 0
	s_mul_i32 s12, s3, s6
	v_cmp_eq_u32_e32 vcc_lo, 0, v0
	s_and_b32 s13, s2, vcc_lo
	s_delay_alu instid0(SALU_CYCLE_1)
	s_and_saveexec_b32 s3, s13
	s_cbranch_execz .LBB87_7
; %bb.6:
	s_wait_kmcnt 0x0
	s_mul_i32 s22, s26, s21
	s_mov_b32 s13, s23
	s_lshl_b64 s[22:23], s[22:23], 2
	s_mov_b32 s34, ttmp9
	s_lshl_b64 s[36:37], s[12:13], 2
	s_add_nc_u64 s[14:15], s[14:15], s[22:23]
	s_ashr_i32 s35, ttmp9, 31
	v_lshlrev_b32_e32 v0, 2, v20
	s_add_nc_u64 s[14:15], s[14:15], s[36:37]
	s_lshl_b64 s[22:23], s[34:35], 2
	s_delay_alu instid0(SALU_CYCLE_1)
	s_add_nc_u64 s[14:15], s[14:15], s[22:23]
	global_load_b32 v22, v0, s[14:15]
.LBB87_7:
	s_or_b32 exec_lo, exec_lo, s3
	s_cmp_lg_u64 s[16:17], 0
	s_cselect_b32 s14, -1, 0
	s_cmp_lg_u64 s[18:19], 0
	s_cselect_b32 s3, -1, 0
	s_delay_alu instid0(SALU_CYCLE_1) | instskip(NEXT) | instid1(SALU_CYCLE_1)
	s_and_b32 s13, s3, s14
	s_and_b32 s13, s13, vcc_lo
	s_delay_alu instid0(SALU_CYCLE_1)
	s_and_saveexec_b32 s15, s13
	s_cbranch_execz .LBB87_9
; %bb.8:
	s_wait_kmcnt 0x0
	s_mul_i32 s34, s26, s21
	s_mov_b32 s35, 0
	s_mov_b32 s22, ttmp9
	s_lshl_b64 s[36:37], s[34:35], 2
	s_mov_b32 s13, s35
	s_add_nc_u64 s[18:19], s[18:19], s[36:37]
	s_lshl_b64 s[12:13], s[12:13], 2
	s_ashr_i32 s23, ttmp9, 31
	v_lshlrev_b32_e32 v0, 2, v20
	s_add_nc_u64 s[12:13], s[18:19], s[12:13]
	s_lshl_b64 s[18:19], s[22:23], 2
	s_delay_alu instid0(SALU_CYCLE_1)
	s_add_nc_u64 s[12:13], s[12:13], s[18:19]
	global_load_b32 v21, v0, s[12:13]
.LBB87_9:
	s_or_b32 exec_lo, exec_lo, s15
	v_dual_mov_b32 v25, 0 :: v_dual_lshlrev_b32 v0, 5, v23
	v_cndmask_b32_e64 v24, 0, 1, s14
	s_lshr_b32 s15, s20, 6
	s_mov_b32 s18, exec_lo
	s_delay_alu instid0(VALU_DEP_2) | instskip(SKIP_1) | instid1(VALU_DEP_2)
	v_add_nc_u16 v1, v0, v20
	v_mov_b32_e32 v26, 0
	v_lshrrev_b16 v1, 1, v1
	s_delay_alu instid0(VALU_DEP_1) | instskip(SKIP_1) | instid1(VALU_DEP_1)
	v_and_b32_e32 v27, 0xffff, v1
	s_wait_alu 0xfffe
	v_cmpx_gt_u32_e64 s15, v27
	s_cbranch_execz .LBB87_39
; %bb.10:
	v_dual_mov_b32 v25, 0 :: v_dual_add_nc_u32 v0, v0, v20
	s_mul_i32 s12, s31, s5
	s_mov_b32 s13, 0
	s_mul_hi_u32 s5, s7, s21
	s_delay_alu instid0(VALU_DEP_1)
	v_lshrrev_b32_e32 v0, 1, v0
	s_mul_u64 s[22:23], s[12:13], 36
	s_wait_kmcnt 0x0
	s_mul_i32 s7, s25, s21
	v_dual_mov_b32 v26, 0 :: v_dual_and_b32 v3, 1, v20
	v_mad_co_u64_u32 v[0:1], null, 0x48, v0, s[22:23]
	v_lshlrev_b32_e32 v2, 2, v20
	s_add_co_i32 s5, s21, s5
	s_mul_i32 s30, s30, ttmp9
	s_lshr_b32 s5, s5, s29
	s_mul_i32 s4, s28, s4
	v_and_b32_e32 v2, 4, v2
	s_delay_alu instid0(VALU_DEP_3)
	v_mad_co_u64_u32 v[0:1], null, s7, 36, v[0:1]
	s_mul_i32 s5, s5, s24
	s_mov_b32 s7, 0xf4f8fafc
	v_lshrrev_b32_e32 v28, 1, v2
	v_lshlrev_b32_e32 v29, 2, v2
	s_add_co_i32 s5, s5, s30
	s_delay_alu instid0(SALU_CYCLE_1) | instskip(SKIP_2) | instid1(VALU_DEP_1)
	s_add_co_i32 s5, s4, s5
	v_mad_co_u64_u32 v[0:1], null, v3, 36, v[0:1]
	v_or_b32_e32 v3, 2, v2
	v_lshrrev_b32_e32 v30, 1, v3
	s_delay_alu instid0(VALU_DEP_3) | instskip(NEXT) | instid1(VALU_DEP_1)
	v_add_co_u32 v0, vcc_lo, s10, v0
	v_add_co_ci_u32_e64 v1, null, s11, v1, vcc_lo
	s_mov_b32 s10, 0xc080604
	v_add_co_u32 v12, vcc_lo, v0, 16
	s_wait_alu 0xfffd
	v_add_co_ci_u32_e64 v13, null, 0, v1, vcc_lo
	s_mov_b32 s11, 0x4040404
	s_branch .LBB87_13
.LBB87_11:                              ;   in Loop: Header=BB87_13 Depth=1
	s_or_b32 exec_lo, exec_lo, s12
	s_wait_loadcnt 0x0
	v_ashrrev_i32_e32 v36, 4, v16
	v_and_b32_e32 v38, 0x7070707, v16
	v_lshrrev_b32_e32 v16, 1, v16
	v_and_b32_e32 v45, 0x7070707, v14
	v_ashrrev_i32_e32 v43, 4, v15
	v_and_b32_e32 v46, 0x7070707, v15
	v_perm_b32 v42, s7, 0xfdfeff00, v38
	v_perm_b32 v38, s10, 0x3020100, v38
	v_and_or_b32 v16, v16, s11, 0x3020100
	v_perm_b32 v48, s7, 0xfdfeff00, v45
	v_perm_b32 v45, s10, 0x3020100, v45
	v_lshrrev_b32_e32 v15, 1, v15
	v_and_b32_e32 v41, 0x7070707, v36
	v_perm_b32 v16, v42, v38, v16
	v_ashrrev_i32_e32 v42, 4, v14
	v_lshrrev_b32_e32 v14, 1, v14
	v_lshrrev_b32_e32 v36, 1, v36
	v_and_b32_e32 v38, 0x7070707, v43
	v_lshrrev_b32_e32 v43, 1, v43
	v_and_b32_e32 v47, 0x7070707, v42
	v_lshrrev_b32_e32 v42, 1, v42
	v_and_or_b32 v14, v14, s11, 0x3020100
	v_and_or_b32 v15, v15, s11, 0x3020100
	v_ashrrev_i32_e32 v19, 4, v17
	v_perm_b32 v49, s7, 0xfdfeff00, v47
	v_perm_b32 v47, s10, 0x3020100, v47
	v_and_or_b32 v42, v42, s11, 0x3020100
	v_perm_b32 v14, v48, v45, v14
	v_perm_b32 v45, s7, 0xfdfeff00, v46
	v_perm_b32 v46, s10, 0x3020100, v46
	v_and_b32_e32 v35, 0x7070707, v17
	v_perm_b32 v42, v49, v47, v42
	v_dot4_i32_iu8 v14, v14, v5, 0 neg_lo:[1,1,0]
	v_lshrrev_b32_e32 v17, 1, v17
	v_perm_b32 v44, s7, 0xfdfeff00, v41
	v_perm_b32 v41, s10, 0x3020100, v41
	v_and_or_b32 v36, v36, s11, 0x3020100
	v_perm_b32 v47, s7, 0xfdfeff00, v38
	v_perm_b32 v38, s10, 0x3020100, v38
	v_and_or_b32 v43, v43, s11, 0x3020100
	v_perm_b32 v15, v45, v46, v15
	v_dot4_i32_iu8 v14, v42, v7, v14 neg_lo:[1,1,0]
	v_perm_b32 v39, s7, 0xfdfeff00, v35
	v_perm_b32 v35, s10, 0x3020100, v35
	v_and_or_b32 v17, v17, s11, 0x3020100
	v_perm_b32 v36, v44, v41, v36
	v_dot4_i32_iu8 v16, v16, v1, 0 neg_lo:[1,1,0]
	v_perm_b32 v38, v47, v38, v43
	v_dot4_i32_iu8 v14, v15, v6, v14 neg_lo:[1,1,0]
	v_perm_b32 v15, v39, v35, v17
	v_and_b32_e32 v37, 0x7070707, v19
	v_dot4_i32_iu8 v16, v36, v3, v16 neg_lo:[1,1,0]
	v_lshrrev_b32_e32 v19, 1, v19
	v_dot4_i32_iu8 v14, v38, v0, v14 neg_lo:[1,1,0]
	s_delay_alu instid0(VALU_DEP_3) | instskip(SKIP_1) | instid1(VALU_DEP_3)
	v_dot4_i32_iu8 v15, v15, v2, v16 neg_lo:[1,1,0]
	v_mul_f32_e32 v16, v34, v4
	v_cvt_f32_i32_e32 v14, v14
	v_and_or_b32 v19, v19, s11, 0x3020100
	s_delay_alu instid0(VALU_DEP_2) | instskip(SKIP_3) | instid1(VALU_DEP_1)
	v_fma_f32 v14, v16, v14, 0
	v_mul_f32_e32 v16, v18, v4
	v_perm_b32 v40, s7, 0xfdfeff00, v37
	v_perm_b32 v37, s10, 0x3020100, v37
	;; [unrolled: 1-line block ×3, first 2 shown]
	s_delay_alu instid0(VALU_DEP_1) | instskip(NEXT) | instid1(VALU_DEP_1)
	v_dot4_i32_iu8 v15, v17, v31, v15 neg_lo:[1,1,0]
	v_cvt_f32_i32_e32 v15, v15
	s_delay_alu instid0(VALU_DEP_1) | instskip(NEXT) | instid1(VALU_DEP_1)
	v_fmac_f32_e32 v14, v16, v15
	v_add_f32_e32 v25, v25, v14
.LBB87_12:                              ;   in Loop: Header=BB87_13 Depth=1
	v_ashrrev_i32_e32 v16, 4, v10
	v_and_b32_e32 v17, 0x7070707, v10
	v_lshrrev_b32_e32 v10, 1, v10
	v_ashrrev_i32_e32 v14, 4, v11
	v_and_b32_e32 v15, 0x7070707, v11
	v_and_b32_e32 v34, 0x7070707, v16
	v_lshrrev_b32_e32 v16, 1, v16
	v_perm_b32 v36, s7, 0xfdfeff00, v17
	v_perm_b32 v17, s10, 0x3020100, v17
	v_and_or_b32 v10, v10, s11, 0x3020100
	v_perm_b32 v37, s7, 0xfdfeff00, v34
	v_perm_b32 v34, s10, 0x3020100, v34
	v_and_or_b32 v16, v16, s11, 0x3020100
	v_lshrrev_b32_e32 v11, 1, v11
	v_perm_b32 v10, v36, v17, v10
	v_and_b32_e32 v36, 0x7070707, v8
	v_ashrrev_i32_e32 v17, 4, v9
	v_perm_b32 v16, v37, v34, v16
	v_ashrrev_i32_e32 v34, 4, v8
	v_lshrrev_b32_e32 v8, 1, v8
	v_perm_b32 v39, s7, 0xfdfeff00, v36
	v_perm_b32 v36, s10, 0x3020100, v36
	v_and_b32_e32 v37, 0x7070707, v9
	v_and_b32_e32 v38, 0x7070707, v34
	v_lshrrev_b32_e32 v34, 1, v34
	v_and_or_b32 v8, v8, s11, 0x3020100
	v_lshrrev_b32_e32 v9, 1, v9
	v_dot4_i32_iu8 v1, v10, v1, 0 neg_lo:[1,1,0]
	v_perm_b32 v40, s7, 0xfdfeff00, v38
	v_perm_b32 v38, s10, 0x3020100, v38
	v_and_or_b32 v34, v34, s11, 0x3020100
	v_perm_b32 v8, v39, v36, v8
	v_and_b32_e32 v10, 0x7070707, v17
	v_lshrrev_b32_e32 v17, 1, v17
	v_perm_b32 v36, s7, 0xfdfeff00, v37
	v_perm_b32 v37, s10, 0x3020100, v37
	v_and_or_b32 v9, v9, s11, 0x3020100
	v_perm_b32 v34, v40, v38, v34
	v_dot4_i32_iu8 v5, v8, v5, 0 neg_lo:[1,1,0]
	v_and_b32_e32 v18, 0x7070707, v14
	v_lshrrev_b32_e32 v14, 1, v14
	v_perm_b32 v19, s7, 0xfdfeff00, v15
	v_perm_b32 v15, s10, 0x3020100, v15
	v_and_or_b32 v11, v11, s11, 0x3020100
	v_perm_b32 v8, s7, 0xfdfeff00, v10
	v_perm_b32 v10, s10, 0x3020100, v10
	v_and_or_b32 v17, v17, s11, 0x3020100
	v_perm_b32 v9, v36, v37, v9
	v_dot4_i32_iu8 v5, v34, v7, v5 neg_lo:[1,1,0]
	v_perm_b32 v35, s7, 0xfdfeff00, v18
	v_perm_b32 v18, s10, 0x3020100, v18
	v_and_or_b32 v7, v14, s11, 0x3020100
	v_perm_b32 v11, v19, v15, v11
	v_dot4_i32_iu8 v1, v16, v3, v1 neg_lo:[1,1,0]
	v_perm_b32 v3, v8, v10, v17
	v_dot4_i32_iu8 v5, v9, v6, v5 neg_lo:[1,1,0]
	v_perm_b32 v6, v35, v18, v7
	v_add_co_u32 v12, s4, 0x480, v12
	v_dot4_i32_iu8 v1, v11, v2, v1 neg_lo:[1,1,0]
	s_delay_alu instid0(VALU_DEP_4)
	v_dot4_i32_iu8 v0, v3, v0, v5 neg_lo:[1,1,0]
	v_dual_mul_f32 v2, v32, v4 :: v_dual_add_nc_u32 v27, 16, v27
	s_wait_alu 0xf1ff
	v_add_co_ci_u32_e64 v13, null, 0, v13, s4
	v_dot4_i32_iu8 v1, v6, v31, v1 neg_lo:[1,1,0]
	v_cvt_f32_i32_e32 v0, v0
	v_cmp_le_u32_e32 vcc_lo, s15, v27
	s_delay_alu instid0(VALU_DEP_3) | instskip(NEXT) | instid1(VALU_DEP_3)
	v_cvt_f32_i32_e32 v1, v1
	v_fma_f32 v0, v2, v0, 0
	v_mul_f32_e32 v2, v33, v4
	s_or_b32 s13, vcc_lo, s13
	s_delay_alu instid0(VALU_DEP_1) | instskip(NEXT) | instid1(VALU_DEP_1)
	v_fmac_f32_e32 v0, v2, v1
	v_add_f32_e32 v26, v26, v0
	s_and_not1_b32 exec_lo, exec_lo, s13
	s_cbranch_execz .LBB87_38
.LBB87_13:                              ; =>This Inner Loop Header: Depth=1
	v_add_nc_u32_e32 v14, s5, v27
	s_mov_b32 s4, 0
	s_mov_b32 s12, exec_lo
	s_delay_alu instid0(VALU_DEP_1) | instskip(NEXT) | instid1(VALU_DEP_1)
	v_mad_co_i64_i32 v[0:1], null, v14, 36, s[8:9]
	v_add_co_u32 v2, vcc_lo, v0, v28
	s_wait_alu 0xfffd
	s_delay_alu instid0(VALU_DEP_2)
	v_add_co_ci_u32_e64 v3, null, 0, v1, vcc_lo
	v_add_co_u32 v0, vcc_lo, v0, v29
	s_wait_alu 0xfffd
	v_add_co_ci_u32_e64 v1, null, 0, v1, vcc_lo
	s_clause 0x1
	global_load_u16 v15, v[2:3], off
	global_load_b128 v[8:11], v[0:1], off offset:4
	s_clause 0x2
	global_load_b32 v31, v[12:13], off offset:16
	global_load_b128 v[0:3], v[12:13], off
	global_load_b128 v[4:7], v[12:13], off offset:-16
	s_wait_loadcnt 0x4
	v_and_b32_e32 v16, 0xff, v15
	s_delay_alu instid0(VALU_DEP_1)
	v_cmpx_lt_i16_e32 0x7e, v16
	s_xor_b32 s12, exec_lo, s12
	s_cbranch_execnz .LBB87_21
; %bb.14:                               ;   in Loop: Header=BB87_13 Depth=1
	s_and_not1_saveexec_b32 s12, s12
	s_cbranch_execnz .LBB87_22
.LBB87_15:                              ;   in Loop: Header=BB87_13 Depth=1
	s_or_b32 exec_lo, exec_lo, s12
	v_mov_b32_e32 v32, 0
	s_wait_alu 0xfffe
	s_and_saveexec_b32 s12, s4
	s_cbranch_execz .LBB87_17
.LBB87_16:                              ;   in Loop: Header=BB87_13 Depth=1
	v_and_b32_e32 v16, 7, v15
	v_lshrrev_b16 v17, 3, v15
	s_delay_alu instid0(VALU_DEP_2) | instskip(NEXT) | instid1(VALU_DEP_1)
	v_cvt_f32_ubyte0_e32 v16, v16
	v_fma_f32 v18, 0x3e000000, v16, 1.0
	s_delay_alu instid0(VALU_DEP_3) | instskip(NEXT) | instid1(VALU_DEP_1)
	v_and_b32_e32 v17, 15, v17
	v_cmp_eq_u32_e32 vcc_lo, 0, v17
	s_wait_alu 0xfffd
	s_delay_alu instid0(VALU_DEP_3) | instskip(NEXT) | instid1(VALU_DEP_1)
	v_dual_cndmask_b32 v16, v18, v16 :: v_dual_add_nc_u32 v19, -7, v17
	v_cndmask_b32_e64 v17, v19, -9, vcc_lo
	s_delay_alu instid0(VALU_DEP_1) | instskip(NEXT) | instid1(VALU_DEP_1)
	v_ldexp_f32 v16, v16, v17
	v_mul_f32_e32 v32, 0.5, v16
.LBB87_17:                              ;   in Loop: Header=BB87_13 Depth=1
	s_or_b32 exec_lo, exec_lo, s12
	v_lshrrev_b16 v15, 8, v15
	s_mov_b32 s4, 0
	s_mov_b32 s12, exec_lo
	s_delay_alu instid0(VALU_DEP_1)
	v_cmpx_lt_i16_e32 0x7e, v15
	s_xor_b32 s12, exec_lo, s12
	s_cbranch_execnz .LBB87_23
; %bb.18:                               ;   in Loop: Header=BB87_13 Depth=1
	s_and_not1_saveexec_b32 s12, s12
	s_cbranch_execnz .LBB87_24
.LBB87_19:                              ;   in Loop: Header=BB87_13 Depth=1
	s_or_b32 exec_lo, exec_lo, s12
	v_mov_b32_e32 v33, 0
	s_wait_alu 0xfffe
	s_and_saveexec_b32 s12, s4
	s_cbranch_execnz .LBB87_25
.LBB87_20:                              ;   in Loop: Header=BB87_13 Depth=1
	s_or_b32 exec_lo, exec_lo, s12
	s_wait_loadcnt 0x0
	v_cvt_f32_f16_e32 v4, v4
	s_and_not1_b32 vcc_lo, exec_lo, s14
	s_wait_alu 0xfffe
	s_cbranch_vccz .LBB87_26
	s_branch .LBB87_12
.LBB87_21:                              ;   in Loop: Header=BB87_13 Depth=1
	v_cmp_ne_u16_e32 vcc_lo, 0x7f, v16
                                        ; implicit-def: $vgpr16
	s_and_b32 s4, vcc_lo, exec_lo
	s_and_not1_saveexec_b32 s12, s12
	s_cbranch_execz .LBB87_15
.LBB87_22:                              ;   in Loop: Header=BB87_13 Depth=1
	v_cmp_ne_u16_e32 vcc_lo, 0, v16
	s_wait_alu 0xfffe
	s_and_not1_b32 s4, s4, exec_lo
	s_and_b32 s19, vcc_lo, exec_lo
	s_wait_alu 0xfffe
	s_or_b32 s4, s4, s19
	s_or_b32 exec_lo, exec_lo, s12
	v_mov_b32_e32 v32, 0
	s_wait_alu 0xfffe
	s_and_saveexec_b32 s12, s4
	s_cbranch_execnz .LBB87_16
	s_branch .LBB87_17
.LBB87_23:                              ;   in Loop: Header=BB87_13 Depth=1
	v_cmp_ne_u16_e32 vcc_lo, 0x7f, v15
	s_and_b32 s4, vcc_lo, exec_lo
	s_and_not1_saveexec_b32 s12, s12
	s_cbranch_execz .LBB87_19
.LBB87_24:                              ;   in Loop: Header=BB87_13 Depth=1
	v_cmp_ne_u16_e32 vcc_lo, 0, v15
	s_wait_alu 0xfffe
	s_and_not1_b32 s4, s4, exec_lo
	s_and_b32 s19, vcc_lo, exec_lo
	s_wait_alu 0xfffe
	s_or_b32 s4, s4, s19
	s_or_b32 exec_lo, exec_lo, s12
	v_mov_b32_e32 v33, 0
	s_wait_alu 0xfffe
	s_and_saveexec_b32 s12, s4
	s_cbranch_execz .LBB87_20
.LBB87_25:                              ;   in Loop: Header=BB87_13 Depth=1
	v_and_b32_e32 v15, 0xffff, v15
	s_delay_alu instid0(VALU_DEP_1) | instskip(SKIP_1) | instid1(VALU_DEP_2)
	v_and_b32_e32 v16, 7, v15
	v_bfe_u32 v15, v15, 3, 4
	v_cvt_f32_ubyte0_e32 v16, v16
	s_delay_alu instid0(VALU_DEP_2) | instskip(SKIP_1) | instid1(VALU_DEP_3)
	v_add_nc_u32_e32 v17, -7, v15
	v_cmp_eq_u32_e32 vcc_lo, 0, v15
	v_fma_f32 v18, 0x3e000000, v16, 1.0
	s_wait_alu 0xfffd
	s_delay_alu instid0(VALU_DEP_1) | instskip(SKIP_1) | instid1(VALU_DEP_1)
	v_cndmask_b32_e32 v15, v18, v16, vcc_lo
	v_cndmask_b32_e64 v16, v17, -9, vcc_lo
	v_ldexp_f32 v15, v15, v16
	s_delay_alu instid0(VALU_DEP_1)
	v_mul_f32_e32 v33, 0.5, v15
	s_or_b32 exec_lo, exec_lo, s12
	s_wait_loadcnt 0x0
	v_cvt_f32_f16_e32 v4, v4
	s_and_not1_b32 vcc_lo, exec_lo, s14
	s_wait_alu 0xfffe
	s_cbranch_vccnz .LBB87_12
.LBB87_26:                              ;   in Loop: Header=BB87_13 Depth=1
	v_mad_co_i64_i32 v[16:17], null, v14, 36, s[16:17]
	s_mov_b32 s4, 0
	s_mov_b32 s12, exec_lo
	v_add_co_u32 v14, vcc_lo, v16, v28
	s_wait_alu 0xfffd
	v_add_co_ci_u32_e64 v15, null, 0, v17, vcc_lo
	v_add_co_u32 v18, vcc_lo, v16, v29
	s_wait_alu 0xfffd
	v_add_co_ci_u32_e64 v19, null, 0, v17, vcc_lo
	s_clause 0x1
	global_load_u8 v35, v[14:15], off
	global_load_b64 v[14:15], v[18:19], off offset:4
	s_wait_loadcnt 0x1
	v_cmpx_lt_i16_e32 0x7e, v35
	s_xor_b32 s12, exec_lo, s12
	s_cbranch_execnz .LBB87_33
; %bb.27:                               ;   in Loop: Header=BB87_13 Depth=1
	s_and_not1_saveexec_b32 s12, s12
	s_cbranch_execnz .LBB87_34
.LBB87_28:                              ;   in Loop: Header=BB87_13 Depth=1
	s_or_b32 exec_lo, exec_lo, s12
	v_mov_b32_e32 v34, 0
	s_wait_alu 0xfffe
	s_and_saveexec_b32 s12, s4
	s_cbranch_execz .LBB87_30
.LBB87_29:                              ;   in Loop: Header=BB87_13 Depth=1
	v_and_b32_e32 v34, 0xffff, v35
	s_delay_alu instid0(VALU_DEP_1) | instskip(SKIP_1) | instid1(VALU_DEP_2)
	v_and_b32_e32 v35, 7, v34
	v_bfe_u32 v34, v34, 3, 4
	v_cvt_f32_ubyte0_e32 v35, v35
	s_delay_alu instid0(VALU_DEP_2) | instskip(SKIP_1) | instid1(VALU_DEP_3)
	v_add_nc_u32_e32 v36, -7, v34
	v_cmp_eq_u32_e32 vcc_lo, 0, v34
	v_fma_f32 v37, 0x3e000000, v35, 1.0
	s_wait_alu 0xfffd
	s_delay_alu instid0(VALU_DEP_1) | instskip(SKIP_1) | instid1(VALU_DEP_1)
	v_cndmask_b32_e32 v34, v37, v35, vcc_lo
	v_cndmask_b32_e64 v35, v36, -9, vcc_lo
	v_ldexp_f32 v34, v34, v35
	s_delay_alu instid0(VALU_DEP_1)
	v_mul_f32_e32 v34, 0.5, v34
.LBB87_30:                              ;   in Loop: Header=BB87_13 Depth=1
	s_or_b32 exec_lo, exec_lo, s12
	v_add_co_u32 v16, vcc_lo, v16, v30
	s_wait_alu 0xfffd
	v_add_co_ci_u32_e64 v17, null, 0, v17, vcc_lo
	s_mov_b32 s4, 0
	s_mov_b32 s12, exec_lo
	s_clause 0x1
	global_load_u8 v35, v[16:17], off
	global_load_b64 v[16:17], v[18:19], off offset:12
	s_wait_loadcnt 0x1
	v_cmpx_lt_i16_e32 0x7e, v35
	s_xor_b32 s12, exec_lo, s12
	s_cbranch_execnz .LBB87_35
; %bb.31:                               ;   in Loop: Header=BB87_13 Depth=1
	s_and_not1_saveexec_b32 s12, s12
	s_cbranch_execnz .LBB87_36
.LBB87_32:                              ;   in Loop: Header=BB87_13 Depth=1
	s_or_b32 exec_lo, exec_lo, s12
	v_mov_b32_e32 v18, 0
	s_wait_alu 0xfffe
	s_and_saveexec_b32 s12, s4
	s_cbranch_execz .LBB87_11
	s_branch .LBB87_37
.LBB87_33:                              ;   in Loop: Header=BB87_13 Depth=1
	v_cmp_ne_u16_e32 vcc_lo, 0x7f, v35
	s_and_b32 s4, vcc_lo, exec_lo
	s_and_not1_saveexec_b32 s12, s12
	s_cbranch_execz .LBB87_28
.LBB87_34:                              ;   in Loop: Header=BB87_13 Depth=1
	v_cmp_ne_u16_e32 vcc_lo, 0, v35
	s_wait_alu 0xfffe
	s_and_not1_b32 s4, s4, exec_lo
	s_and_b32 s19, vcc_lo, exec_lo
	s_wait_alu 0xfffe
	s_or_b32 s4, s4, s19
	s_or_b32 exec_lo, exec_lo, s12
	v_mov_b32_e32 v34, 0
	s_wait_alu 0xfffe
	s_and_saveexec_b32 s12, s4
	s_cbranch_execnz .LBB87_29
	s_branch .LBB87_30
.LBB87_35:                              ;   in Loop: Header=BB87_13 Depth=1
	v_cmp_ne_u16_e32 vcc_lo, 0x7f, v35
	s_and_b32 s4, vcc_lo, exec_lo
	s_and_not1_saveexec_b32 s12, s12
	s_cbranch_execz .LBB87_32
.LBB87_36:                              ;   in Loop: Header=BB87_13 Depth=1
	v_cmp_ne_u16_e32 vcc_lo, 0, v35
	s_wait_alu 0xfffe
	s_and_not1_b32 s4, s4, exec_lo
	s_and_b32 s19, vcc_lo, exec_lo
	s_wait_alu 0xfffe
	s_or_b32 s4, s4, s19
	s_or_b32 exec_lo, exec_lo, s12
	v_mov_b32_e32 v18, 0
	s_wait_alu 0xfffe
	s_and_saveexec_b32 s12, s4
	s_cbranch_execz .LBB87_11
.LBB87_37:                              ;   in Loop: Header=BB87_13 Depth=1
	v_and_b32_e32 v18, 0xffff, v35
	s_delay_alu instid0(VALU_DEP_1) | instskip(SKIP_1) | instid1(VALU_DEP_2)
	v_and_b32_e32 v19, 7, v18
	v_bfe_u32 v18, v18, 3, 4
	v_cvt_f32_ubyte0_e32 v19, v19
	s_delay_alu instid0(VALU_DEP_2) | instskip(NEXT) | instid1(VALU_DEP_2)
	v_cmp_eq_u32_e32 vcc_lo, 0, v18
	v_fma_f32 v36, 0x3e000000, v19, 1.0
	s_wait_alu 0xfffd
	s_delay_alu instid0(VALU_DEP_1) | instskip(NEXT) | instid1(VALU_DEP_1)
	v_dual_cndmask_b32 v18, v36, v19 :: v_dual_add_nc_u32 v35, -7, v18
	v_cndmask_b32_e64 v19, v35, -9, vcc_lo
	s_delay_alu instid0(VALU_DEP_1) | instskip(NEXT) | instid1(VALU_DEP_1)
	v_ldexp_f32 v18, v18, v19
	v_mul_f32_e32 v18, 0.5, v18
	s_branch .LBB87_11
.LBB87_38:
	s_or_b32 exec_lo, exec_lo, s13
.LBB87_39:
	s_delay_alu instid0(SALU_CYCLE_1)
	s_or_b32 exec_lo, exec_lo, s18
	s_load_b32 s4, s[0:1], 0x30
	s_wait_loadcnt 0x0
	; wave barrier
	global_inv scope:SCOPE_SE
	s_mov_b32 s5, exec_lo
	v_cmpx_eq_u32_e32 0, v23
	s_cbranch_execz .LBB87_67
; %bb.40:
	v_mbcnt_lo_u32_b32 v1, -1, 0
	s_delay_alu instid0(VALU_DEP_1) | instskip(SKIP_2) | instid1(VALU_DEP_3)
	v_xor_b32_e32 v0, 16, v1
	v_xor_b32_e32 v3, 8, v1
	;; [unrolled: 1-line block ×3, first 2 shown]
	v_cmp_gt_i32_e32 vcc_lo, 32, v0
	s_wait_alu 0xfffd
	v_cndmask_b32_e32 v0, v1, v0, vcc_lo
	v_cmp_gt_i32_e32 vcc_lo, 32, v3
	s_wait_alu 0xfffd
	v_cndmask_b32_e32 v3, v1, v3, vcc_lo
	v_cmp_gt_i32_e32 vcc_lo, 32, v4
	s_delay_alu instid0(VALU_DEP_2)
	v_lshlrev_b32_e32 v3, 2, v3
	v_lshlrev_b32_e32 v0, 2, v0
	s_wait_alu 0xfffd
	v_cndmask_b32_e32 v4, v1, v4, vcc_lo
	ds_bpermute_b32 v2, v0, v26
	s_wait_dscnt 0x0
	v_add_f32_e32 v2, v26, v2
	ds_bpermute_b32 v5, v3, v2
	s_wait_dscnt 0x0
	v_add_f32_e32 v2, v2, v5
	v_xor_b32_e32 v5, 2, v1
	s_delay_alu instid0(VALU_DEP_1) | instskip(SKIP_2) | instid1(VALU_DEP_1)
	v_cmp_gt_i32_e32 vcc_lo, 32, v5
	s_wait_alu 0xfffd
	v_cndmask_b32_e32 v5, v1, v5, vcc_lo
	v_lshlrev_b32_e32 v5, 2, v5
	v_lshlrev_b32_e32 v4, 2, v4
	ds_bpermute_b32 v6, v4, v2
	s_wait_dscnt 0x0
	v_add_f32_e32 v2, v2, v6
	v_xor_b32_e32 v6, 1, v1
	ds_bpermute_b32 v7, v5, v2
	v_cmp_gt_i32_e32 vcc_lo, 32, v6
	s_wait_alu 0xfffd
	v_cndmask_b32_e32 v1, v1, v6, vcc_lo
	v_cmp_ne_u32_e32 vcc_lo, 1, v24
	s_delay_alu instid0(VALU_DEP_2)
	v_lshlrev_b32_e32 v6, 2, v1
	s_wait_dscnt 0x0
	v_add_f32_e32 v1, v2, v7
	ds_bpermute_b32 v2, v6, v1
	s_cbranch_vccnz .LBB87_42
; %bb.41:
	ds_bpermute_b32 v0, v0, v25
	s_wait_dscnt 0x0
	v_add_f32_e32 v0, v25, v0
	ds_bpermute_b32 v3, v3, v0
	s_wait_dscnt 0x0
	v_add_f32_e32 v0, v0, v3
	;; [unrolled: 3-line block ×5, first 2 shown]
.LBB87_42:
	v_cmp_eq_u32_e32 vcc_lo, 0, v20
	s_and_b32 exec_lo, exec_lo, vcc_lo
	s_cbranch_execz .LBB87_67
; %bb.43:
	s_wait_dscnt 0x0
	v_add_f32_e32 v0, v1, v2
	v_cmp_ne_u32_e32 vcc_lo, 1, v24
	s_delay_alu instid0(VALU_DEP_2) | instskip(NEXT) | instid1(VALU_DEP_1)
	v_add_f32_e32 v1, v22, v0
	v_cndmask_b32_e64 v0, v0, v1, s2
	s_cbranch_vccnz .LBB87_66
; %bb.44:
	v_add_f32_e32 v1, v21, v25
	s_wait_kmcnt 0x0
	s_cmp_lt_i32 s4, 2
	s_mov_b32 s2, 0
	s_delay_alu instid0(VALU_DEP_1)
	v_cndmask_b32_e64 v1, v25, v1, s3
	s_cbranch_scc1 .LBB87_49
; %bb.45:
	s_cmp_gt_i32 s4, 2
	s_cbranch_scc0 .LBB87_50
; %bb.46:
	s_cmp_eq_u32 s4, 3
	s_cbranch_scc0 .LBB87_51
; %bb.47:
	v_max_num_f32_e32 v2, v1, v1
	s_mov_b32 s3, 0xc0e00000
	s_delay_alu instid0(VALU_DEP_1) | instskip(NEXT) | instid1(VALU_DEP_1)
	v_min_num_f32_e32 v2, 0x40e00000, v2
	v_mul_f32_e32 v3, 0xbfd9db23, v2
	s_delay_alu instid0(VALU_DEP_1) | instskip(NEXT) | instid1(VALU_DEP_1)
	v_mul_f32_e32 v4, 0x3fb8aa3b, v3
	v_fma_f32 v5, 0x3fb8aa3b, v3, -v4
	v_rndne_f32_e32 v6, v4
	s_delay_alu instid0(VALU_DEP_1) | instskip(NEXT) | instid1(VALU_DEP_1)
	v_dual_fmamk_f32 v5, v3, 0x32a5705f, v5 :: v_dual_sub_f32 v4, v4, v6
	v_add_f32_e32 v4, v4, v5
	v_cvt_i32_f32_e32 v5, v6
	v_cmp_ngt_f32_e32 vcc_lo, 0xc2ce8ed0, v3
	s_delay_alu instid0(VALU_DEP_3) | instskip(NEXT) | instid1(TRANS32_DEP_1)
	v_exp_f32_e32 v4, v4
	v_ldexp_f32 v4, v4, v5
	s_wait_alu 0xfffd
	s_delay_alu instid0(VALU_DEP_1) | instskip(SKIP_2) | instid1(VALU_DEP_2)
	v_cndmask_b32_e32 v4, 0, v4, vcc_lo
	v_cmp_nlt_f32_e32 vcc_lo, 0x42b17218, v3
	s_wait_alu 0xfffd
	v_cndmask_b32_e32 v3, 0x7f800000, v4, vcc_lo
	s_delay_alu instid0(VALU_DEP_1) | instskip(NEXT) | instid1(VALU_DEP_1)
	v_add_f32_e32 v3, 1.0, v3
	v_div_scale_f32 v4, null, v3, v3, v2
	v_div_scale_f32 v7, vcc_lo, v2, v3, v2
	s_delay_alu instid0(VALU_DEP_2) | instskip(NEXT) | instid1(TRANS32_DEP_1)
	v_rcp_f32_e32 v5, v4
	v_fma_f32 v6, -v4, v5, 1.0
	s_delay_alu instid0(VALU_DEP_1) | instskip(NEXT) | instid1(VALU_DEP_1)
	v_fmac_f32_e32 v5, v6, v5
	v_mul_f32_e32 v6, v7, v5
	s_delay_alu instid0(VALU_DEP_1) | instskip(NEXT) | instid1(VALU_DEP_1)
	v_fma_f32 v8, -v4, v6, v7
	v_fmac_f32_e32 v6, v8, v5
	s_delay_alu instid0(VALU_DEP_1) | instskip(SKIP_1) | instid1(VALU_DEP_1)
	v_fma_f32 v4, -v4, v6, v7
	s_wait_alu 0xfffd
	v_div_fmas_f32 v4, v4, v5, v6
	s_delay_alu instid0(VALU_DEP_1) | instskip(SKIP_2) | instid1(VALU_DEP_1)
	v_div_fixup_f32 v2, v4, v3, v2
	v_max_num_f32_e32 v7, v0, v0
	s_wait_alu 0xfffe
	v_minmax_num_f32 v5, v7, 0x40e00000, s3
	s_mov_b32 s3, 0
	s_delay_alu instid0(VALU_DEP_1) | instskip(NEXT) | instid1(VALU_DEP_1)
	v_add_f32_e32 v3, 1.0, v5
	v_mul_f32_e32 v2, v3, v2
	s_branch .LBB87_52
.LBB87_48:
                                        ; implicit-def: $sgpr28
	s_clause 0x1
	s_load_b32 s30, s[0:1], 0x50
	s_load_b32 s29, s[0:1], 0x78
	s_branch .LBB87_2
.LBB87_49:
	s_mov_b32 s3, 0
                                        ; implicit-def: $vgpr2
	s_cbranch_execnz .LBB87_56
	s_branch .LBB87_57
.LBB87_50:
	s_mov_b32 s5, -1
	s_mov_b32 s3, 0
                                        ; implicit-def: $vgpr2
	s_branch .LBB87_53
.LBB87_51:
	s_mov_b32 s3, -1
                                        ; implicit-def: $vgpr2
.LBB87_52:
	s_mov_b32 s5, 0
.LBB87_53:
	s_wait_alu 0xfffe
	s_and_b32 vcc_lo, exec_lo, s5
	s_wait_alu 0xfffe
	s_cbranch_vccz .LBB87_55
; %bb.54:
	v_mul_f32_e32 v2, 0xbfb8aa3b, v1
	v_cmp_nlt_f32_e32 vcc_lo, 0x42ce8ed0, v1
	s_delay_alu instid0(VALU_DEP_2) | instskip(SKIP_1) | instid1(VALU_DEP_2)
	v_rndne_f32_e32 v3, v2
	v_fma_f32 v4, 0xbfb8aa3b, v1, -v2
	v_sub_f32_e32 v2, v2, v3
	s_delay_alu instid0(VALU_DEP_2) | instskip(SKIP_1) | instid1(VALU_DEP_2)
	v_fmamk_f32 v4, v1, 0xb2a5705f, v4
	v_cvt_i32_f32_e32 v3, v3
	v_add_f32_e32 v2, v2, v4
	s_delay_alu instid0(VALU_DEP_1) | instskip(NEXT) | instid1(TRANS32_DEP_1)
	v_exp_f32_e32 v2, v2
	v_ldexp_f32 v2, v2, v3
	s_wait_alu 0xfffd
	s_delay_alu instid0(VALU_DEP_1) | instskip(SKIP_2) | instid1(VALU_DEP_2)
	v_cndmask_b32_e32 v2, 0, v2, vcc_lo
	v_cmp_ngt_f32_e32 vcc_lo, 0xc2b17218, v1
	s_wait_alu 0xfffd
	v_cndmask_b32_e32 v2, 0x7f800000, v2, vcc_lo
	s_delay_alu instid0(VALU_DEP_1) | instskip(NEXT) | instid1(VALU_DEP_1)
	v_add_f32_e32 v2, 1.0, v2
	v_div_scale_f32 v3, null, v2, v2, v1
	s_delay_alu instid0(VALU_DEP_1) | instskip(NEXT) | instid1(TRANS32_DEP_1)
	v_rcp_f32_e32 v4, v3
	v_fma_f32 v5, -v3, v4, 1.0
	s_delay_alu instid0(VALU_DEP_1) | instskip(SKIP_1) | instid1(VALU_DEP_1)
	v_fmac_f32_e32 v4, v5, v4
	v_div_scale_f32 v5, vcc_lo, v1, v2, v1
	v_mul_f32_e32 v6, v5, v4
	s_delay_alu instid0(VALU_DEP_1) | instskip(NEXT) | instid1(VALU_DEP_1)
	v_fma_f32 v7, -v3, v6, v5
	v_fmac_f32_e32 v6, v7, v4
	s_delay_alu instid0(VALU_DEP_1) | instskip(SKIP_1) | instid1(VALU_DEP_1)
	v_fma_f32 v3, -v3, v6, v5
	s_wait_alu 0xfffd
	v_div_fmas_f32 v3, v3, v4, v6
	s_delay_alu instid0(VALU_DEP_1) | instskip(NEXT) | instid1(VALU_DEP_1)
	v_div_fixup_f32 v2, v3, v2, v1
	v_mul_f32_e32 v2, v0, v2
.LBB87_55:
	s_branch .LBB87_57
.LBB87_56:
	s_cmp_lg_u32 s4, 1
	s_mov_b32 s2, -1
	s_cselect_b32 s3, -1, 0
.LBB87_57:
	s_wait_alu 0xfffe
	s_and_not1_b32 vcc_lo, exec_lo, s3
	s_wait_alu 0xfffe
	s_cbranch_vccz .LBB87_59
; %bb.58:
	s_and_not1_b32 vcc_lo, exec_lo, s2
	s_wait_alu 0xfffe
	s_cbranch_vccz .LBB87_60
	s_branch .LBB87_65
.LBB87_59:
	v_mul_f32_e32 v2, v1, v0
	s_cbranch_execnz .LBB87_65
.LBB87_60:
	v_mul_f32_e32 v2, 0x3d372713, v1
	v_mul_f32_e32 v3, 0x3f4c422a, v1
	s_delay_alu instid0(VALU_DEP_2) | instskip(NEXT) | instid1(VALU_DEP_1)
	v_fma_f32 v2, v1, v2, 1.0
	v_mul_f32_e32 v2, v3, v2
                                        ; implicit-def: $vgpr3
	s_delay_alu instid0(VALU_DEP_1)
	v_cmp_ngt_f32_e64 s2, 0x3f200000, |v2|
	s_and_saveexec_b32 s3, s2
	s_wait_alu 0xfffe
	s_xor_b32 s2, exec_lo, s3
	s_cbranch_execz .LBB87_62
; %bb.61:
	v_add_f32_e64 v3, |v2|, |v2|
	s_delay_alu instid0(VALU_DEP_1) | instskip(SKIP_1) | instid1(VALU_DEP_2)
	v_mul_f32_e32 v4, 0x3fb8aa3b, v3
	v_cmp_ngt_f32_e32 vcc_lo, 0xc2ce8ed0, v3
	v_rndne_f32_e32 v5, v4
	v_fma_f32 v6, 0x3fb8aa3b, v3, -v4
	s_delay_alu instid0(VALU_DEP_2) | instskip(NEXT) | instid1(VALU_DEP_2)
	v_sub_f32_e32 v4, v4, v5
	v_fmamk_f32 v6, v3, 0x32a5705f, v6
	v_cvt_i32_f32_e32 v5, v5
	s_delay_alu instid0(VALU_DEP_2) | instskip(NEXT) | instid1(VALU_DEP_1)
	v_add_f32_e32 v4, v4, v6
	v_exp_f32_e32 v4, v4
	s_delay_alu instid0(TRANS32_DEP_1) | instskip(SKIP_1) | instid1(VALU_DEP_1)
	v_ldexp_f32 v4, v4, v5
	s_wait_alu 0xfffd
	v_cndmask_b32_e32 v4, 0, v4, vcc_lo
	v_cmp_nlt_f32_e32 vcc_lo, 0x42b17218, v3
	s_wait_alu 0xfffd
	s_delay_alu instid0(VALU_DEP_2) | instskip(NEXT) | instid1(VALU_DEP_1)
	v_cndmask_b32_e32 v3, 0x7f800000, v4, vcc_lo
	v_add_f32_e32 v3, 1.0, v3
	s_delay_alu instid0(VALU_DEP_1) | instskip(NEXT) | instid1(TRANS32_DEP_1)
	v_rcp_f32_e32 v3, v3
	v_fma_f32 v3, v3, -2.0, 1.0
.LBB87_62:
	s_wait_alu 0xfffe
	s_and_not1_saveexec_b32 s2, s2
	s_cbranch_execz .LBB87_64
; %bb.63:
	v_mul_f32_e32 v3, v2, v2
	s_mov_b32 s3, 0xbbbac73d
	s_wait_alu 0xfffe
	s_delay_alu instid0(VALU_DEP_1) | instskip(NEXT) | instid1(VALU_DEP_1)
	v_fmaak_f32 v4, s3, v3, 0x3ca908c9
	v_fmaak_f32 v4, v3, v4, 0xbd5c1c4e
	s_delay_alu instid0(VALU_DEP_1) | instskip(NEXT) | instid1(VALU_DEP_1)
	v_fmaak_f32 v4, v3, v4, 0x3e088382
	v_fmaak_f32 v4, v3, v4, 0xbeaaaa99
	s_delay_alu instid0(VALU_DEP_1) | instskip(NEXT) | instid1(VALU_DEP_1)
	v_mul_f32_e64 v4, |v2|, v4
	v_fma_f32 v3, v3, v4, |v2|
.LBB87_64:
	s_wait_alu 0xfffe
	s_or_b32 exec_lo, exec_lo, s2
	s_delay_alu instid0(VALU_DEP_1) | instskip(NEXT) | instid1(VALU_DEP_1)
	v_bfi_b32 v2, 0x7fffffff, v3, v2
	v_dual_mul_f32 v1, 0.5, v1 :: v_dual_add_f32 v2, 1.0, v2
	s_delay_alu instid0(VALU_DEP_1) | instskip(NEXT) | instid1(VALU_DEP_1)
	v_mul_f32_e32 v1, v1, v2
	v_mul_f32_e32 v2, v0, v1
.LBB87_65:
	s_delay_alu instid0(VALU_DEP_1)
	v_mov_b32_e32 v0, v2
.LBB87_66:
	s_load_b64 s[0:1], s[0:1], 0x38
	s_mul_i32 s2, s6, s27
	s_wait_kmcnt 0x0
	s_mul_i32 s3, s26, s21
	s_wait_alu 0xfffe
	s_add_co_i32 s2, s2, ttmp9
	v_lshlrev_b32_e32 v1, 2, v20
	s_wait_alu 0xfffe
	s_add_co_i32 s2, s2, s3
	s_mov_b32 s3, 0
	s_wait_alu 0xfffe
	s_lshl_b64 s[2:3], s[2:3], 2
	s_wait_alu 0xfffe
	s_add_nc_u64 s[0:1], s[0:1], s[2:3]
	global_store_b32 v1, v0, s[0:1]
.LBB87_67:
	s_endpgm
	.section	.rodata,"a",@progbits
	.p2align	6, 0x0
	.amdhsa_kernel _ZL13mul_mat_vec_qIL9ggml_type40ELi1ELb1ELb0EEvPKvS2_PKi31ggml_cuda_mm_fusion_args_devicePfj15HIP_vector_typeIjLj3EEjjjS8_jjjS8_jjjj
		.amdhsa_group_segment_fixed_size 0
		.amdhsa_private_segment_fixed_size 0
		.amdhsa_kernarg_size 144
		.amdhsa_user_sgpr_count 2
		.amdhsa_user_sgpr_dispatch_ptr 0
		.amdhsa_user_sgpr_queue_ptr 0
		.amdhsa_user_sgpr_kernarg_segment_ptr 1
		.amdhsa_user_sgpr_dispatch_id 0
		.amdhsa_user_sgpr_private_segment_size 0
		.amdhsa_wavefront_size32 1
		.amdhsa_uses_dynamic_stack 0
		.amdhsa_enable_private_segment 0
		.amdhsa_system_sgpr_workgroup_id_x 1
		.amdhsa_system_sgpr_workgroup_id_y 1
		.amdhsa_system_sgpr_workgroup_id_z 1
		.amdhsa_system_sgpr_workgroup_info 0
		.amdhsa_system_vgpr_workitem_id 1
		.amdhsa_next_free_vgpr 50
		.amdhsa_next_free_sgpr 38
		.amdhsa_reserve_vcc 1
		.amdhsa_float_round_mode_32 0
		.amdhsa_float_round_mode_16_64 0
		.amdhsa_float_denorm_mode_32 3
		.amdhsa_float_denorm_mode_16_64 3
		.amdhsa_fp16_overflow 0
		.amdhsa_workgroup_processor_mode 1
		.amdhsa_memory_ordered 1
		.amdhsa_forward_progress 1
		.amdhsa_inst_pref_size 36
		.amdhsa_round_robin_scheduling 0
		.amdhsa_exception_fp_ieee_invalid_op 0
		.amdhsa_exception_fp_denorm_src 0
		.amdhsa_exception_fp_ieee_div_zero 0
		.amdhsa_exception_fp_ieee_overflow 0
		.amdhsa_exception_fp_ieee_underflow 0
		.amdhsa_exception_fp_ieee_inexact 0
		.amdhsa_exception_int_div_zero 0
	.end_amdhsa_kernel
	.section	.text._ZL13mul_mat_vec_qIL9ggml_type40ELi1ELb1ELb0EEvPKvS2_PKi31ggml_cuda_mm_fusion_args_devicePfj15HIP_vector_typeIjLj3EEjjjS8_jjjS8_jjjj,"axG",@progbits,_ZL13mul_mat_vec_qIL9ggml_type40ELi1ELb1ELb0EEvPKvS2_PKi31ggml_cuda_mm_fusion_args_devicePfj15HIP_vector_typeIjLj3EEjjjS8_jjjS8_jjjj,comdat
.Lfunc_end87:
	.size	_ZL13mul_mat_vec_qIL9ggml_type40ELi1ELb1ELb0EEvPKvS2_PKi31ggml_cuda_mm_fusion_args_devicePfj15HIP_vector_typeIjLj3EEjjjS8_jjjS8_jjjj, .Lfunc_end87-_ZL13mul_mat_vec_qIL9ggml_type40ELi1ELb1ELb0EEvPKvS2_PKi31ggml_cuda_mm_fusion_args_devicePfj15HIP_vector_typeIjLj3EEjjjS8_jjjS8_jjjj
                                        ; -- End function
	.set _ZL13mul_mat_vec_qIL9ggml_type40ELi1ELb1ELb0EEvPKvS2_PKi31ggml_cuda_mm_fusion_args_devicePfj15HIP_vector_typeIjLj3EEjjjS8_jjjS8_jjjj.num_vgpr, 50
	.set _ZL13mul_mat_vec_qIL9ggml_type40ELi1ELb1ELb0EEvPKvS2_PKi31ggml_cuda_mm_fusion_args_devicePfj15HIP_vector_typeIjLj3EEjjjS8_jjjS8_jjjj.num_agpr, 0
	.set _ZL13mul_mat_vec_qIL9ggml_type40ELi1ELb1ELb0EEvPKvS2_PKi31ggml_cuda_mm_fusion_args_devicePfj15HIP_vector_typeIjLj3EEjjjS8_jjjS8_jjjj.numbered_sgpr, 38
	.set _ZL13mul_mat_vec_qIL9ggml_type40ELi1ELb1ELb0EEvPKvS2_PKi31ggml_cuda_mm_fusion_args_devicePfj15HIP_vector_typeIjLj3EEjjjS8_jjjS8_jjjj.num_named_barrier, 0
	.set _ZL13mul_mat_vec_qIL9ggml_type40ELi1ELb1ELb0EEvPKvS2_PKi31ggml_cuda_mm_fusion_args_devicePfj15HIP_vector_typeIjLj3EEjjjS8_jjjS8_jjjj.private_seg_size, 0
	.set _ZL13mul_mat_vec_qIL9ggml_type40ELi1ELb1ELb0EEvPKvS2_PKi31ggml_cuda_mm_fusion_args_devicePfj15HIP_vector_typeIjLj3EEjjjS8_jjjS8_jjjj.uses_vcc, 1
	.set _ZL13mul_mat_vec_qIL9ggml_type40ELi1ELb1ELb0EEvPKvS2_PKi31ggml_cuda_mm_fusion_args_devicePfj15HIP_vector_typeIjLj3EEjjjS8_jjjS8_jjjj.uses_flat_scratch, 0
	.set _ZL13mul_mat_vec_qIL9ggml_type40ELi1ELb1ELb0EEvPKvS2_PKi31ggml_cuda_mm_fusion_args_devicePfj15HIP_vector_typeIjLj3EEjjjS8_jjjS8_jjjj.has_dyn_sized_stack, 0
	.set _ZL13mul_mat_vec_qIL9ggml_type40ELi1ELb1ELb0EEvPKvS2_PKi31ggml_cuda_mm_fusion_args_devicePfj15HIP_vector_typeIjLj3EEjjjS8_jjjS8_jjjj.has_recursion, 0
	.set _ZL13mul_mat_vec_qIL9ggml_type40ELi1ELb1ELb0EEvPKvS2_PKi31ggml_cuda_mm_fusion_args_devicePfj15HIP_vector_typeIjLj3EEjjjS8_jjjS8_jjjj.has_indirect_call, 0
	.section	.AMDGPU.csdata,"",@progbits
; Kernel info:
; codeLenInByte = 4568
; TotalNumSgprs: 40
; NumVgprs: 50
; ScratchSize: 0
; MemoryBound: 0
; FloatMode: 240
; IeeeMode: 1
; LDSByteSize: 0 bytes/workgroup (compile time only)
; SGPRBlocks: 0
; VGPRBlocks: 6
; NumSGPRsForWavesPerEU: 40
; NumVGPRsForWavesPerEU: 50
; Occupancy: 16
; WaveLimiterHint : 0
; COMPUTE_PGM_RSRC2:SCRATCH_EN: 0
; COMPUTE_PGM_RSRC2:USER_SGPR: 2
; COMPUTE_PGM_RSRC2:TRAP_HANDLER: 0
; COMPUTE_PGM_RSRC2:TGID_X_EN: 1
; COMPUTE_PGM_RSRC2:TGID_Y_EN: 1
; COMPUTE_PGM_RSRC2:TGID_Z_EN: 1
; COMPUTE_PGM_RSRC2:TIDIG_COMP_CNT: 1
	.section	.text._ZL13mul_mat_vec_qIL9ggml_type40ELi1ELb0ELb0EEvPKvS2_PKi31ggml_cuda_mm_fusion_args_devicePfj15HIP_vector_typeIjLj3EEjjjS8_jjjS8_jjjj,"axG",@progbits,_ZL13mul_mat_vec_qIL9ggml_type40ELi1ELb0ELb0EEvPKvS2_PKi31ggml_cuda_mm_fusion_args_devicePfj15HIP_vector_typeIjLj3EEjjjS8_jjjS8_jjjj,comdat
	.globl	_ZL13mul_mat_vec_qIL9ggml_type40ELi1ELb0ELb0EEvPKvS2_PKi31ggml_cuda_mm_fusion_args_devicePfj15HIP_vector_typeIjLj3EEjjjS8_jjjS8_jjjj ; -- Begin function _ZL13mul_mat_vec_qIL9ggml_type40ELi1ELb0ELb0EEvPKvS2_PKi31ggml_cuda_mm_fusion_args_devicePfj15HIP_vector_typeIjLj3EEjjjS8_jjjS8_jjjj
	.p2align	8
	.type	_ZL13mul_mat_vec_qIL9ggml_type40ELi1ELb0ELb0EEvPKvS2_PKi31ggml_cuda_mm_fusion_args_devicePfj15HIP_vector_typeIjLj3EEjjjS8_jjjS8_jjjj,@function
_ZL13mul_mat_vec_qIL9ggml_type40ELi1ELb0ELb0EEvPKvS2_PKi31ggml_cuda_mm_fusion_args_devicePfj15HIP_vector_typeIjLj3EEjjjS8_jjjS8_jjjj: ; @_ZL13mul_mat_vec_qIL9ggml_type40ELi1ELb0ELb0EEvPKvS2_PKi31ggml_cuda_mm_fusion_args_devicePfj15HIP_vector_typeIjLj3EEjjjS8_jjjS8_jjjj
; %bb.0:
	s_clause 0x1
	s_load_b64 s[2:3], s[0:1], 0x10
	s_load_b128 s[8:11], s[0:1], 0x40
	s_and_b32 s15, ttmp7, 0xffff
	s_wait_kmcnt 0x0
	s_cmp_lg_u64 s[2:3], 0
	s_cselect_b32 s12, -1, 0
	s_cmp_eq_u64 s[2:3], 0
	s_cbranch_scc1 .LBB88_25
; %bb.1:
	s_lshl_b32 s4, s15, 2
	s_load_b32 s19, s[2:3], s4 offset:0x0
	s_clause 0x1
	s_load_b128 s[4:7], s[0:1], 0x68
	s_load_b32 s20, s[0:1], 0x50
	s_cbranch_execnz .LBB88_3
.LBB88_2:
	s_load_b64 s[2:3], s[0:1], 0x5c
	s_wait_kmcnt 0x0
	s_mul_hi_u32 s2, s2, s15
	s_delay_alu instid0(SALU_CYCLE_1) | instskip(NEXT) | instid1(SALU_CYCLE_1)
	s_add_co_i32 s2, s15, s2
	s_lshr_b32 s19, s2, s3
.LBB88_3:
	s_load_b32 s21, s[0:1], 0x78
	s_and_not1_b32 vcc_lo, exec_lo, s12
	s_mov_b32 s2, s15
	s_cbranch_vccnz .LBB88_5
; %bb.4:
	s_mul_hi_u32 s2, s9, s15
	s_delay_alu instid0(SALU_CYCLE_1) | instskip(NEXT) | instid1(SALU_CYCLE_1)
	s_add_co_i32 s2, s15, s2
	s_lshr_b32 s2, s2, s10
	s_delay_alu instid0(SALU_CYCLE_1) | instskip(NEXT) | instid1(SALU_CYCLE_1)
	s_mul_i32 s2, s2, s11
	s_sub_co_i32 s2, s15, s2
.LBB88_5:
	v_bfe_u32 v15, v0, 10, 10
	v_and_b32_e32 v14, 0x3ff, v0
	s_load_b96 s[12:14], s[0:1], 0x80
	s_lshr_b32 s18, s8, 6
	s_lshr_b32 s16, ttmp7, 16
	v_lshlrev_b32_e32 v0, 5, v15
	s_mov_b32 s17, exec_lo
	v_mov_b32_e32 v16, 0
	s_delay_alu instid0(VALU_DEP_2) | instskip(NEXT) | instid1(VALU_DEP_1)
	v_add_nc_u16 v1, v0, v14
	v_lshrrev_b16 v1, 1, v1
	s_delay_alu instid0(VALU_DEP_1) | instskip(NEXT) | instid1(VALU_DEP_1)
	v_and_b32_e32 v17, 0xffff, v1
	v_cmpx_gt_u32_e64 s18, v17
	s_cbranch_execz .LBB88_21
; %bb.6:
	v_or_b32_e32 v0, v0, v14
	s_wait_kmcnt 0x0
	s_mul_i32 s2, s2, s5
	s_mov_b32 s3, 0
	v_and_b32_e32 v2, 1, v14
	s_mul_u64 s[8:9], s[2:3], 36
	v_lshrrev_b32_e32 v0, 1, v0
	s_mul_i32 s2, s13, s16
	v_dual_mov_b32 v16, 0 :: v_dual_lshlrev_b32 v3, 2, v14
	s_mul_i32 s20, s20, ttmp9
	s_delay_alu instid0(VALU_DEP_2)
	v_mad_co_u64_u32 v[0:1], null, 0x48, v0, s[8:9]
	s_load_b128 s[8:11], s[0:1], 0x0
	s_mul_i32 s4, s19, s4
	s_mov_b32 s5, 0xf4f8fafc
	v_mad_co_u64_u32 v[0:1], null, s2, 36, v[0:1]
	s_mul_hi_u32 s2, s7, s16
	s_mov_b32 s7, 0xc080604
	s_wait_alu 0xfffe
	s_add_co_i32 s2, s16, s2
	s_wait_alu 0xfffe
	s_lshr_b32 s2, s2, s21
	s_wait_alu 0xfffe
	s_mul_i32 s2, s2, s12
	v_mad_co_u64_u32 v[0:1], null, v2, 36, v[0:1]
	v_and_b32_e32 v2, 4, v3
	s_wait_alu 0xfffe
	s_add_co_i32 s2, s2, s20
	s_wait_alu 0xfffe
	s_add_co_i32 s4, s4, s2
	v_lshrrev_b32_e32 v18, 1, v2
	s_wait_kmcnt 0x0
	v_add_co_u32 v0, vcc_lo, s10, v0
	s_delay_alu instid0(VALU_DEP_1) | instskip(SKIP_1) | instid1(VALU_DEP_3)
	v_add_co_ci_u32_e64 v1, null, s11, v1, vcc_lo
	v_lshlrev_b32_e32 v19, 2, v2
	v_add_co_u32 v12, vcc_lo, v0, 16
	s_wait_alu 0xfffd
	s_delay_alu instid0(VALU_DEP_3)
	v_add_co_ci_u32_e64 v13, null, 0, v1, vcc_lo
	s_mov_b32 s10, 0x4040404
	s_branch .LBB88_8
.LBB88_7:                               ;   in Loop: Header=BB88_8 Depth=1
	s_wait_alu 0xfffe
	s_or_b32 exec_lo, exec_lo, s11
	s_wait_loadcnt 0x3
	v_ashrrev_i32_e32 v25, 4, v10
	v_and_b32_e32 v26, 0x7070707, v10
	v_lshrrev_b32_e32 v10, 1, v10
	v_ashrrev_i32_e32 v23, 4, v11
	v_and_b32_e32 v24, 0x7070707, v11
	v_and_b32_e32 v29, 0x7070707, v25
	v_lshrrev_b32_e32 v25, 1, v25
	v_perm_b32 v31, s5, 0xfdfeff00, v26
	v_perm_b32 v26, s7, 0x3020100, v26
	v_and_or_b32 v10, v10, s10, 0x3020100
	v_perm_b32 v32, s5, 0xfdfeff00, v29
	v_perm_b32 v29, s7, 0x3020100, v29
	v_and_or_b32 v25, v25, s10, 0x3020100
	v_lshrrev_b32_e32 v11, 1, v11
	v_perm_b32 v10, v31, v26, v10
	v_and_b32_e32 v31, 0x7070707, v8
	v_ashrrev_i32_e32 v26, 4, v9
	v_perm_b32 v25, v32, v29, v25
	v_ashrrev_i32_e32 v29, 4, v8
	v_lshrrev_b32_e32 v8, 1, v8
	v_perm_b32 v34, s5, 0xfdfeff00, v31
	v_perm_b32 v31, s7, 0x3020100, v31
	v_and_b32_e32 v32, 0x7070707, v9
	v_and_b32_e32 v33, 0x7070707, v29
	v_lshrrev_b32_e32 v29, 1, v29
	v_and_or_b32 v8, v8, s10, 0x3020100
	v_lshrrev_b32_e32 v9, 1, v9
	v_perm_b32 v28, s5, 0xfdfeff00, v24
	v_perm_b32 v35, s5, 0xfdfeff00, v33
	;; [unrolled: 1-line block ×3, first 2 shown]
	v_and_or_b32 v29, v29, s10, 0x3020100
	v_perm_b32 v8, v34, v31, v8
	v_perm_b32 v24, s7, 0x3020100, v24
	v_and_or_b32 v11, v11, s10, 0x3020100
	s_wait_loadcnt 0x1
	v_dot4_i32_iu8 v1, v10, v1, 0 neg_lo:[1,1,0]
	v_and_b32_e32 v10, 0x7070707, v26
	v_lshrrev_b32_e32 v26, 1, v26
	v_perm_b32 v31, s5, 0xfdfeff00, v32
	v_perm_b32 v32, s7, 0x3020100, v32
	v_and_or_b32 v9, v9, s10, 0x3020100
	v_perm_b32 v29, v35, v33, v29
	s_wait_loadcnt 0x0
	v_dot4_i32_iu8 v5, v8, v5, 0 neg_lo:[1,1,0]
	v_perm_b32 v8, s5, 0xfdfeff00, v10
	v_perm_b32 v10, s7, 0x3020100, v10
	v_and_or_b32 v26, v26, s10, 0x3020100
	v_perm_b32 v9, v31, v32, v9
	v_dot4_i32_iu8 v5, v29, v7, v5 neg_lo:[1,1,0]
	v_perm_b32 v11, v28, v24, v11
	v_dot4_i32_iu8 v1, v25, v3, v1 neg_lo:[1,1,0]
	v_perm_b32 v3, v8, v10, v26
	v_add_nc_u32_e32 v17, 16, v17
	v_dot4_i32_iu8 v5, v9, v6, v5 neg_lo:[1,1,0]
	v_add_co_u32 v12, s2, 0x480, v12
	v_dot4_i32_iu8 v1, v11, v2, v1 neg_lo:[1,1,0]
	v_cvt_f32_f16_e32 v2, v4
	v_and_b32_e32 v27, 0x7070707, v23
	v_lshrrev_b32_e32 v23, 1, v23
	v_dot4_i32_iu8 v0, v3, v0, v5 neg_lo:[1,1,0]
	v_cmp_le_u32_e32 vcc_lo, s18, v17
	v_mul_f32_e32 v3, v21, v2
	v_mul_f32_e32 v2, v22, v2
	v_perm_b32 v30, s5, 0xfdfeff00, v27
	v_perm_b32 v27, s7, 0x3020100, v27
	v_and_or_b32 v7, v23, s10, 0x3020100
	v_cvt_f32_i32_e32 v0, v0
	s_wait_alu 0xf1ff
	v_add_co_ci_u32_e64 v13, null, 0, v13, s2
	s_or_b32 s3, vcc_lo, s3
	v_perm_b32 v6, v30, v27, v7
	v_fma_f32 v0, v3, v0, 0
	s_delay_alu instid0(VALU_DEP_2) | instskip(NEXT) | instid1(VALU_DEP_1)
	v_dot4_i32_iu8 v1, v6, v20, v1 neg_lo:[1,1,0]
	v_cvt_f32_i32_e32 v1, v1
	s_delay_alu instid0(VALU_DEP_1) | instskip(NEXT) | instid1(VALU_DEP_1)
	v_fmac_f32_e32 v0, v2, v1
	v_add_f32_e32 v16, v16, v0
	s_wait_alu 0xfffe
	s_and_not1_b32 exec_lo, exec_lo, s3
	s_cbranch_execz .LBB88_20
.LBB88_8:                               ; =>This Inner Loop Header: Depth=1
	v_add_nc_u32_e32 v0, s4, v17
	s_mov_b32 s2, 0
	s_mov_b32 s11, exec_lo
	s_delay_alu instid0(VALU_DEP_1) | instskip(NEXT) | instid1(VALU_DEP_1)
	v_mad_co_i64_i32 v[0:1], null, v0, 36, s[8:9]
	v_add_co_u32 v2, vcc_lo, v0, v18
	s_wait_alu 0xfffd
	s_delay_alu instid0(VALU_DEP_2)
	v_add_co_ci_u32_e64 v3, null, 0, v1, vcc_lo
	v_add_co_u32 v0, vcc_lo, v0, v19
	s_wait_alu 0xfffd
	v_add_co_ci_u32_e64 v1, null, 0, v1, vcc_lo
	s_clause 0x1
	global_load_u16 v22, v[2:3], off
	global_load_b128 v[8:11], v[0:1], off offset:4
	s_clause 0x2
	global_load_b32 v20, v[12:13], off offset:16
	global_load_b128 v[0:3], v[12:13], off
	global_load_b128 v[4:7], v[12:13], off offset:-16
	s_wait_loadcnt 0x4
	v_and_b32_e32 v21, 0xff, v22
	s_delay_alu instid0(VALU_DEP_1)
	v_cmpx_lt_i16_e32 0x7e, v21
	s_wait_alu 0xfffe
	s_xor_b32 s11, exec_lo, s11
	s_cbranch_execnz .LBB88_15
; %bb.9:                                ;   in Loop: Header=BB88_8 Depth=1
	s_wait_alu 0xfffe
	s_and_not1_saveexec_b32 s11, s11
	s_cbranch_execnz .LBB88_16
.LBB88_10:                              ;   in Loop: Header=BB88_8 Depth=1
	s_wait_alu 0xfffe
	s_or_b32 exec_lo, exec_lo, s11
	v_mov_b32_e32 v21, 0
	s_and_saveexec_b32 s11, s2
	s_cbranch_execz .LBB88_12
.LBB88_11:                              ;   in Loop: Header=BB88_8 Depth=1
	v_and_b32_e32 v21, 7, v22
	v_lshrrev_b16 v23, 3, v22
	s_delay_alu instid0(VALU_DEP_2) | instskip(NEXT) | instid1(VALU_DEP_2)
	v_cvt_f32_ubyte0_e32 v21, v21
	v_and_b32_e32 v23, 15, v23
	s_delay_alu instid0(VALU_DEP_2) | instskip(NEXT) | instid1(VALU_DEP_2)
	v_fma_f32 v24, 0x3e000000, v21, 1.0
	v_add_nc_u32_e32 v25, -7, v23
	v_cmp_eq_u32_e32 vcc_lo, 0, v23
	s_wait_alu 0xfffd
	s_delay_alu instid0(VALU_DEP_3) | instskip(NEXT) | instid1(VALU_DEP_3)
	v_cndmask_b32_e32 v21, v24, v21, vcc_lo
	v_cndmask_b32_e64 v23, v25, -9, vcc_lo
	s_delay_alu instid0(VALU_DEP_1) | instskip(NEXT) | instid1(VALU_DEP_1)
	v_ldexp_f32 v21, v21, v23
	v_mul_f32_e32 v21, 0.5, v21
.LBB88_12:                              ;   in Loop: Header=BB88_8 Depth=1
	s_wait_alu 0xfffe
	s_or_b32 exec_lo, exec_lo, s11
	v_lshrrev_b16 v23, 8, v22
	s_mov_b32 s2, 0
	s_mov_b32 s11, exec_lo
	s_delay_alu instid0(VALU_DEP_1)
	v_cmpx_lt_i16_e32 0x7e, v23
	s_wait_alu 0xfffe
	s_xor_b32 s11, exec_lo, s11
	s_cbranch_execnz .LBB88_17
; %bb.13:                               ;   in Loop: Header=BB88_8 Depth=1
	s_wait_alu 0xfffe
	s_and_not1_saveexec_b32 s11, s11
	s_cbranch_execnz .LBB88_18
.LBB88_14:                              ;   in Loop: Header=BB88_8 Depth=1
	s_wait_alu 0xfffe
	s_or_b32 exec_lo, exec_lo, s11
	v_mov_b32_e32 v22, 0
	s_and_saveexec_b32 s11, s2
	s_cbranch_execz .LBB88_7
	s_branch .LBB88_19
.LBB88_15:                              ;   in Loop: Header=BB88_8 Depth=1
	v_cmp_ne_u16_e32 vcc_lo, 0x7f, v21
                                        ; implicit-def: $vgpr21
	s_and_b32 s2, vcc_lo, exec_lo
	s_wait_alu 0xfffe
	s_and_not1_saveexec_b32 s11, s11
	s_cbranch_execz .LBB88_10
.LBB88_16:                              ;   in Loop: Header=BB88_8 Depth=1
	v_cmp_ne_u16_e32 vcc_lo, 0, v21
	s_and_not1_b32 s2, s2, exec_lo
	s_and_b32 s12, vcc_lo, exec_lo
	s_wait_alu 0xfffe
	s_or_b32 s2, s2, s12
	s_or_b32 exec_lo, exec_lo, s11
	v_mov_b32_e32 v21, 0
	s_wait_alu 0xfffe
	s_and_saveexec_b32 s11, s2
	s_cbranch_execnz .LBB88_11
	s_branch .LBB88_12
.LBB88_17:                              ;   in Loop: Header=BB88_8 Depth=1
	v_cmp_ne_u16_e32 vcc_lo, 0x7f, v23
	s_and_b32 s2, vcc_lo, exec_lo
	s_wait_alu 0xfffe
	s_and_not1_saveexec_b32 s11, s11
	s_cbranch_execz .LBB88_14
.LBB88_18:                              ;   in Loop: Header=BB88_8 Depth=1
	v_cmp_ne_u16_e32 vcc_lo, 0, v23
	s_and_not1_b32 s2, s2, exec_lo
	s_and_b32 s12, vcc_lo, exec_lo
	s_wait_alu 0xfffe
	s_or_b32 s2, s2, s12
	s_or_b32 exec_lo, exec_lo, s11
	v_mov_b32_e32 v22, 0
	s_wait_alu 0xfffe
	s_and_saveexec_b32 s11, s2
	s_cbranch_execz .LBB88_7
.LBB88_19:                              ;   in Loop: Header=BB88_8 Depth=1
	v_and_b32_e32 v22, 0xffff, v23
	s_delay_alu instid0(VALU_DEP_1) | instskip(SKIP_1) | instid1(VALU_DEP_2)
	v_and_b32_e32 v23, 7, v22
	v_bfe_u32 v22, v22, 3, 4
	v_cvt_f32_ubyte0_e32 v23, v23
	s_delay_alu instid0(VALU_DEP_2) | instskip(SKIP_1) | instid1(VALU_DEP_3)
	v_add_nc_u32_e32 v24, -7, v22
	v_cmp_eq_u32_e32 vcc_lo, 0, v22
	v_fma_f32 v25, 0x3e000000, v23, 1.0
	s_wait_alu 0xfffd
	s_delay_alu instid0(VALU_DEP_1) | instskip(SKIP_1) | instid1(VALU_DEP_1)
	v_cndmask_b32_e32 v22, v25, v23, vcc_lo
	v_cndmask_b32_e64 v23, v24, -9, vcc_lo
	v_ldexp_f32 v22, v22, v23
	s_delay_alu instid0(VALU_DEP_1)
	v_mul_f32_e32 v22, 0.5, v22
	s_branch .LBB88_7
.LBB88_20:
	s_or_b32 exec_lo, exec_lo, s3
.LBB88_21:
	s_delay_alu instid0(SALU_CYCLE_1)
	s_or_b32 exec_lo, exec_lo, s17
	; wave barrier
	global_inv scope:SCOPE_SE
	s_mov_b32 s2, exec_lo
	v_cmpx_eq_u32_e32 0, v15
	s_cbranch_execz .LBB88_24
; %bb.22:
	v_mbcnt_lo_u32_b32 v0, -1, 0
	s_delay_alu instid0(VALU_DEP_1) | instskip(SKIP_2) | instid1(VALU_DEP_3)
	v_xor_b32_e32 v1, 16, v0
	v_xor_b32_e32 v2, 8, v0
	;; [unrolled: 1-line block ×3, first 2 shown]
	v_cmp_gt_i32_e32 vcc_lo, 32, v1
	s_wait_alu 0xfffd
	v_cndmask_b32_e32 v1, v0, v1, vcc_lo
	v_cmp_gt_i32_e32 vcc_lo, 32, v2
	s_wait_alu 0xfffd
	v_cndmask_b32_e32 v2, v0, v2, vcc_lo
	;; [unrolled: 3-line block ×3, first 2 shown]
	s_delay_alu instid0(VALU_DEP_1)
	v_lshlrev_b32_e32 v3, 2, v3
	v_lshlrev_b32_e32 v2, 2, v2
	;; [unrolled: 1-line block ×3, first 2 shown]
	ds_bpermute_b32 v1, v1, v16
	s_wait_dscnt 0x0
	v_add_f32_e32 v1, v16, v1
	ds_bpermute_b32 v2, v2, v1
	s_wait_dscnt 0x0
	v_add_f32_e32 v1, v1, v2
	ds_bpermute_b32 v2, v3, v1
	v_xor_b32_e32 v3, 2, v0
	s_delay_alu instid0(VALU_DEP_1) | instskip(SKIP_2) | instid1(VALU_DEP_1)
	v_cmp_gt_i32_e32 vcc_lo, 32, v3
	s_wait_alu 0xfffd
	v_cndmask_b32_e32 v3, v0, v3, vcc_lo
	v_lshlrev_b32_e32 v3, 2, v3
	s_wait_dscnt 0x0
	v_add_f32_e32 v1, v1, v2
	ds_bpermute_b32 v2, v3, v1
	v_xor_b32_e32 v3, 1, v0
	s_delay_alu instid0(VALU_DEP_1) | instskip(SKIP_4) | instid1(VALU_DEP_2)
	v_cmp_gt_i32_e32 vcc_lo, 32, v3
	s_wait_alu 0xfffd
	v_cndmask_b32_e32 v0, v0, v3, vcc_lo
	v_cmp_eq_u32_e32 vcc_lo, 0, v14
	s_wait_dscnt 0x0
	v_dual_add_f32 v0, v1, v2 :: v_dual_lshlrev_b32 v3, 2, v0
	ds_bpermute_b32 v1, v3, v0
	s_and_b32 exec_lo, exec_lo, vcc_lo
	s_cbranch_execz .LBB88_24
; %bb.23:
	s_load_b64 s[0:1], s[0:1], 0x38
	s_wait_kmcnt 0x0
	s_mul_i32 s2, s6, s15
	s_mul_i32 s3, s14, s16
	s_wait_alu 0xfffe
	s_add_co_i32 s2, s2, ttmp9
	s_wait_dscnt 0x0
	v_dual_add_f32 v0, v0, v1 :: v_dual_mov_b32 v1, 0
	s_wait_alu 0xfffe
	s_add_co_i32 s2, s2, s3
	s_mov_b32 s3, 0
	s_wait_alu 0xfffe
	s_lshl_b64 s[2:3], s[2:3], 2
	s_wait_alu 0xfffe
	s_add_nc_u64 s[0:1], s[0:1], s[2:3]
	global_store_b32 v1, v0, s[0:1]
.LBB88_24:
	s_endpgm
.LBB88_25:
                                        ; implicit-def: $sgpr19
	s_clause 0x1
	s_load_b128 s[4:7], s[0:1], 0x68
	s_load_b32 s20, s[0:1], 0x50
	s_branch .LBB88_2
	.section	.rodata,"a",@progbits
	.p2align	6, 0x0
	.amdhsa_kernel _ZL13mul_mat_vec_qIL9ggml_type40ELi1ELb0ELb0EEvPKvS2_PKi31ggml_cuda_mm_fusion_args_devicePfj15HIP_vector_typeIjLj3EEjjjS8_jjjS8_jjjj
		.amdhsa_group_segment_fixed_size 0
		.amdhsa_private_segment_fixed_size 0
		.amdhsa_kernarg_size 144
		.amdhsa_user_sgpr_count 2
		.amdhsa_user_sgpr_dispatch_ptr 0
		.amdhsa_user_sgpr_queue_ptr 0
		.amdhsa_user_sgpr_kernarg_segment_ptr 1
		.amdhsa_user_sgpr_dispatch_id 0
		.amdhsa_user_sgpr_private_segment_size 0
		.amdhsa_wavefront_size32 1
		.amdhsa_uses_dynamic_stack 0
		.amdhsa_enable_private_segment 0
		.amdhsa_system_sgpr_workgroup_id_x 1
		.amdhsa_system_sgpr_workgroup_id_y 1
		.amdhsa_system_sgpr_workgroup_id_z 1
		.amdhsa_system_sgpr_workgroup_info 0
		.amdhsa_system_vgpr_workitem_id 1
		.amdhsa_next_free_vgpr 36
		.amdhsa_next_free_sgpr 22
		.amdhsa_reserve_vcc 1
		.amdhsa_float_round_mode_32 0
		.amdhsa_float_round_mode_16_64 0
		.amdhsa_float_denorm_mode_32 3
		.amdhsa_float_denorm_mode_16_64 3
		.amdhsa_fp16_overflow 0
		.amdhsa_workgroup_processor_mode 1
		.amdhsa_memory_ordered 1
		.amdhsa_forward_progress 1
		.amdhsa_inst_pref_size 17
		.amdhsa_round_robin_scheduling 0
		.amdhsa_exception_fp_ieee_invalid_op 0
		.amdhsa_exception_fp_denorm_src 0
		.amdhsa_exception_fp_ieee_div_zero 0
		.amdhsa_exception_fp_ieee_overflow 0
		.amdhsa_exception_fp_ieee_underflow 0
		.amdhsa_exception_fp_ieee_inexact 0
		.amdhsa_exception_int_div_zero 0
	.end_amdhsa_kernel
	.section	.text._ZL13mul_mat_vec_qIL9ggml_type40ELi1ELb0ELb0EEvPKvS2_PKi31ggml_cuda_mm_fusion_args_devicePfj15HIP_vector_typeIjLj3EEjjjS8_jjjS8_jjjj,"axG",@progbits,_ZL13mul_mat_vec_qIL9ggml_type40ELi1ELb0ELb0EEvPKvS2_PKi31ggml_cuda_mm_fusion_args_devicePfj15HIP_vector_typeIjLj3EEjjjS8_jjjS8_jjjj,comdat
.Lfunc_end88:
	.size	_ZL13mul_mat_vec_qIL9ggml_type40ELi1ELb0ELb0EEvPKvS2_PKi31ggml_cuda_mm_fusion_args_devicePfj15HIP_vector_typeIjLj3EEjjjS8_jjjS8_jjjj, .Lfunc_end88-_ZL13mul_mat_vec_qIL9ggml_type40ELi1ELb0ELb0EEvPKvS2_PKi31ggml_cuda_mm_fusion_args_devicePfj15HIP_vector_typeIjLj3EEjjjS8_jjjS8_jjjj
                                        ; -- End function
	.set _ZL13mul_mat_vec_qIL9ggml_type40ELi1ELb0ELb0EEvPKvS2_PKi31ggml_cuda_mm_fusion_args_devicePfj15HIP_vector_typeIjLj3EEjjjS8_jjjS8_jjjj.num_vgpr, 36
	.set _ZL13mul_mat_vec_qIL9ggml_type40ELi1ELb0ELb0EEvPKvS2_PKi31ggml_cuda_mm_fusion_args_devicePfj15HIP_vector_typeIjLj3EEjjjS8_jjjS8_jjjj.num_agpr, 0
	.set _ZL13mul_mat_vec_qIL9ggml_type40ELi1ELb0ELb0EEvPKvS2_PKi31ggml_cuda_mm_fusion_args_devicePfj15HIP_vector_typeIjLj3EEjjjS8_jjjS8_jjjj.numbered_sgpr, 22
	.set _ZL13mul_mat_vec_qIL9ggml_type40ELi1ELb0ELb0EEvPKvS2_PKi31ggml_cuda_mm_fusion_args_devicePfj15HIP_vector_typeIjLj3EEjjjS8_jjjS8_jjjj.num_named_barrier, 0
	.set _ZL13mul_mat_vec_qIL9ggml_type40ELi1ELb0ELb0EEvPKvS2_PKi31ggml_cuda_mm_fusion_args_devicePfj15HIP_vector_typeIjLj3EEjjjS8_jjjS8_jjjj.private_seg_size, 0
	.set _ZL13mul_mat_vec_qIL9ggml_type40ELi1ELb0ELb0EEvPKvS2_PKi31ggml_cuda_mm_fusion_args_devicePfj15HIP_vector_typeIjLj3EEjjjS8_jjjS8_jjjj.uses_vcc, 1
	.set _ZL13mul_mat_vec_qIL9ggml_type40ELi1ELb0ELb0EEvPKvS2_PKi31ggml_cuda_mm_fusion_args_devicePfj15HIP_vector_typeIjLj3EEjjjS8_jjjS8_jjjj.uses_flat_scratch, 0
	.set _ZL13mul_mat_vec_qIL9ggml_type40ELi1ELb0ELb0EEvPKvS2_PKi31ggml_cuda_mm_fusion_args_devicePfj15HIP_vector_typeIjLj3EEjjjS8_jjjS8_jjjj.has_dyn_sized_stack, 0
	.set _ZL13mul_mat_vec_qIL9ggml_type40ELi1ELb0ELb0EEvPKvS2_PKi31ggml_cuda_mm_fusion_args_devicePfj15HIP_vector_typeIjLj3EEjjjS8_jjjS8_jjjj.has_recursion, 0
	.set _ZL13mul_mat_vec_qIL9ggml_type40ELi1ELb0ELb0EEvPKvS2_PKi31ggml_cuda_mm_fusion_args_devicePfj15HIP_vector_typeIjLj3EEjjjS8_jjjS8_jjjj.has_indirect_call, 0
	.section	.AMDGPU.csdata,"",@progbits
; Kernel info:
; codeLenInByte = 2056
; TotalNumSgprs: 24
; NumVgprs: 36
; ScratchSize: 0
; MemoryBound: 0
; FloatMode: 240
; IeeeMode: 1
; LDSByteSize: 0 bytes/workgroup (compile time only)
; SGPRBlocks: 0
; VGPRBlocks: 4
; NumSGPRsForWavesPerEU: 24
; NumVGPRsForWavesPerEU: 36
; Occupancy: 16
; WaveLimiterHint : 0
; COMPUTE_PGM_RSRC2:SCRATCH_EN: 0
; COMPUTE_PGM_RSRC2:USER_SGPR: 2
; COMPUTE_PGM_RSRC2:TRAP_HANDLER: 0
; COMPUTE_PGM_RSRC2:TGID_X_EN: 1
; COMPUTE_PGM_RSRC2:TGID_Y_EN: 1
; COMPUTE_PGM_RSRC2:TGID_Z_EN: 1
; COMPUTE_PGM_RSRC2:TIDIG_COMP_CNT: 1
	.section	.text._ZL13mul_mat_vec_qIL9ggml_type40ELi2ELb0ELb0EEvPKvS2_PKi31ggml_cuda_mm_fusion_args_devicePfj15HIP_vector_typeIjLj3EEjjjS8_jjjS8_jjjj,"axG",@progbits,_ZL13mul_mat_vec_qIL9ggml_type40ELi2ELb0ELb0EEvPKvS2_PKi31ggml_cuda_mm_fusion_args_devicePfj15HIP_vector_typeIjLj3EEjjjS8_jjjS8_jjjj,comdat
	.globl	_ZL13mul_mat_vec_qIL9ggml_type40ELi2ELb0ELb0EEvPKvS2_PKi31ggml_cuda_mm_fusion_args_devicePfj15HIP_vector_typeIjLj3EEjjjS8_jjjS8_jjjj ; -- Begin function _ZL13mul_mat_vec_qIL9ggml_type40ELi2ELb0ELb0EEvPKvS2_PKi31ggml_cuda_mm_fusion_args_devicePfj15HIP_vector_typeIjLj3EEjjjS8_jjjS8_jjjj
	.p2align	8
	.type	_ZL13mul_mat_vec_qIL9ggml_type40ELi2ELb0ELb0EEvPKvS2_PKi31ggml_cuda_mm_fusion_args_devicePfj15HIP_vector_typeIjLj3EEjjjS8_jjjS8_jjjj,@function
_ZL13mul_mat_vec_qIL9ggml_type40ELi2ELb0ELb0EEvPKvS2_PKi31ggml_cuda_mm_fusion_args_devicePfj15HIP_vector_typeIjLj3EEjjjS8_jjjS8_jjjj: ; @_ZL13mul_mat_vec_qIL9ggml_type40ELi2ELb0ELb0EEvPKvS2_PKi31ggml_cuda_mm_fusion_args_devicePfj15HIP_vector_typeIjLj3EEjjjS8_jjjS8_jjjj
; %bb.0:
	v_bfe_u32 v26, v0, 10, 10
	s_clause 0x5
	s_load_b32 s2, s[0:1], 0x40
	s_load_b96 s[16:18], s[0:1], 0x80
	s_load_b128 s[4:7], s[0:1], 0x50
	s_load_b32 s23, s[0:1], 0x60
	s_load_b128 s[8:11], s[0:1], 0x68
	s_load_b32 s24, s[0:1], 0x78
	v_dual_mov_b32 v25, 0 :: v_dual_and_b32 v24, 0x3ff, v0
	v_lshlrev_b32_e32 v0, 5, v26
	s_and_b32 s19, ttmp7, 0xffff
	s_lshr_b32 s20, ttmp7, 16
	s_mov_b32 s22, exec_lo
	v_mov_b32_e32 v28, 0
	v_add_nc_u16 v0, v0, v24
	s_delay_alu instid0(VALU_DEP_1) | instskip(NEXT) | instid1(VALU_DEP_1)
	v_lshrrev_b16 v0, 1, v0
	v_and_b32_e32 v27, 0xffff, v0
	s_wait_kmcnt 0x0
	s_lshr_b32 s21, s2, 6
	s_delay_alu instid0(VALU_DEP_1) | instid1(SALU_CYCLE_1)
	v_cmpx_gt_u32_e64 s21, v27
	s_cbranch_execz .LBB89_28
; %bb.1:
	s_mov_b32 s3, 0
	s_mul_i32 s26, s9, s19
	s_mov_b32 s27, s3
	s_load_b128 s[12:15], s[0:1], 0x0
	s_mul_u64 s[26:27], s[26:27], 36
	s_mul_i32 s2, s17, s20
	v_mad_co_u64_u32 v[0:1], null, 0x48, v27, s[26:27]
	v_dual_mov_b32 v28, 0 :: v_dual_and_b32 v3, 1, v24
	s_mul_hi_u32 s7, s7, s19
	s_mul_hi_u32 s9, s11, s20
	s_add_co_i32 s7, s19, s7
	v_dual_mov_b32 v25, 0 :: v_dual_lshlrev_b32 v2, 2, v24
	s_delay_alu instid0(VALU_DEP_3)
	v_mad_co_u64_u32 v[0:1], null, s2, 36, v[0:1]
	s_mul_u64 s[28:29], s[2:3], 36
	s_add_co_i32 s9, s20, s9
	s_lshr_b32 s7, s7, s23
	s_lshr_b32 s11, s9, s24
	s_mul_i32 s2, s7, s8
	v_and_b32_e32 v2, 4, v2
	v_mad_co_u64_u32 v[0:1], null, v3, 36, v[0:1]
	s_wait_kmcnt 0x0
	s_add_nc_u64 s[8:9], s[14:15], s[28:29]
	s_mul_i32 s4, s4, ttmp9
	s_add_nc_u64 s[8:9], s[8:9], s[26:27]
	v_lshrrev_b32_e32 v29, 1, v2
	v_mad_co_u64_u32 v[20:21], null, v3, 36, s[8:9]
	s_delay_alu instid0(VALU_DEP_3) | instskip(NEXT) | instid1(VALU_DEP_1)
	v_add_co_u32 v22, vcc_lo, s14, v0
	v_add_co_ci_u32_e64 v23, null, s15, v1, vcc_lo
	v_lshl_add_u32 v30, v27, 1, s5
	v_lshlrev_b32_e32 v31, 2, v2
	s_mul_i32 s7, s11, s16
	s_wait_alu 0xfffe
	s_add_co_i32 s2, s2, s4
	s_mov_b32 s5, 0xf4f8fafc
	s_wait_alu 0xfffe
	s_add_co_i32 s4, s7, s2
	s_mov_b32 s7, 0xc080604
	s_mov_b32 s8, 0x4040404
	s_branch .LBB89_3
.LBB89_2:                               ;   in Loop: Header=BB89_3 Depth=1
	s_wait_alu 0xfffe
	s_or_b32 exec_lo, exec_lo, s9
	s_wait_loadcnt 0x6
	v_ashrrev_i32_e32 v40, 4, v10
	v_ashrrev_i32_e32 v38, 4, v11
	v_and_b32_e32 v39, 0x7070707, v11
	v_lshrrev_b32_e32 v11, 1, v11
	v_and_b32_e32 v46, 0x7070707, v10
	v_and_b32_e32 v43, 0x7070707, v40
	v_lshrrev_b32_e32 v40, 1, v40
	v_perm_b32 v42, s5, 0xfdfeff00, v39
	v_perm_b32 v39, s7, 0x3020100, v39
	v_and_or_b32 v11, v11, s8, 0x3020100
	v_perm_b32 v45, s5, 0xfdfeff00, v43
	v_perm_b32 v43, s7, 0x3020100, v43
	v_lshrrev_b32_e32 v10, 1, v10
	v_and_or_b32 v40, v40, s8, 0x3020100
	v_and_b32_e32 v41, 0x7070707, v38
	v_lshrrev_b32_e32 v38, 1, v38
	v_ashrrev_i32_e32 v47, 4, v9
	v_perm_b32 v48, s5, 0xfdfeff00, v46
	v_perm_b32 v46, s7, 0x3020100, v46
	v_and_or_b32 v10, v10, s8, 0x3020100
	v_perm_b32 v11, v42, v39, v11
	v_perm_b32 v39, v45, v43, v40
	v_ashrrev_i32_e32 v43, 4, v8
	v_and_b32_e32 v45, 0x7070707, v8
	v_lshrrev_b32_e32 v8, 1, v8
	v_perm_b32 v44, s5, 0xfdfeff00, v41
	v_perm_b32 v41, s7, 0x3020100, v41
	v_and_or_b32 v38, v38, s8, 0x3020100
	v_and_b32_e32 v49, 0x7070707, v47
	v_perm_b32 v10, v48, v46, v10
	v_lshrrev_b32_e32 v42, 1, v47
	v_and_b32_e32 v46, 0x7070707, v43
	v_lshrrev_b32_e32 v43, 1, v43
	v_perm_b32 v47, s5, 0xfdfeff00, v45
	v_perm_b32 v45, s7, 0x3020100, v45
	v_and_or_b32 v8, v8, s8, 0x3020100
	v_perm_b32 v38, v44, v41, v38
	v_and_b32_e32 v44, 0x7070707, v9
	v_lshrrev_b32_e32 v9, 1, v9
	v_perm_b32 v48, s5, 0xfdfeff00, v46
	v_perm_b32 v46, s7, 0x3020100, v46
	v_and_or_b32 v43, v43, s8, 0x3020100
	v_perm_b32 v8, v47, v45, v8
	v_perm_b32 v40, s5, 0xfdfeff00, v49
	;; [unrolled: 1-line block ×5, first 2 shown]
	v_and_or_b32 v9, v9, s8, 0x3020100
	v_perm_b32 v43, v48, v46, v43
	s_wait_loadcnt 0x4
	v_dot4_i32_iu8 v1, v10, v1, 0 neg_lo:[1,1,0]
	s_wait_loadcnt 0x3
	v_dot4_i32_iu8 v5, v8, v5, 0 neg_lo:[1,1,0]
	;; [unrolled: 2-line block ×3, first 2 shown]
	v_and_or_b32 v42, v42, s8, 0x3020100
	v_perm_b32 v9, v49, v44, v9
	v_dot4_i32_iu8 v1, v39, v3, v1 neg_lo:[1,1,0]
	v_dot4_i32_iu8 v3, v43, v7, v5 neg_lo:[1,1,0]
	;; [unrolled: 1-line block ×4, first 2 shown]
	v_perm_b32 v5, v40, v41, v42
	v_dot4_i32_iu8 v1, v11, v2, v1 neg_lo:[1,1,0]
	v_dot4_i32_iu8 v2, v9, v6, v3 neg_lo:[1,1,0]
	;; [unrolled: 1-line block ×4, first 2 shown]
	v_add_nc_u32_e32 v27, 16, v27
	v_dot4_i32_iu8 v1, v38, v32, v1 neg_lo:[1,1,0]
	v_dot4_i32_iu8 v0, v5, v0, v2 neg_lo:[1,1,0]
	v_cvt_f32_f16_e32 v2, v4
	v_dot4_i32_iu8 v3, v11, v14, v3 neg_lo:[1,1,0]
	v_dot4_i32_iu8 v4, v5, v12, v6 neg_lo:[1,1,0]
	v_cvt_f32_f16_e32 v5, v16
	v_cvt_f32_i32_e32 v0, v0
	v_mul_f32_e32 v6, v33, v2
	v_dot4_i32_iu8 v3, v38, v35, v3 neg_lo:[1,1,0]
	v_cvt_f32_i32_e32 v4, v4
	v_mul_f32_e32 v7, v36, v5
	v_cvt_f32_i32_e32 v1, v1
	v_fma_f32 v0, v6, v0, 0
	v_mul_f32_e32 v2, v34, v2
	v_cvt_f32_i32_e32 v3, v3
	v_fma_f32 v4, v7, v4, 0
	v_mul_f32_e32 v5, v37, v5
	v_cmp_le_u32_e32 vcc_lo, s21, v27
	v_fmac_f32_e32 v0, v2, v1
	v_add_co_u32 v22, s2, 0x480, v22
	s_delay_alu instid0(VALU_DEP_4) | instskip(SKIP_3) | instid1(VALU_DEP_3)
	v_fmac_f32_e32 v4, v5, v3
	s_wait_alu 0xf1ff
	v_add_co_ci_u32_e64 v23, null, 0, v23, s2
	v_add_f32_e32 v28, v28, v0
	v_dual_add_f32 v25, v25, v4 :: v_dual_add_nc_u32 v30, 32, v30
	s_or_b32 s3, vcc_lo, s3
	s_wait_alu 0xfffe
	s_and_not1_b32 exec_lo, exec_lo, s3
	s_cbranch_execz .LBB89_27
.LBB89_3:                               ; =>This Inner Loop Header: Depth=1
	s_wait_alu 0xfffe
	v_add_nc_u32_e32 v0, s4, v27
	s_mov_b32 s9, 0
	s_mov_b32 s11, exec_lo
	s_delay_alu instid0(VALU_DEP_1) | instskip(NEXT) | instid1(VALU_DEP_1)
	v_mad_co_i64_i32 v[0:1], null, v0, 36, s[12:13]
	v_add_co_u32 v2, vcc_lo, v0, v29
	s_wait_alu 0xfffd
	s_delay_alu instid0(VALU_DEP_2)
	v_add_co_ci_u32_e64 v3, null, 0, v1, vcc_lo
	v_add_co_u32 v0, vcc_lo, v0, v31
	s_wait_alu 0xfffd
	v_add_co_ci_u32_e64 v1, null, 0, v1, vcc_lo
	s_clause 0x1
	global_load_u16 v12, v[2:3], off
	global_load_b128 v[8:11], v[0:1], off offset:4
	s_clause 0x2
	global_load_b32 v32, v[22:23], off offset:32
	global_load_b128 v[0:3], v[22:23], off offset:16
	global_load_b128 v[4:7], v[22:23], off
	s_wait_loadcnt 0x4
	v_bfe_u32 v13, v12, 3, 4
	v_and_b32_e32 v36, 0xff, v12
	s_delay_alu instid0(VALU_DEP_2) | instskip(NEXT) | instid1(VALU_DEP_2)
	v_cmp_eq_u32_e32 vcc_lo, 0, v13
	v_cmpx_lt_i16_e32 0x7e, v36
	s_xor_b32 s11, exec_lo, s11
; %bb.4:                                ;   in Loop: Header=BB89_3 Depth=1
	v_cmp_ne_u16_e64 s2, 0x7f, v36
	s_and_b32 s9, s2, exec_lo
; %bb.5:                                ;   in Loop: Header=BB89_3 Depth=1
	s_and_not1_saveexec_b32 s11, s11
; %bb.6:                                ;   in Loop: Header=BB89_3 Depth=1
	v_cmp_ne_u16_e64 s2, 0, v36
	s_wait_alu 0xfffe
	s_and_not1_b32 s9, s9, exec_lo
	s_and_b32 s2, s2, exec_lo
	s_wait_alu 0xfffe
	s_or_b32 s9, s9, s2
; %bb.7:                                ;   in Loop: Header=BB89_3 Depth=1
	s_or_b32 exec_lo, exec_lo, s11
	v_dual_mov_b32 v33, 0 :: v_dual_and_b32 v14, 7, v12
	s_delay_alu instid0(VALU_DEP_1) | instskip(NEXT) | instid1(VALU_DEP_1)
	v_cvt_f32_ubyte0_e32 v14, v14
	v_fma_f32 v15, 0x3e000000, v14, 1.0
	s_wait_alu 0xfffd
	s_delay_alu instid0(VALU_DEP_1) | instskip(NEXT) | instid1(VALU_DEP_1)
	v_dual_cndmask_b32 v14, v15, v14 :: v_dual_add_nc_u32 v13, -7, v13
	v_cndmask_b32_e64 v13, v13, -9, vcc_lo
	s_delay_alu instid0(VALU_DEP_1) | instskip(NEXT) | instid1(VALU_DEP_1)
	v_ldexp_f32 v13, v14, v13
	v_mul_f32_e32 v38, 0.5, v13
	s_wait_alu 0xfffe
	s_and_saveexec_b32 s2, s9
; %bb.8:                                ;   in Loop: Header=BB89_3 Depth=1
	s_delay_alu instid0(VALU_DEP_1)
	v_mov_b32_e32 v33, v38
; %bb.9:                                ;   in Loop: Header=BB89_3 Depth=1
	s_wait_alu 0xfffe
	s_or_b32 exec_lo, exec_lo, s2
	v_lshrrev_b16 v37, 8, v12
	s_mov_b32 s9, 0
	s_mov_b32 s11, exec_lo
	s_delay_alu instid0(VALU_DEP_1) | instskip(NEXT) | instid1(VALU_DEP_1)
	v_and_b32_e32 v13, 0xffff, v37
	v_bfe_u32 v12, v13, 3, 4
	s_delay_alu instid0(VALU_DEP_1)
	v_cmp_eq_u32_e32 vcc_lo, 0, v12
	v_cmpx_lt_i16_e32 0x7e, v37
	s_xor_b32 s11, exec_lo, s11
; %bb.10:                               ;   in Loop: Header=BB89_3 Depth=1
	v_cmp_ne_u16_e64 s2, 0x7f, v37
	s_and_b32 s9, s2, exec_lo
; %bb.11:                               ;   in Loop: Header=BB89_3 Depth=1
	s_and_not1_saveexec_b32 s11, s11
; %bb.12:                               ;   in Loop: Header=BB89_3 Depth=1
	v_cmp_ne_u16_e64 s2, 0, v37
	s_wait_alu 0xfffe
	s_and_not1_b32 s9, s9, exec_lo
	s_and_b32 s2, s2, exec_lo
	s_wait_alu 0xfffe
	s_or_b32 s9, s9, s2
; %bb.13:                               ;   in Loop: Header=BB89_3 Depth=1
	s_or_b32 exec_lo, exec_lo, s11
	v_dual_mov_b32 v34, 0 :: v_dual_and_b32 v13, 7, v13
	s_delay_alu instid0(VALU_DEP_1) | instskip(NEXT) | instid1(VALU_DEP_1)
	v_cvt_f32_ubyte0_e32 v13, v13
	v_fma_f32 v14, 0x3e000000, v13, 1.0
	s_wait_alu 0xfffd
	s_delay_alu instid0(VALU_DEP_1) | instskip(NEXT) | instid1(VALU_DEP_1)
	v_dual_cndmask_b32 v13, v14, v13 :: v_dual_add_nc_u32 v12, -7, v12
	v_cndmask_b32_e64 v12, v12, -9, vcc_lo
	s_delay_alu instid0(VALU_DEP_1) | instskip(NEXT) | instid1(VALU_DEP_1)
	v_ldexp_f32 v12, v13, v12
	v_mul_f32_e32 v39, 0.5, v12
	s_wait_alu 0xfffe
	s_and_saveexec_b32 s2, s9
; %bb.14:                               ;   in Loop: Header=BB89_3 Depth=1
	s_delay_alu instid0(VALU_DEP_1)
	v_mov_b32_e32 v34, v39
; %bb.15:                               ;   in Loop: Header=BB89_3 Depth=1
	s_wait_alu 0xfffe
	s_or_b32 exec_lo, exec_lo, s2
	v_mad_co_u64_u32 v[16:17], null, v30, 36, v[20:21]
	s_mov_b32 s2, 0
	s_mov_b32 s9, exec_lo
	s_clause 0x2
	global_load_b32 v35, v[16:17], off offset:32
	global_load_b128 v[12:15], v[16:17], off offset:16
	global_load_b128 v[16:19], v[16:17], off
	v_cmpx_lt_i16_e32 0x7e, v36
	s_wait_alu 0xfffe
	s_xor_b32 s9, exec_lo, s9
	s_cbranch_execnz .LBB89_22
; %bb.16:                               ;   in Loop: Header=BB89_3 Depth=1
	s_wait_alu 0xfffe
	s_and_not1_saveexec_b32 s9, s9
	s_cbranch_execnz .LBB89_23
.LBB89_17:                              ;   in Loop: Header=BB89_3 Depth=1
	s_wait_alu 0xfffe
	s_or_b32 exec_lo, exec_lo, s9
	v_mov_b32_e32 v36, 0
	s_and_saveexec_b32 s9, s2
.LBB89_18:                              ;   in Loop: Header=BB89_3 Depth=1
	v_mov_b32_e32 v36, v38
.LBB89_19:                              ;   in Loop: Header=BB89_3 Depth=1
	s_wait_alu 0xfffe
	s_or_b32 exec_lo, exec_lo, s9
	s_mov_b32 s2, 0
	s_mov_b32 s9, exec_lo
	v_cmpx_lt_i16_e32 0x7e, v37
	s_wait_alu 0xfffe
	s_xor_b32 s9, exec_lo, s9
	s_cbranch_execnz .LBB89_24
; %bb.20:                               ;   in Loop: Header=BB89_3 Depth=1
	s_wait_alu 0xfffe
	s_and_not1_saveexec_b32 s9, s9
	s_cbranch_execnz .LBB89_25
.LBB89_21:                              ;   in Loop: Header=BB89_3 Depth=1
	s_wait_alu 0xfffe
	s_or_b32 exec_lo, exec_lo, s9
	v_mov_b32_e32 v37, 0
	s_and_saveexec_b32 s9, s2
	s_cbranch_execz .LBB89_2
	s_branch .LBB89_26
.LBB89_22:                              ;   in Loop: Header=BB89_3 Depth=1
	v_cmp_ne_u16_e32 vcc_lo, 0x7f, v36
                                        ; implicit-def: $vgpr36
	s_and_b32 s2, vcc_lo, exec_lo
	s_wait_alu 0xfffe
	s_and_not1_saveexec_b32 s9, s9
	s_cbranch_execz .LBB89_17
.LBB89_23:                              ;   in Loop: Header=BB89_3 Depth=1
	v_cmp_ne_u16_e32 vcc_lo, 0, v36
	s_and_not1_b32 s2, s2, exec_lo
	s_and_b32 s11, vcc_lo, exec_lo
	s_wait_alu 0xfffe
	s_or_b32 s2, s2, s11
	s_or_b32 exec_lo, exec_lo, s9
	v_mov_b32_e32 v36, 0
	s_wait_alu 0xfffe
	s_and_saveexec_b32 s9, s2
	s_cbranch_execnz .LBB89_18
	s_branch .LBB89_19
.LBB89_24:                              ;   in Loop: Header=BB89_3 Depth=1
	v_cmp_ne_u16_e32 vcc_lo, 0x7f, v37
                                        ; implicit-def: $vgpr37
	s_and_b32 s2, vcc_lo, exec_lo
	s_wait_alu 0xfffe
	s_and_not1_saveexec_b32 s9, s9
	s_cbranch_execz .LBB89_21
.LBB89_25:                              ;   in Loop: Header=BB89_3 Depth=1
	v_cmp_ne_u16_e32 vcc_lo, 0, v37
	s_and_not1_b32 s2, s2, exec_lo
	s_and_b32 s11, vcc_lo, exec_lo
	s_wait_alu 0xfffe
	s_or_b32 s2, s2, s11
	s_or_b32 exec_lo, exec_lo, s9
	v_mov_b32_e32 v37, 0
	s_wait_alu 0xfffe
	s_and_saveexec_b32 s9, s2
	s_cbranch_execz .LBB89_2
.LBB89_26:                              ;   in Loop: Header=BB89_3 Depth=1
	v_mov_b32_e32 v37, v39
	s_branch .LBB89_2
.LBB89_27:
	s_or_b32 exec_lo, exec_lo, s3
.LBB89_28:
	s_delay_alu instid0(SALU_CYCLE_1)
	s_or_b32 exec_lo, exec_lo, s22
	s_mov_b32 s3, 0
	; wave barrier
	global_inv scope:SCOPE_SE
	s_mov_b32 s2, exec_lo
	v_cmpx_eq_u32_e32 0, v26
	s_cbranch_execz .LBB89_33
; %bb.29:
	v_mbcnt_lo_u32_b32 v4, -1, 0
	s_load_b64 s[0:1], s[0:1], 0x38
	s_mul_i32 s2, s10, s19
	s_mul_i32 s4, s18, s20
	s_wait_alu 0xfffe
	s_add_co_i32 s2, s2, ttmp9
	v_xor_b32_e32 v0, 16, v4
	v_xor_b32_e32 v1, 8, v4
	;; [unrolled: 1-line block ×3, first 2 shown]
	s_wait_alu 0xfffe
	s_add_co_i32 s2, s2, s4
	s_wait_alu 0xfffe
	s_lshl_b64 s[2:3], s[2:3], 2
	v_cmp_gt_i32_e32 vcc_lo, 32, v0
	s_wait_alu 0xfffd
	v_cndmask_b32_e32 v0, v4, v0, vcc_lo
	v_cmp_gt_i32_e32 vcc_lo, 32, v1
	s_wait_kmcnt 0x0
	s_wait_alu 0xfffe
	s_add_nc_u64 s[0:1], s[0:1], s[2:3]
	s_wait_alu 0xfffd
	v_cndmask_b32_e32 v1, v4, v1, vcc_lo
	s_delay_alu instid0(VALU_DEP_1)
	v_lshlrev_b32_e32 v1, 2, v1
	v_lshlrev_b32_e32 v0, 2, v0
	ds_bpermute_b32 v2, v0, v28
	s_wait_dscnt 0x0
	v_add_f32_e32 v3, v28, v2
	v_xor_b32_e32 v2, 4, v4
	ds_bpermute_b32 v5, v1, v3
	v_cmp_gt_i32_e32 vcc_lo, 32, v2
	s_wait_dscnt 0x0
	s_wait_alu 0xfffd
	v_dual_cndmask_b32 v2, v4, v2 :: v_dual_add_f32 v5, v3, v5
	s_delay_alu instid0(VALU_DEP_1)
	v_lshlrev_b32_e32 v2, 2, v2
	v_xor_b32_e32 v3, 2, v4
	ds_bpermute_b32 v6, v2, v5
	v_cmp_gt_i32_e32 vcc_lo, 32, v3
	s_wait_alu 0xfffd
	v_cndmask_b32_e32 v3, v4, v3, vcc_lo
	v_cmp_gt_i32_e32 vcc_lo, 32, v7
	s_wait_alu 0xfffd
	v_cndmask_b32_e32 v4, v4, v7, vcc_lo
	v_cmp_eq_u32_e32 vcc_lo, 0, v24
	s_delay_alu instid0(VALU_DEP_2)
	v_lshlrev_b32_e32 v4, 2, v4
	v_lshlrev_b32_e32 v3, 2, v3
	s_wait_dscnt 0x0
	v_add_f32_e32 v5, v5, v6
	ds_bpermute_b32 v6, v3, v5
	s_wait_dscnt 0x0
	v_add_f32_e32 v5, v5, v6
	ds_bpermute_b32 v6, v4, v5
	s_and_saveexec_b32 s2, vcc_lo
	s_cbranch_execz .LBB89_31
; %bb.30:
	s_wait_dscnt 0x0
	v_dual_add_f32 v5, v5, v6 :: v_dual_mov_b32 v6, 0
	global_store_b32 v6, v5, s[0:1]
.LBB89_31:
	s_wait_alu 0xfffe
	s_or_b32 exec_lo, exec_lo, s2
	ds_bpermute_b32 v0, v0, v25
	s_wait_dscnt 0x0
	v_add_f32_e32 v0, v25, v0
	ds_bpermute_b32 v1, v1, v0
	s_wait_dscnt 0x0
	v_add_f32_e32 v0, v0, v1
	;; [unrolled: 3-line block ×4, first 2 shown]
	ds_bpermute_b32 v1, v4, v0
	s_and_b32 exec_lo, exec_lo, vcc_lo
	s_cbranch_execz .LBB89_33
; %bb.32:
	s_mov_b32 s7, 0
	s_wait_dscnt 0x0
	v_dual_add_f32 v0, v0, v1 :: v_dual_mov_b32 v1, 0
	s_wait_alu 0xfffe
	s_lshl_b64 s[2:3], s[6:7], 2
	s_wait_alu 0xfffe
	s_add_nc_u64 s[0:1], s[0:1], s[2:3]
	global_store_b32 v1, v0, s[0:1]
.LBB89_33:
	s_endpgm
	.section	.rodata,"a",@progbits
	.p2align	6, 0x0
	.amdhsa_kernel _ZL13mul_mat_vec_qIL9ggml_type40ELi2ELb0ELb0EEvPKvS2_PKi31ggml_cuda_mm_fusion_args_devicePfj15HIP_vector_typeIjLj3EEjjjS8_jjjS8_jjjj
		.amdhsa_group_segment_fixed_size 0
		.amdhsa_private_segment_fixed_size 0
		.amdhsa_kernarg_size 144
		.amdhsa_user_sgpr_count 2
		.amdhsa_user_sgpr_dispatch_ptr 0
		.amdhsa_user_sgpr_queue_ptr 0
		.amdhsa_user_sgpr_kernarg_segment_ptr 1
		.amdhsa_user_sgpr_dispatch_id 0
		.amdhsa_user_sgpr_private_segment_size 0
		.amdhsa_wavefront_size32 1
		.amdhsa_uses_dynamic_stack 0
		.amdhsa_enable_private_segment 0
		.amdhsa_system_sgpr_workgroup_id_x 1
		.amdhsa_system_sgpr_workgroup_id_y 1
		.amdhsa_system_sgpr_workgroup_id_z 1
		.amdhsa_system_sgpr_workgroup_info 0
		.amdhsa_system_vgpr_workitem_id 1
		.amdhsa_next_free_vgpr 50
		.amdhsa_next_free_sgpr 30
		.amdhsa_reserve_vcc 1
		.amdhsa_float_round_mode_32 0
		.amdhsa_float_round_mode_16_64 0
		.amdhsa_float_denorm_mode_32 3
		.amdhsa_float_denorm_mode_16_64 3
		.amdhsa_fp16_overflow 0
		.amdhsa_workgroup_processor_mode 1
		.amdhsa_memory_ordered 1
		.amdhsa_forward_progress 1
		.amdhsa_inst_pref_size 19
		.amdhsa_round_robin_scheduling 0
		.amdhsa_exception_fp_ieee_invalid_op 0
		.amdhsa_exception_fp_denorm_src 0
		.amdhsa_exception_fp_ieee_div_zero 0
		.amdhsa_exception_fp_ieee_overflow 0
		.amdhsa_exception_fp_ieee_underflow 0
		.amdhsa_exception_fp_ieee_inexact 0
		.amdhsa_exception_int_div_zero 0
	.end_amdhsa_kernel
	.section	.text._ZL13mul_mat_vec_qIL9ggml_type40ELi2ELb0ELb0EEvPKvS2_PKi31ggml_cuda_mm_fusion_args_devicePfj15HIP_vector_typeIjLj3EEjjjS8_jjjS8_jjjj,"axG",@progbits,_ZL13mul_mat_vec_qIL9ggml_type40ELi2ELb0ELb0EEvPKvS2_PKi31ggml_cuda_mm_fusion_args_devicePfj15HIP_vector_typeIjLj3EEjjjS8_jjjS8_jjjj,comdat
.Lfunc_end89:
	.size	_ZL13mul_mat_vec_qIL9ggml_type40ELi2ELb0ELb0EEvPKvS2_PKi31ggml_cuda_mm_fusion_args_devicePfj15HIP_vector_typeIjLj3EEjjjS8_jjjS8_jjjj, .Lfunc_end89-_ZL13mul_mat_vec_qIL9ggml_type40ELi2ELb0ELb0EEvPKvS2_PKi31ggml_cuda_mm_fusion_args_devicePfj15HIP_vector_typeIjLj3EEjjjS8_jjjS8_jjjj
                                        ; -- End function
	.set _ZL13mul_mat_vec_qIL9ggml_type40ELi2ELb0ELb0EEvPKvS2_PKi31ggml_cuda_mm_fusion_args_devicePfj15HIP_vector_typeIjLj3EEjjjS8_jjjS8_jjjj.num_vgpr, 50
	.set _ZL13mul_mat_vec_qIL9ggml_type40ELi2ELb0ELb0EEvPKvS2_PKi31ggml_cuda_mm_fusion_args_devicePfj15HIP_vector_typeIjLj3EEjjjS8_jjjS8_jjjj.num_agpr, 0
	.set _ZL13mul_mat_vec_qIL9ggml_type40ELi2ELb0ELb0EEvPKvS2_PKi31ggml_cuda_mm_fusion_args_devicePfj15HIP_vector_typeIjLj3EEjjjS8_jjjS8_jjjj.numbered_sgpr, 30
	.set _ZL13mul_mat_vec_qIL9ggml_type40ELi2ELb0ELb0EEvPKvS2_PKi31ggml_cuda_mm_fusion_args_devicePfj15HIP_vector_typeIjLj3EEjjjS8_jjjS8_jjjj.num_named_barrier, 0
	.set _ZL13mul_mat_vec_qIL9ggml_type40ELi2ELb0ELb0EEvPKvS2_PKi31ggml_cuda_mm_fusion_args_devicePfj15HIP_vector_typeIjLj3EEjjjS8_jjjS8_jjjj.private_seg_size, 0
	.set _ZL13mul_mat_vec_qIL9ggml_type40ELi2ELb0ELb0EEvPKvS2_PKi31ggml_cuda_mm_fusion_args_devicePfj15HIP_vector_typeIjLj3EEjjjS8_jjjS8_jjjj.uses_vcc, 1
	.set _ZL13mul_mat_vec_qIL9ggml_type40ELi2ELb0ELb0EEvPKvS2_PKi31ggml_cuda_mm_fusion_args_devicePfj15HIP_vector_typeIjLj3EEjjjS8_jjjS8_jjjj.uses_flat_scratch, 0
	.set _ZL13mul_mat_vec_qIL9ggml_type40ELi2ELb0ELb0EEvPKvS2_PKi31ggml_cuda_mm_fusion_args_devicePfj15HIP_vector_typeIjLj3EEjjjS8_jjjS8_jjjj.has_dyn_sized_stack, 0
	.set _ZL13mul_mat_vec_qIL9ggml_type40ELi2ELb0ELb0EEvPKvS2_PKi31ggml_cuda_mm_fusion_args_devicePfj15HIP_vector_typeIjLj3EEjjjS8_jjjS8_jjjj.has_recursion, 0
	.set _ZL13mul_mat_vec_qIL9ggml_type40ELi2ELb0ELb0EEvPKvS2_PKi31ggml_cuda_mm_fusion_args_devicePfj15HIP_vector_typeIjLj3EEjjjS8_jjjS8_jjjj.has_indirect_call, 0
	.section	.AMDGPU.csdata,"",@progbits
; Kernel info:
; codeLenInByte = 2412
; TotalNumSgprs: 32
; NumVgprs: 50
; ScratchSize: 0
; MemoryBound: 0
; FloatMode: 240
; IeeeMode: 1
; LDSByteSize: 0 bytes/workgroup (compile time only)
; SGPRBlocks: 0
; VGPRBlocks: 6
; NumSGPRsForWavesPerEU: 32
; NumVGPRsForWavesPerEU: 50
; Occupancy: 16
; WaveLimiterHint : 0
; COMPUTE_PGM_RSRC2:SCRATCH_EN: 0
; COMPUTE_PGM_RSRC2:USER_SGPR: 2
; COMPUTE_PGM_RSRC2:TRAP_HANDLER: 0
; COMPUTE_PGM_RSRC2:TGID_X_EN: 1
; COMPUTE_PGM_RSRC2:TGID_Y_EN: 1
; COMPUTE_PGM_RSRC2:TGID_Z_EN: 1
; COMPUTE_PGM_RSRC2:TIDIG_COMP_CNT: 1
	.section	.text._ZL13mul_mat_vec_qIL9ggml_type40ELi3ELb0ELb0EEvPKvS2_PKi31ggml_cuda_mm_fusion_args_devicePfj15HIP_vector_typeIjLj3EEjjjS8_jjjS8_jjjj,"axG",@progbits,_ZL13mul_mat_vec_qIL9ggml_type40ELi3ELb0ELb0EEvPKvS2_PKi31ggml_cuda_mm_fusion_args_devicePfj15HIP_vector_typeIjLj3EEjjjS8_jjjS8_jjjj,comdat
	.globl	_ZL13mul_mat_vec_qIL9ggml_type40ELi3ELb0ELb0EEvPKvS2_PKi31ggml_cuda_mm_fusion_args_devicePfj15HIP_vector_typeIjLj3EEjjjS8_jjjS8_jjjj ; -- Begin function _ZL13mul_mat_vec_qIL9ggml_type40ELi3ELb0ELb0EEvPKvS2_PKi31ggml_cuda_mm_fusion_args_devicePfj15HIP_vector_typeIjLj3EEjjjS8_jjjS8_jjjj
	.p2align	8
	.type	_ZL13mul_mat_vec_qIL9ggml_type40ELi3ELb0ELb0EEvPKvS2_PKi31ggml_cuda_mm_fusion_args_devicePfj15HIP_vector_typeIjLj3EEjjjS8_jjjS8_jjjj,@function
_ZL13mul_mat_vec_qIL9ggml_type40ELi3ELb0ELb0EEvPKvS2_PKi31ggml_cuda_mm_fusion_args_devicePfj15HIP_vector_typeIjLj3EEjjjS8_jjjS8_jjjj: ; @_ZL13mul_mat_vec_qIL9ggml_type40ELi3ELb0ELb0EEvPKvS2_PKi31ggml_cuda_mm_fusion_args_devicePfj15HIP_vector_typeIjLj3EEjjjS8_jjjS8_jjjj
; %bb.0:
	v_bfe_u32 v34, v0, 10, 10
	s_clause 0x5
	s_load_b32 s2, s[0:1], 0x40
	s_load_b96 s[16:18], s[0:1], 0x80
	s_load_b128 s[4:7], s[0:1], 0x50
	s_load_b32 s23, s[0:1], 0x60
	s_load_b128 s[8:11], s[0:1], 0x68
	s_load_b32 s24, s[0:1], 0x78
	v_dual_mov_b32 v33, 0 :: v_dual_and_b32 v32, 0x3ff, v0
	v_dual_mov_b32 v35, 0 :: v_dual_lshlrev_b32 v0, 5, v34
	s_and_b32 s19, ttmp7, 0xffff
	s_lshr_b32 s20, ttmp7, 16
	s_mov_b32 s21, exec_lo
	s_delay_alu instid0(VALU_DEP_1) | instskip(SKIP_1) | instid1(VALU_DEP_2)
	v_add_nc_u16 v0, v0, v32
	v_mov_b32_e32 v37, 0
	v_lshrrev_b16 v0, 1, v0
	s_delay_alu instid0(VALU_DEP_1)
	v_and_b32_e32 v36, 0xffff, v0
	s_wait_kmcnt 0x0
	s_lshr_b32 s22, s2, 6
	s_delay_alu instid0(VALU_DEP_1) | instid1(SALU_CYCLE_1)
	v_cmpx_gt_u32_e64 s22, v36
	s_cbranch_execz .LBB90_40
; %bb.1:
	s_mov_b32 s3, 0
	s_mul_i32 s26, s9, s19
	s_mov_b32 s27, s3
	s_load_b128 s[12:15], s[0:1], 0x0
	s_mul_u64 s[26:27], s[26:27], 36
	s_mul_i32 s2, s17, s20
	v_mad_co_u64_u32 v[0:1], null, 0x48, v36, s[26:27]
	v_and_b32_e32 v3, 1, v32
	s_mul_hi_u32 s7, s7, s19
	s_mul_hi_u32 s9, s11, s20
	v_dual_mov_b32 v33, 0 :: v_dual_lshlrev_b32 v2, 2, v32
	s_mul_u64 s[28:29], s[2:3], 36
	s_delay_alu instid0(VALU_DEP_3)
	v_mad_co_u64_u32 v[0:1], null, s2, 36, v[0:1]
	s_add_co_i32 s7, s19, s7
	s_add_co_i32 s9, s20, s9
	s_lshr_b32 s7, s7, s23
	s_lshr_b32 s11, s9, s24
	s_mul_i32 s2, s7, s8
	v_dual_mov_b32 v35, 0 :: v_dual_and_b32 v2, 4, v2
	v_mad_co_u64_u32 v[0:1], null, v3, 36, v[0:1]
	s_wait_kmcnt 0x0
	s_add_nc_u64 s[24:25], s[14:15], s[28:29]
	s_mul_i32 s4, s4, ttmp9
	s_add_nc_u64 s[8:9], s[24:25], s[26:27]
	v_lshrrev_b32_e32 v38, 1, v2
	v_mad_co_u64_u32 v[28:29], null, v3, 36, s[8:9]
	s_delay_alu instid0(VALU_DEP_3)
	v_add_co_u32 v30, vcc_lo, s14, v0
	v_add_lshl_u32 v39, s5, v36, 1
	v_add_co_ci_u32_e64 v31, null, s15, v1, vcc_lo
	v_lshl_add_u32 v40, v36, 1, s5
	v_lshlrev_b32_e32 v41, 2, v2
	v_mov_b32_e32 v37, 0
	s_mul_i32 s7, s11, s16
	s_wait_alu 0xfffe
	s_add_co_i32 s2, s2, s4
	s_mov_b32 s5, 0xf4f8fafc
	s_wait_alu 0xfffe
	s_add_co_i32 s4, s7, s2
	s_mov_b32 s7, 0xc080604
	s_mov_b32 s8, 0x4040404
	s_branch .LBB90_3
.LBB90_2:                               ;   in Loop: Header=BB90_3 Depth=1
	s_wait_alu 0xfffe
	s_or_b32 exec_lo, exec_lo, s9
	s_wait_loadcnt 0x9
	v_ashrrev_i32_e32 v52, 4, v10
	v_and_b32_e32 v59, 0x7070707, v10
	v_lshrrev_b32_e32 v10, 1, v10
	v_ashrrev_i32_e32 v51, 4, v11
	v_ashrrev_i32_e32 v60, 4, v9
	v_and_b32_e32 v55, 0x7070707, v52
	v_lshrrev_b32_e32 v52, 1, v52
	v_perm_b32 v61, s5, 0xfdfeff00, v59
	v_perm_b32 v59, s7, 0x3020100, v59
	v_and_or_b32 v10, v10, s8, 0x3020100
	v_perm_b32 v58, s5, 0xfdfeff00, v55
	v_perm_b32 v55, s7, 0x3020100, v55
	v_and_or_b32 v52, v52, s8, 0x3020100
	s_wait_loadcnt 0x3
	v_cvt_f32_f16_e32 v12, v12
	v_and_b32_e32 v53, 0x7070707, v11
	v_lshrrev_b32_e32 v11, 1, v11
	v_perm_b32 v10, v61, v59, v10
	v_and_b32_e32 v62, 0x7070707, v60
	v_perm_b32 v52, v58, v55, v52
	v_perm_b32 v56, s5, 0xfdfeff00, v53
	;; [unrolled: 1-line block ×3, first 2 shown]
	v_and_or_b32 v11, v11, s8, 0x3020100
	v_ashrrev_i32_e32 v58, 4, v8
	v_lshrrev_b32_e32 v59, 1, v60
	v_and_b32_e32 v60, 0x7070707, v8
	v_lshrrev_b32_e32 v8, 1, v8
	v_dot4_i32_iu8 v1, v10, v1, 0 neg_lo:[1,1,0]
	v_and_b32_e32 v63, 0x7070707, v58
	v_lshrrev_b32_e32 v58, 1, v58
	v_perm_b32 v64, s5, 0xfdfeff00, v60
	v_perm_b32 v60, s7, 0x3020100, v60
	v_and_or_b32 v8, v8, s8, 0x3020100
	v_perm_b32 v11, v56, v53, v11
	v_dot4_i32_iu8 v1, v52, v3, v1 neg_lo:[1,1,0]
	v_perm_b32 v65, s5, 0xfdfeff00, v63
	v_perm_b32 v63, s7, 0x3020100, v63
	v_and_or_b32 v58, v58, s8, 0x3020100
	v_perm_b32 v8, v64, v60, v8
	v_dot4_i32_iu8 v1, v11, v2, v1 neg_lo:[1,1,0]
	v_cvt_f32_f16_e32 v2, v4
	v_and_b32_e32 v61, 0x7070707, v9
	v_lshrrev_b32_e32 v9, 1, v9
	v_perm_b32 v58, v65, v63, v58
	v_dot4_i32_iu8 v13, v8, v13, 0 neg_lo:[1,1,0]
	v_perm_b32 v55, s5, 0xfdfeff00, v62
	v_perm_b32 v60, s5, 0xfdfeff00, v61
	;; [unrolled: 1-line block ×3, first 2 shown]
	v_and_or_b32 v9, v9, s8, 0x3020100
	v_perm_b32 v62, s7, 0x3020100, v62
	v_dot4_i32_iu8 v17, v10, v17, 0 neg_lo:[1,1,0]
	v_and_or_b32 v59, v59, s8, 0x3020100
	v_dot4_i32_iu8 v13, v58, v15, v13 neg_lo:[1,1,0]
	v_perm_b32 v9, v60, v61, v9
	v_dot4_i32_iu8 v5, v8, v5, 0 neg_lo:[1,1,0]
	v_dot4_i32_iu8 v15, v52, v19, v17 neg_lo:[1,1,0]
	v_perm_b32 v17, v55, v62, v59
	s_wait_loadcnt 0x0
	v_dot4_i32_iu8 v8, v8, v25, 0 neg_lo:[1,1,0]
	v_dot4_i32_iu8 v13, v9, v14, v13 neg_lo:[1,1,0]
	v_and_b32_e32 v54, 0x7070707, v51
	v_lshrrev_b32_e32 v51, 1, v51
	v_dot4_i32_iu8 v5, v58, v7, v5 neg_lo:[1,1,0]
	v_dot4_i32_iu8 v8, v58, v27, v8 neg_lo:[1,1,0]
	;; [unrolled: 1-line block ×4, first 2 shown]
	v_and_or_b32 v51, v51, s8, 0x3020100
	v_dot4_i32_iu8 v3, v9, v6, v5 neg_lo:[1,1,0]
	v_mul_f32_e32 v5, v47, v12
	v_perm_b32 v57, s5, 0xfdfeff00, v54
	v_perm_b32 v54, s7, 0x3020100, v54
	v_dot4_i32_iu8 v16, v52, v23, v16 neg_lo:[1,1,0]
	v_dot4_i32_iu8 v6, v9, v26, v8 neg_lo:[1,1,0]
	;; [unrolled: 1-line block ×3, first 2 shown]
	v_cvt_f32_f16_e32 v4, v24
	v_perm_b32 v14, v57, v54, v51
	v_dot4_i32_iu8 v10, v11, v22, v16 neg_lo:[1,1,0]
	v_dot4_i32_iu8 v3, v17, v20, v6 neg_lo:[1,1,0]
	;; [unrolled: 1-line block ×3, first 2 shown]
	v_mul_f32_e32 v9, v49, v4
	v_cvt_f32_i32_e32 v13, v13
	v_dot4_i32_iu8 v8, v14, v48, v10 neg_lo:[1,1,0]
	v_cvt_f32_i32_e32 v3, v3
	v_dot4_i32_iu8 v15, v14, v45, v15 neg_lo:[1,1,0]
	v_mul_f32_e32 v18, v46, v12
	v_dot4_i32_iu8 v1, v14, v42, v1 neg_lo:[1,1,0]
	v_cvt_f32_i32_e32 v0, v0
	v_mul_f32_e32 v6, v43, v2
	v_cvt_f32_i32_e32 v8, v8
	v_fma_f32 v3, v9, v3, 0
	v_mul_f32_e32 v4, v50, v4
	v_cvt_f32_i32_e32 v15, v15
	v_fma_f32 v7, v18, v13, 0
	v_cvt_f32_i32_e32 v1, v1
	v_fma_f32 v0, v6, v0, 0
	v_mul_f32_e32 v2, v44, v2
	v_fmac_f32_e32 v3, v4, v8
	v_dual_fmac_f32 v7, v5, v15 :: v_dual_add_nc_u32 v36, 16, v36
	v_add_co_u32 v30, s2, 0x480, v30
	s_delay_alu instid0(VALU_DEP_3) | instskip(NEXT) | instid1(VALU_DEP_3)
	v_dual_fmac_f32 v0, v2, v1 :: v_dual_add_f32 v33, v33, v3
	v_cmp_le_u32_e32 vcc_lo, s22, v36
	s_delay_alu instid0(VALU_DEP_4) | instskip(SKIP_1) | instid1(VALU_DEP_4)
	v_add_f32_e32 v35, v35, v7
	v_add_nc_u32_e32 v39, 32, v39
	v_add_f32_e32 v37, v37, v0
	s_wait_alu 0xf1ff
	v_add_co_ci_u32_e64 v31, null, 0, v31, s2
	v_add_nc_u32_e32 v40, 32, v40
	s_or_b32 s3, vcc_lo, s3
	s_wait_alu 0xfffe
	s_and_not1_b32 exec_lo, exec_lo, s3
	s_cbranch_execz .LBB90_39
.LBB90_3:                               ; =>This Inner Loop Header: Depth=1
	s_wait_alu 0xfffe
	v_add_nc_u32_e32 v0, s4, v36
	s_mov_b32 s9, 0
	s_mov_b32 s11, exec_lo
	s_delay_alu instid0(VALU_DEP_1) | instskip(NEXT) | instid1(VALU_DEP_1)
	v_mad_co_i64_i32 v[0:1], null, v0, 36, s[12:13]
	v_add_co_u32 v2, vcc_lo, v0, v38
	s_wait_alu 0xfffd
	s_delay_alu instid0(VALU_DEP_2)
	v_add_co_ci_u32_e64 v3, null, 0, v1, vcc_lo
	v_add_co_u32 v0, vcc_lo, v0, v41
	s_wait_alu 0xfffd
	v_add_co_ci_u32_e64 v1, null, 0, v1, vcc_lo
	s_clause 0x1
	global_load_u16 v12, v[2:3], off
	global_load_b128 v[8:11], v[0:1], off offset:4
	s_clause 0x2
	global_load_b32 v42, v[30:31], off offset:32
	global_load_b128 v[0:3], v[30:31], off offset:16
	global_load_b128 v[4:7], v[30:31], off
	s_wait_loadcnt 0x4
	v_bfe_u32 v13, v12, 3, 4
	v_and_b32_e32 v49, 0xff, v12
	s_delay_alu instid0(VALU_DEP_2) | instskip(NEXT) | instid1(VALU_DEP_2)
	v_cmp_eq_u32_e32 vcc_lo, 0, v13
	v_cmpx_lt_i16_e32 0x7e, v49
	s_xor_b32 s11, exec_lo, s11
; %bb.4:                                ;   in Loop: Header=BB90_3 Depth=1
	v_cmp_ne_u16_e64 s2, 0x7f, v49
	s_and_b32 s9, s2, exec_lo
; %bb.5:                                ;   in Loop: Header=BB90_3 Depth=1
	s_and_not1_saveexec_b32 s11, s11
; %bb.6:                                ;   in Loop: Header=BB90_3 Depth=1
	v_cmp_ne_u16_e64 s2, 0, v49
	s_wait_alu 0xfffe
	s_and_not1_b32 s9, s9, exec_lo
	s_and_b32 s2, s2, exec_lo
	s_wait_alu 0xfffe
	s_or_b32 s9, s9, s2
; %bb.7:                                ;   in Loop: Header=BB90_3 Depth=1
	s_or_b32 exec_lo, exec_lo, s11
	v_dual_mov_b32 v43, 0 :: v_dual_and_b32 v14, 7, v12
	s_delay_alu instid0(VALU_DEP_1) | instskip(NEXT) | instid1(VALU_DEP_1)
	v_cvt_f32_ubyte0_e32 v14, v14
	v_fma_f32 v15, 0x3e000000, v14, 1.0
	s_wait_alu 0xfffd
	s_delay_alu instid0(VALU_DEP_1) | instskip(NEXT) | instid1(VALU_DEP_1)
	v_dual_cndmask_b32 v14, v15, v14 :: v_dual_add_nc_u32 v13, -7, v13
	v_cndmask_b32_e64 v13, v13, -9, vcc_lo
	s_delay_alu instid0(VALU_DEP_1) | instskip(NEXT) | instid1(VALU_DEP_1)
	v_ldexp_f32 v13, v14, v13
	v_mul_f32_e32 v51, 0.5, v13
	s_wait_alu 0xfffe
	s_and_saveexec_b32 s2, s9
; %bb.8:                                ;   in Loop: Header=BB90_3 Depth=1
	s_delay_alu instid0(VALU_DEP_1)
	v_mov_b32_e32 v43, v51
; %bb.9:                                ;   in Loop: Header=BB90_3 Depth=1
	s_wait_alu 0xfffe
	s_or_b32 exec_lo, exec_lo, s2
	v_lshrrev_b16 v50, 8, v12
	s_mov_b32 s9, 0
	s_mov_b32 s11, exec_lo
	s_delay_alu instid0(VALU_DEP_1) | instskip(NEXT) | instid1(VALU_DEP_1)
	v_and_b32_e32 v13, 0xffff, v50
	v_bfe_u32 v12, v13, 3, 4
	s_delay_alu instid0(VALU_DEP_1)
	v_cmp_eq_u32_e32 vcc_lo, 0, v12
	v_cmpx_lt_i16_e32 0x7e, v50
	s_xor_b32 s11, exec_lo, s11
; %bb.10:                               ;   in Loop: Header=BB90_3 Depth=1
	v_cmp_ne_u16_e64 s2, 0x7f, v50
	s_and_b32 s9, s2, exec_lo
; %bb.11:                               ;   in Loop: Header=BB90_3 Depth=1
	s_and_not1_saveexec_b32 s11, s11
; %bb.12:                               ;   in Loop: Header=BB90_3 Depth=1
	v_cmp_ne_u16_e64 s2, 0, v50
	s_wait_alu 0xfffe
	s_and_not1_b32 s9, s9, exec_lo
	s_and_b32 s2, s2, exec_lo
	s_wait_alu 0xfffe
	s_or_b32 s9, s9, s2
; %bb.13:                               ;   in Loop: Header=BB90_3 Depth=1
	s_or_b32 exec_lo, exec_lo, s11
	v_dual_mov_b32 v44, 0 :: v_dual_and_b32 v13, 7, v13
	s_delay_alu instid0(VALU_DEP_1) | instskip(NEXT) | instid1(VALU_DEP_1)
	v_cvt_f32_ubyte0_e32 v13, v13
	v_fma_f32 v14, 0x3e000000, v13, 1.0
	s_wait_alu 0xfffd
	s_delay_alu instid0(VALU_DEP_1) | instskip(NEXT) | instid1(VALU_DEP_1)
	v_dual_cndmask_b32 v13, v14, v13 :: v_dual_add_nc_u32 v12, -7, v12
	v_cndmask_b32_e64 v12, v12, -9, vcc_lo
	s_delay_alu instid0(VALU_DEP_1) | instskip(NEXT) | instid1(VALU_DEP_1)
	v_ldexp_f32 v12, v13, v12
	v_mul_f32_e32 v52, 0.5, v12
	s_wait_alu 0xfffe
	s_and_saveexec_b32 s2, s9
; %bb.14:                               ;   in Loop: Header=BB90_3 Depth=1
	s_delay_alu instid0(VALU_DEP_1)
	v_mov_b32_e32 v44, v52
; %bb.15:                               ;   in Loop: Header=BB90_3 Depth=1
	s_wait_alu 0xfffe
	s_or_b32 exec_lo, exec_lo, s2
	v_mad_co_u64_u32 v[12:13], null, v40, 36, v[28:29]
	s_mov_b32 s2, 0
	s_mov_b32 s9, exec_lo
	s_clause 0x2
	global_load_b32 v45, v[12:13], off offset:32
	global_load_b128 v[16:19], v[12:13], off offset:16
	global_load_b128 v[12:15], v[12:13], off
	v_cmpx_lt_i16_e32 0x7e, v49
	s_wait_alu 0xfffe
	s_xor_b32 s9, exec_lo, s9
	s_cbranch_execnz .LBB90_30
; %bb.16:                               ;   in Loop: Header=BB90_3 Depth=1
	s_wait_alu 0xfffe
	s_and_not1_saveexec_b32 s9, s9
	s_cbranch_execnz .LBB90_31
.LBB90_17:                              ;   in Loop: Header=BB90_3 Depth=1
	s_wait_alu 0xfffe
	s_or_b32 exec_lo, exec_lo, s9
	v_mov_b32_e32 v46, 0
	s_and_saveexec_b32 s9, s2
.LBB90_18:                              ;   in Loop: Header=BB90_3 Depth=1
	v_mov_b32_e32 v46, v51
.LBB90_19:                              ;   in Loop: Header=BB90_3 Depth=1
	s_wait_alu 0xfffe
	s_or_b32 exec_lo, exec_lo, s9
	s_mov_b32 s2, 0
	s_mov_b32 s9, exec_lo
	v_cmpx_lt_i16_e32 0x7e, v50
	s_wait_alu 0xfffe
	s_xor_b32 s9, exec_lo, s9
	s_cbranch_execnz .LBB90_32
; %bb.20:                               ;   in Loop: Header=BB90_3 Depth=1
	s_wait_alu 0xfffe
	s_and_not1_saveexec_b32 s9, s9
	s_cbranch_execnz .LBB90_33
.LBB90_21:                              ;   in Loop: Header=BB90_3 Depth=1
	s_wait_alu 0xfffe
	s_or_b32 exec_lo, exec_lo, s9
	v_mov_b32_e32 v47, 0
	s_and_saveexec_b32 s9, s2
.LBB90_22:                              ;   in Loop: Header=BB90_3 Depth=1
	v_mov_b32_e32 v47, v52
.LBB90_23:                              ;   in Loop: Header=BB90_3 Depth=1
	s_wait_alu 0xfffe
	s_or_b32 exec_lo, exec_lo, s9
	v_mad_co_u64_u32 v[24:25], null, v39, 36, v[28:29]
	s_mov_b32 s2, 0
	s_mov_b32 s9, exec_lo
	s_clause 0x2
	global_load_b32 v48, v[24:25], off offset:32
	global_load_b128 v[20:23], v[24:25], off offset:16
	global_load_b128 v[24:27], v[24:25], off
	v_cmpx_lt_i16_e32 0x7e, v49
	s_wait_alu 0xfffe
	s_xor_b32 s9, exec_lo, s9
	s_cbranch_execnz .LBB90_34
; %bb.24:                               ;   in Loop: Header=BB90_3 Depth=1
	s_wait_alu 0xfffe
	s_and_not1_saveexec_b32 s9, s9
	s_cbranch_execnz .LBB90_35
.LBB90_25:                              ;   in Loop: Header=BB90_3 Depth=1
	s_wait_alu 0xfffe
	s_or_b32 exec_lo, exec_lo, s9
	v_mov_b32_e32 v49, 0
	s_and_saveexec_b32 s9, s2
.LBB90_26:                              ;   in Loop: Header=BB90_3 Depth=1
	v_mov_b32_e32 v49, v51
.LBB90_27:                              ;   in Loop: Header=BB90_3 Depth=1
	s_wait_alu 0xfffe
	s_or_b32 exec_lo, exec_lo, s9
	s_mov_b32 s2, 0
	s_mov_b32 s9, exec_lo
	v_cmpx_lt_i16_e32 0x7e, v50
	s_wait_alu 0xfffe
	s_xor_b32 s9, exec_lo, s9
	s_cbranch_execnz .LBB90_36
; %bb.28:                               ;   in Loop: Header=BB90_3 Depth=1
	s_wait_alu 0xfffe
	s_and_not1_saveexec_b32 s9, s9
	s_cbranch_execnz .LBB90_37
.LBB90_29:                              ;   in Loop: Header=BB90_3 Depth=1
	s_wait_alu 0xfffe
	s_or_b32 exec_lo, exec_lo, s9
	v_mov_b32_e32 v50, 0
	s_and_saveexec_b32 s9, s2
	s_cbranch_execz .LBB90_2
	s_branch .LBB90_38
.LBB90_30:                              ;   in Loop: Header=BB90_3 Depth=1
	v_cmp_ne_u16_e32 vcc_lo, 0x7f, v49
	s_and_b32 s2, vcc_lo, exec_lo
	s_wait_alu 0xfffe
	s_and_not1_saveexec_b32 s9, s9
	s_cbranch_execz .LBB90_17
.LBB90_31:                              ;   in Loop: Header=BB90_3 Depth=1
	v_cmp_ne_u16_e32 vcc_lo, 0, v49
	s_and_not1_b32 s2, s2, exec_lo
	s_and_b32 s11, vcc_lo, exec_lo
	s_wait_alu 0xfffe
	s_or_b32 s2, s2, s11
	s_or_b32 exec_lo, exec_lo, s9
	v_mov_b32_e32 v46, 0
	s_wait_alu 0xfffe
	s_and_saveexec_b32 s9, s2
	s_cbranch_execnz .LBB90_18
	s_branch .LBB90_19
.LBB90_32:                              ;   in Loop: Header=BB90_3 Depth=1
	v_cmp_ne_u16_e32 vcc_lo, 0x7f, v50
	s_and_b32 s2, vcc_lo, exec_lo
	s_wait_alu 0xfffe
	s_and_not1_saveexec_b32 s9, s9
	s_cbranch_execz .LBB90_21
.LBB90_33:                              ;   in Loop: Header=BB90_3 Depth=1
	v_cmp_ne_u16_e32 vcc_lo, 0, v50
	s_and_not1_b32 s2, s2, exec_lo
	s_and_b32 s11, vcc_lo, exec_lo
	s_wait_alu 0xfffe
	s_or_b32 s2, s2, s11
	s_or_b32 exec_lo, exec_lo, s9
	v_mov_b32_e32 v47, 0
	s_wait_alu 0xfffe
	s_and_saveexec_b32 s9, s2
	s_cbranch_execnz .LBB90_22
	s_branch .LBB90_23
.LBB90_34:                              ;   in Loop: Header=BB90_3 Depth=1
	v_cmp_ne_u16_e32 vcc_lo, 0x7f, v49
                                        ; implicit-def: $vgpr49
	s_and_b32 s2, vcc_lo, exec_lo
	s_wait_alu 0xfffe
	s_and_not1_saveexec_b32 s9, s9
	s_cbranch_execz .LBB90_25
.LBB90_35:                              ;   in Loop: Header=BB90_3 Depth=1
	v_cmp_ne_u16_e32 vcc_lo, 0, v49
	s_and_not1_b32 s2, s2, exec_lo
	s_and_b32 s11, vcc_lo, exec_lo
	s_wait_alu 0xfffe
	s_or_b32 s2, s2, s11
	s_or_b32 exec_lo, exec_lo, s9
	v_mov_b32_e32 v49, 0
	s_wait_alu 0xfffe
	s_and_saveexec_b32 s9, s2
	s_cbranch_execnz .LBB90_26
	s_branch .LBB90_27
.LBB90_36:                              ;   in Loop: Header=BB90_3 Depth=1
	v_cmp_ne_u16_e32 vcc_lo, 0x7f, v50
                                        ; implicit-def: $vgpr50
	s_and_b32 s2, vcc_lo, exec_lo
	s_wait_alu 0xfffe
	s_and_not1_saveexec_b32 s9, s9
	s_cbranch_execz .LBB90_29
.LBB90_37:                              ;   in Loop: Header=BB90_3 Depth=1
	v_cmp_ne_u16_e32 vcc_lo, 0, v50
	s_and_not1_b32 s2, s2, exec_lo
	s_and_b32 s11, vcc_lo, exec_lo
	s_wait_alu 0xfffe
	s_or_b32 s2, s2, s11
	s_or_b32 exec_lo, exec_lo, s9
	v_mov_b32_e32 v50, 0
	s_wait_alu 0xfffe
	s_and_saveexec_b32 s9, s2
	s_cbranch_execz .LBB90_2
.LBB90_38:                              ;   in Loop: Header=BB90_3 Depth=1
	v_mov_b32_e32 v50, v52
	s_branch .LBB90_2
.LBB90_39:
	s_or_b32 exec_lo, exec_lo, s3
.LBB90_40:
	s_delay_alu instid0(SALU_CYCLE_1)
	s_or_b32 exec_lo, exec_lo, s21
	s_mov_b32 s3, 0
	; wave barrier
	global_inv scope:SCOPE_SE
	s_mov_b32 s2, exec_lo
	v_cmpx_eq_u32_e32 0, v34
	s_cbranch_execz .LBB90_47
; %bb.41:
	v_mbcnt_lo_u32_b32 v4, -1, 0
	s_load_b64 s[0:1], s[0:1], 0x38
	s_mul_i32 s2, s10, s19
	s_mul_i32 s4, s18, s20
	s_wait_alu 0xfffe
	s_add_co_i32 s2, s2, ttmp9
	v_xor_b32_e32 v0, 16, v4
	v_xor_b32_e32 v1, 8, v4
	;; [unrolled: 1-line block ×3, first 2 shown]
	s_wait_alu 0xfffe
	s_add_co_i32 s2, s2, s4
	s_wait_alu 0xfffe
	s_lshl_b64 s[2:3], s[2:3], 2
	v_cmp_gt_i32_e32 vcc_lo, 32, v0
	s_wait_alu 0xfffd
	v_cndmask_b32_e32 v0, v4, v0, vcc_lo
	v_cmp_gt_i32_e32 vcc_lo, 32, v1
	s_wait_kmcnt 0x0
	s_wait_alu 0xfffe
	s_add_nc_u64 s[0:1], s[0:1], s[2:3]
	s_wait_alu 0xfffd
	v_cndmask_b32_e32 v1, v4, v1, vcc_lo
	s_delay_alu instid0(VALU_DEP_1)
	v_lshlrev_b32_e32 v1, 2, v1
	v_lshlrev_b32_e32 v0, 2, v0
	ds_bpermute_b32 v2, v0, v37
	s_wait_dscnt 0x0
	v_add_f32_e32 v3, v37, v2
	v_xor_b32_e32 v2, 4, v4
	ds_bpermute_b32 v5, v1, v3
	v_cmp_gt_i32_e32 vcc_lo, 32, v2
	s_wait_dscnt 0x0
	s_wait_alu 0xfffd
	v_dual_cndmask_b32 v2, v4, v2 :: v_dual_add_f32 v5, v3, v5
	s_delay_alu instid0(VALU_DEP_1)
	v_lshlrev_b32_e32 v2, 2, v2
	v_xor_b32_e32 v3, 2, v4
	ds_bpermute_b32 v6, v2, v5
	v_cmp_gt_i32_e32 vcc_lo, 32, v3
	s_wait_alu 0xfffd
	v_cndmask_b32_e32 v3, v4, v3, vcc_lo
	v_cmp_gt_i32_e32 vcc_lo, 32, v7
	s_wait_alu 0xfffd
	v_cndmask_b32_e32 v4, v4, v7, vcc_lo
	v_cmp_eq_u32_e32 vcc_lo, 0, v32
	s_delay_alu instid0(VALU_DEP_2)
	v_lshlrev_b32_e32 v4, 2, v4
	v_lshlrev_b32_e32 v3, 2, v3
	s_wait_dscnt 0x0
	v_add_f32_e32 v5, v5, v6
	ds_bpermute_b32 v6, v3, v5
	s_wait_dscnt 0x0
	v_add_f32_e32 v5, v5, v6
	ds_bpermute_b32 v6, v4, v5
	s_and_saveexec_b32 s2, vcc_lo
	s_cbranch_execz .LBB90_43
; %bb.42:
	s_wait_dscnt 0x0
	v_dual_add_f32 v5, v5, v6 :: v_dual_mov_b32 v6, 0
	global_store_b32 v6, v5, s[0:1]
.LBB90_43:
	s_wait_alu 0xfffe
	s_or_b32 exec_lo, exec_lo, s2
	ds_bpermute_b32 v5, v0, v35
	s_wait_dscnt 0x0
	v_add_f32_e32 v5, v35, v5
	ds_bpermute_b32 v6, v1, v5
	s_wait_dscnt 0x0
	v_add_f32_e32 v5, v5, v6
	ds_bpermute_b32 v6, v2, v5
	s_wait_dscnt 0x0
	v_add_f32_e32 v5, v5, v6
	ds_bpermute_b32 v6, v3, v5
	s_wait_dscnt 0x0
	v_add_f32_e32 v5, v5, v6
	ds_bpermute_b32 v6, v4, v5
	s_and_saveexec_b32 s2, vcc_lo
	s_cbranch_execz .LBB90_45
; %bb.44:
	s_mov_b32 s7, 0
	s_wait_dscnt 0x0
	v_dual_add_f32 v5, v5, v6 :: v_dual_mov_b32 v6, 0
	s_wait_alu 0xfffe
	s_lshl_b64 s[4:5], s[6:7], 2
	s_wait_alu 0xfffe
	s_add_nc_u64 s[4:5], s[0:1], s[4:5]
	global_store_b32 v6, v5, s[4:5]
.LBB90_45:
	s_wait_alu 0xfffe
	s_or_b32 exec_lo, exec_lo, s2
	ds_bpermute_b32 v0, v0, v33
	s_wait_dscnt 0x0
	v_add_f32_e32 v0, v33, v0
	ds_bpermute_b32 v1, v1, v0
	s_wait_dscnt 0x0
	v_add_f32_e32 v0, v0, v1
	;; [unrolled: 3-line block ×4, first 2 shown]
	ds_bpermute_b32 v1, v4, v0
	s_and_b32 exec_lo, exec_lo, vcc_lo
	s_cbranch_execz .LBB90_47
; %bb.46:
	s_lshl_b32 s2, s6, 1
	s_mov_b32 s3, 0
	s_wait_dscnt 0x0
	v_dual_add_f32 v0, v0, v1 :: v_dual_mov_b32 v1, 0
	s_wait_alu 0xfffe
	s_lshl_b64 s[2:3], s[2:3], 2
	s_wait_alu 0xfffe
	s_add_nc_u64 s[0:1], s[0:1], s[2:3]
	global_store_b32 v1, v0, s[0:1]
.LBB90_47:
	s_endpgm
	.section	.rodata,"a",@progbits
	.p2align	6, 0x0
	.amdhsa_kernel _ZL13mul_mat_vec_qIL9ggml_type40ELi3ELb0ELb0EEvPKvS2_PKi31ggml_cuda_mm_fusion_args_devicePfj15HIP_vector_typeIjLj3EEjjjS8_jjjS8_jjjj
		.amdhsa_group_segment_fixed_size 0
		.amdhsa_private_segment_fixed_size 0
		.amdhsa_kernarg_size 144
		.amdhsa_user_sgpr_count 2
		.amdhsa_user_sgpr_dispatch_ptr 0
		.amdhsa_user_sgpr_queue_ptr 0
		.amdhsa_user_sgpr_kernarg_segment_ptr 1
		.amdhsa_user_sgpr_dispatch_id 0
		.amdhsa_user_sgpr_private_segment_size 0
		.amdhsa_wavefront_size32 1
		.amdhsa_uses_dynamic_stack 0
		.amdhsa_enable_private_segment 0
		.amdhsa_system_sgpr_workgroup_id_x 1
		.amdhsa_system_sgpr_workgroup_id_y 1
		.amdhsa_system_sgpr_workgroup_id_z 1
		.amdhsa_system_sgpr_workgroup_info 0
		.amdhsa_system_vgpr_workitem_id 1
		.amdhsa_next_free_vgpr 66
		.amdhsa_next_free_sgpr 30
		.amdhsa_reserve_vcc 1
		.amdhsa_float_round_mode_32 0
		.amdhsa_float_round_mode_16_64 0
		.amdhsa_float_denorm_mode_32 3
		.amdhsa_float_denorm_mode_16_64 3
		.amdhsa_fp16_overflow 0
		.amdhsa_workgroup_processor_mode 1
		.amdhsa_memory_ordered 1
		.amdhsa_forward_progress 1
		.amdhsa_inst_pref_size 24
		.amdhsa_round_robin_scheduling 0
		.amdhsa_exception_fp_ieee_invalid_op 0
		.amdhsa_exception_fp_denorm_src 0
		.amdhsa_exception_fp_ieee_div_zero 0
		.amdhsa_exception_fp_ieee_overflow 0
		.amdhsa_exception_fp_ieee_underflow 0
		.amdhsa_exception_fp_ieee_inexact 0
		.amdhsa_exception_int_div_zero 0
	.end_amdhsa_kernel
	.section	.text._ZL13mul_mat_vec_qIL9ggml_type40ELi3ELb0ELb0EEvPKvS2_PKi31ggml_cuda_mm_fusion_args_devicePfj15HIP_vector_typeIjLj3EEjjjS8_jjjS8_jjjj,"axG",@progbits,_ZL13mul_mat_vec_qIL9ggml_type40ELi3ELb0ELb0EEvPKvS2_PKi31ggml_cuda_mm_fusion_args_devicePfj15HIP_vector_typeIjLj3EEjjjS8_jjjS8_jjjj,comdat
.Lfunc_end90:
	.size	_ZL13mul_mat_vec_qIL9ggml_type40ELi3ELb0ELb0EEvPKvS2_PKi31ggml_cuda_mm_fusion_args_devicePfj15HIP_vector_typeIjLj3EEjjjS8_jjjS8_jjjj, .Lfunc_end90-_ZL13mul_mat_vec_qIL9ggml_type40ELi3ELb0ELb0EEvPKvS2_PKi31ggml_cuda_mm_fusion_args_devicePfj15HIP_vector_typeIjLj3EEjjjS8_jjjS8_jjjj
                                        ; -- End function
	.set _ZL13mul_mat_vec_qIL9ggml_type40ELi3ELb0ELb0EEvPKvS2_PKi31ggml_cuda_mm_fusion_args_devicePfj15HIP_vector_typeIjLj3EEjjjS8_jjjS8_jjjj.num_vgpr, 66
	.set _ZL13mul_mat_vec_qIL9ggml_type40ELi3ELb0ELb0EEvPKvS2_PKi31ggml_cuda_mm_fusion_args_devicePfj15HIP_vector_typeIjLj3EEjjjS8_jjjS8_jjjj.num_agpr, 0
	.set _ZL13mul_mat_vec_qIL9ggml_type40ELi3ELb0ELb0EEvPKvS2_PKi31ggml_cuda_mm_fusion_args_devicePfj15HIP_vector_typeIjLj3EEjjjS8_jjjS8_jjjj.numbered_sgpr, 30
	.set _ZL13mul_mat_vec_qIL9ggml_type40ELi3ELb0ELb0EEvPKvS2_PKi31ggml_cuda_mm_fusion_args_devicePfj15HIP_vector_typeIjLj3EEjjjS8_jjjS8_jjjj.num_named_barrier, 0
	.set _ZL13mul_mat_vec_qIL9ggml_type40ELi3ELb0ELb0EEvPKvS2_PKi31ggml_cuda_mm_fusion_args_devicePfj15HIP_vector_typeIjLj3EEjjjS8_jjjS8_jjjj.private_seg_size, 0
	.set _ZL13mul_mat_vec_qIL9ggml_type40ELi3ELb0ELb0EEvPKvS2_PKi31ggml_cuda_mm_fusion_args_devicePfj15HIP_vector_typeIjLj3EEjjjS8_jjjS8_jjjj.uses_vcc, 1
	.set _ZL13mul_mat_vec_qIL9ggml_type40ELi3ELb0ELb0EEvPKvS2_PKi31ggml_cuda_mm_fusion_args_devicePfj15HIP_vector_typeIjLj3EEjjjS8_jjjS8_jjjj.uses_flat_scratch, 0
	.set _ZL13mul_mat_vec_qIL9ggml_type40ELi3ELb0ELb0EEvPKvS2_PKi31ggml_cuda_mm_fusion_args_devicePfj15HIP_vector_typeIjLj3EEjjjS8_jjjS8_jjjj.has_dyn_sized_stack, 0
	.set _ZL13mul_mat_vec_qIL9ggml_type40ELi3ELb0ELb0EEvPKvS2_PKi31ggml_cuda_mm_fusion_args_devicePfj15HIP_vector_typeIjLj3EEjjjS8_jjjS8_jjjj.has_recursion, 0
	.set _ZL13mul_mat_vec_qIL9ggml_type40ELi3ELb0ELb0EEvPKvS2_PKi31ggml_cuda_mm_fusion_args_devicePfj15HIP_vector_typeIjLj3EEjjjS8_jjjS8_jjjj.has_indirect_call, 0
	.section	.AMDGPU.csdata,"",@progbits
; Kernel info:
; codeLenInByte = 2992
; TotalNumSgprs: 32
; NumVgprs: 66
; ScratchSize: 0
; MemoryBound: 0
; FloatMode: 240
; IeeeMode: 1
; LDSByteSize: 0 bytes/workgroup (compile time only)
; SGPRBlocks: 0
; VGPRBlocks: 8
; NumSGPRsForWavesPerEU: 32
; NumVGPRsForWavesPerEU: 66
; Occupancy: 16
; WaveLimiterHint : 0
; COMPUTE_PGM_RSRC2:SCRATCH_EN: 0
; COMPUTE_PGM_RSRC2:USER_SGPR: 2
; COMPUTE_PGM_RSRC2:TRAP_HANDLER: 0
; COMPUTE_PGM_RSRC2:TGID_X_EN: 1
; COMPUTE_PGM_RSRC2:TGID_Y_EN: 1
; COMPUTE_PGM_RSRC2:TGID_Z_EN: 1
; COMPUTE_PGM_RSRC2:TIDIG_COMP_CNT: 1
	.section	.text._ZL13mul_mat_vec_qIL9ggml_type40ELi4ELb0ELb0EEvPKvS2_PKi31ggml_cuda_mm_fusion_args_devicePfj15HIP_vector_typeIjLj3EEjjjS8_jjjS8_jjjj,"axG",@progbits,_ZL13mul_mat_vec_qIL9ggml_type40ELi4ELb0ELb0EEvPKvS2_PKi31ggml_cuda_mm_fusion_args_devicePfj15HIP_vector_typeIjLj3EEjjjS8_jjjS8_jjjj,comdat
	.globl	_ZL13mul_mat_vec_qIL9ggml_type40ELi4ELb0ELb0EEvPKvS2_PKi31ggml_cuda_mm_fusion_args_devicePfj15HIP_vector_typeIjLj3EEjjjS8_jjjS8_jjjj ; -- Begin function _ZL13mul_mat_vec_qIL9ggml_type40ELi4ELb0ELb0EEvPKvS2_PKi31ggml_cuda_mm_fusion_args_devicePfj15HIP_vector_typeIjLj3EEjjjS8_jjjS8_jjjj
	.p2align	8
	.type	_ZL13mul_mat_vec_qIL9ggml_type40ELi4ELb0ELb0EEvPKvS2_PKi31ggml_cuda_mm_fusion_args_devicePfj15HIP_vector_typeIjLj3EEjjjS8_jjjS8_jjjj,@function
_ZL13mul_mat_vec_qIL9ggml_type40ELi4ELb0ELb0EEvPKvS2_PKi31ggml_cuda_mm_fusion_args_devicePfj15HIP_vector_typeIjLj3EEjjjS8_jjjS8_jjjj: ; @_ZL13mul_mat_vec_qIL9ggml_type40ELi4ELb0ELb0EEvPKvS2_PKi31ggml_cuda_mm_fusion_args_devicePfj15HIP_vector_typeIjLj3EEjjjS8_jjjS8_jjjj
; %bb.0:
	v_bfe_u32 v44, v0, 10, 10
	s_clause 0x5
	s_load_b32 s2, s[0:1], 0x40
	s_load_b96 s[16:18], s[0:1], 0x80
	s_load_b128 s[4:7], s[0:1], 0x50
	s_load_b32 s23, s[0:1], 0x60
	s_load_b128 s[8:11], s[0:1], 0x68
	s_load_b32 s24, s[0:1], 0x78
	v_dual_mov_b32 v42, 0 :: v_dual_and_b32 v43, 0x3ff, v0
	v_dual_mov_b32 v41, 0 :: v_dual_lshlrev_b32 v0, 5, v44
	v_mov_b32_e32 v47, 0
	s_and_b32 s19, ttmp7, 0xffff
	s_lshr_b32 s20, ttmp7, 16
	s_delay_alu instid0(VALU_DEP_2) | instskip(SKIP_2) | instid1(VALU_DEP_2)
	v_add_nc_u16 v0, v0, v43
	s_mov_b32 s21, exec_lo
	v_mov_b32_e32 v45, 0
	v_lshrrev_b16 v0, 1, v0
	s_delay_alu instid0(VALU_DEP_1)
	v_and_b32_e32 v46, 0xffff, v0
	s_wait_kmcnt 0x0
	s_lshr_b32 s22, s2, 6
	s_delay_alu instid0(VALU_DEP_1) | instid1(SALU_CYCLE_1)
	v_cmpx_gt_u32_e64 s22, v46
	s_cbranch_execz .LBB91_52
; %bb.1:
	s_load_b128 s[12:15], s[0:1], 0x0
	s_mov_b32 s3, 0
	s_mul_i32 s26, s9, s19
	s_mov_b32 s27, s3
	s_mul_i32 s2, s17, s20
	s_mul_u64 s[26:27], s[26:27], 36
	v_lshlrev_b32_e32 v2, 2, v43
	v_mad_co_u64_u32 v[0:1], null, 0x48, v46, s[26:27]
	s_mul_hi_u32 s7, s7, s19
	s_mul_hi_u32 s9, s11, s20
	s_add_co_i32 s7, s19, s7
	v_dual_mov_b32 v42, 0 :: v_dual_and_b32 v3, 4, v2
	v_dual_mov_b32 v45, 0 :: v_dual_and_b32 v2, 1, v43
	v_mad_co_u64_u32 v[0:1], null, s2, 36, v[0:1]
	s_mul_u64 s[28:29], s[2:3], 36
	s_add_co_i32 s9, s20, s9
	s_lshr_b32 s7, s7, s23
	s_lshr_b32 s11, s9, s24
	s_mul_i32 s7, s7, s8
	s_wait_kmcnt 0x0
	s_add_nc_u64 s[8:9], s[14:15], s[28:29]
	v_mad_co_u64_u32 v[0:1], null, v2, 36, v[0:1]
	s_add_nc_u64 s[8:9], s[8:9], s[26:27]
	v_mov_b32_e32 v47, 0
	v_mad_co_u64_u32 v[36:37], null, v2, 36, s[8:9]
	v_lshlrev_b32_e32 v2, 1, v46
	s_mul_i32 s4, s4, ttmp9
	v_add_co_u32 v38, vcc_lo, s14, v0
	v_lshrrev_b32_e32 v48, 1, v3
	s_delay_alu instid0(VALU_DEP_3)
	v_mad_co_u64_u32 v[40:41], null, s5, 3, v[2:3]
	v_add_lshl_u32 v49, s5, v46, 1
	v_add_co_ci_u32_e64 v39, null, s15, v1, vcc_lo
	v_add_nc_u32_e32 v50, s5, v2
	v_lshlrev_b32_e32 v51, 2, v3
	v_mov_b32_e32 v41, 0
	s_mul_i32 s2, s11, s16
	s_add_co_i32 s7, s7, s4
	s_mov_b32 s5, 0xf4f8fafc
	s_wait_alu 0xfffe
	s_add_co_i32 s4, s2, s7
	s_mov_b32 s7, 0xc080604
	s_mov_b32 s8, 0x4040404
	s_branch .LBB91_3
.LBB91_2:                               ;   in Loop: Header=BB91_3 Depth=1
	s_wait_alu 0xfffe
	s_or_b32 exec_lo, exec_lo, s9
	s_wait_loadcnt 0xc
	v_ashrrev_i32_e32 v62, 4, v10
	v_and_b32_e32 v72, 0x7070707, v10
	v_lshrrev_b32_e32 v10, 1, v10
	v_ashrrev_i32_e32 v73, 4, v9
	s_wait_loadcnt 0x3
	v_cvt_f32_f16_e32 v20, v20
	v_and_b32_e32 v68, 0x7070707, v62
	v_lshrrev_b32_e32 v62, 1, v62
	v_perm_b32 v74, s5, 0xfdfeff00, v72
	v_perm_b32 v72, s7, 0x3020100, v72
	v_and_or_b32 v10, v10, s8, 0x3020100
	v_perm_b32 v71, s5, 0xfdfeff00, v68
	v_perm_b32 v68, s7, 0x3020100, v68
	v_and_or_b32 v62, v62, s8, 0x3020100
	v_and_b32_e32 v75, 0x7070707, v73
	v_perm_b32 v10, v74, v72, v10
	v_lshrrev_b32_e32 v72, 1, v73
	v_and_b32_e32 v73, 0x7070707, v8
	v_perm_b32 v62, v71, v68, v62
	v_ashrrev_i32_e32 v71, 4, v8
	v_lshrrev_b32_e32 v8, 1, v8
	v_and_b32_e32 v74, 0x7070707, v9
	v_perm_b32 v77, s5, 0xfdfeff00, v73
	v_perm_b32 v73, s7, 0x3020100, v73
	v_and_b32_e32 v76, 0x7070707, v71
	v_lshrrev_b32_e32 v71, 1, v71
	v_and_or_b32 v8, v8, s8, 0x3020100
	v_lshrrev_b32_e32 v9, 1, v9
	v_ashrrev_i32_e32 v61, 4, v11
	v_perm_b32 v78, s5, 0xfdfeff00, v76
	v_perm_b32 v76, s7, 0x3020100, v76
	v_and_or_b32 v71, v71, s8, 0x3020100
	v_perm_b32 v8, v77, v73, v8
	v_perm_b32 v73, s5, 0xfdfeff00, v74
	;; [unrolled: 1-line block ×3, first 2 shown]
	v_and_or_b32 v9, v9, s8, 0x3020100
	v_perm_b32 v71, v78, v76, v71
	v_dot4_i32_iu8 v5, v8, v5, 0 neg_lo:[1,1,0]
	v_and_b32_e32 v67, 0x7070707, v61
	v_lshrrev_b32_e32 v61, 1, v61
	v_perm_b32 v68, s5, 0xfdfeff00, v75
	v_dot4_i32_iu8 v21, v8, v21, 0 neg_lo:[1,1,0]
	v_perm_b32 v75, s7, 0x3020100, v75
	v_and_or_b32 v72, v72, s8, 0x3020100
	v_perm_b32 v9, v73, v74, v9
	v_dot4_i32_iu8 v1, v10, v1, 0 neg_lo:[1,1,0]
	v_dot4_i32_iu8 v5, v71, v7, v5 neg_lo:[1,1,0]
	;; [unrolled: 1-line block ×3, first 2 shown]
	v_and_or_b32 v23, v61, s8, 0x3020100
	v_perm_b32 v61, v68, v75, v72
	v_dot4_i32_iu8 v1, v62, v3, v1 neg_lo:[1,1,0]
	v_dot4_i32_iu8 v3, v9, v6, v5 neg_lo:[1,1,0]
	v_cvt_f32_f16_e32 v6, v12
	v_and_b32_e32 v66, 0x7070707, v11
	v_lshrrev_b32_e32 v11, 1, v11
	v_dot4_i32_iu8 v25, v10, v25, 0 neg_lo:[1,1,0]
	v_dot4_i32_iu8 v0, v61, v0, v3 neg_lo:[1,1,0]
	v_mul_f32_e32 v3, v56, v6
	v_perm_b32 v69, s5, 0xfdfeff00, v66
	v_perm_b32 v66, s7, 0x3020100, v66
	v_and_or_b32 v11, v11, s8, 0x3020100
	v_perm_b32 v70, s5, 0xfdfeff00, v67
	v_perm_b32 v67, s7, 0x3020100, v67
	v_dot4_i32_iu8 v25, v62, v27, v25 neg_lo:[1,1,0]
	v_dot4_i32_iu8 v13, v8, v13, 0 neg_lo:[1,1,0]
	v_perm_b32 v11, v69, v66, v11
	v_dot4_i32_iu8 v21, v9, v22, v21 neg_lo:[1,1,0]
	v_perm_b32 v22, v70, v67, v23
	v_dot4_i32_iu8 v17, v10, v17, 0 neg_lo:[1,1,0]
	v_dot4_i32_iu8 v13, v71, v15, v13 neg_lo:[1,1,0]
	v_dot4_i32_iu8 v23, v11, v26, v25 neg_lo:[1,1,0]
	s_wait_loadcnt 0x0
	v_dot4_i32_iu8 v25, v8, v29, 0 neg_lo:[1,1,0]
	v_dot4_i32_iu8 v21, v61, v24, v21 neg_lo:[1,1,0]
	;; [unrolled: 1-line block ×11, first 2 shown]
	v_cvt_f32_i32_e32 v21, v21
	v_mul_f32_e32 v26, v63, v20
	v_dot4_i32_iu8 v24, v11, v34, v24 neg_lo:[1,1,0]
	v_cvt_f32_f16_e32 v15, v28
	v_dot4_i32_iu8 v25, v61, v32, v25 neg_lo:[1,1,0]
	v_dot4_i32_iu8 v5, v22, v55, v7 neg_lo:[1,1,0]
	v_cvt_f32_i32_e32 v7, v10
	v_dot4_i32_iu8 v1, v11, v2, v1 neg_lo:[1,1,0]
	v_cvt_f32_f16_e32 v2, v4
	v_cvt_f32_i32_e32 v23, v23
	v_fma_f32 v21, v26, v21, 0
	v_mul_f32_e32 v20, v64, v20
	v_dot4_i32_iu8 v24, v22, v65, v24 neg_lo:[1,1,0]
	v_cvt_f32_i32_e32 v17, v25
	v_cvt_f32_i32_e32 v4, v5
	v_dot4_i32_iu8 v1, v22, v52, v1 neg_lo:[1,1,0]
	v_cvt_f32_i32_e32 v0, v0
	v_mul_f32_e32 v5, v53, v2
	v_fma_f32 v3, v3, v7, 0
	v_mul_f32_e32 v7, v58, v15
	v_dual_mul_f32 v2, v54, v2 :: v_dual_fmac_f32 v21, v20, v23
	v_cvt_f32_i32_e32 v8, v24
	v_mul_f32_e32 v6, v57, v6
	v_cvt_f32_i32_e32 v1, v1
	v_fma_f32 v0, v5, v0, 0
	v_fma_f32 v5, v7, v17, 0
	v_mul_f32_e32 v7, v59, v15
	v_dual_add_f32 v41, v41, v21 :: v_dual_add_nc_u32 v46, 16, v46
	v_fmac_f32_e32 v3, v6, v4
	s_delay_alu instid0(VALU_DEP_3) | instskip(SKIP_1) | instid1(VALU_DEP_4)
	v_dual_fmac_f32 v0, v2, v1 :: v_dual_fmac_f32 v5, v7, v8
	v_add_co_u32 v38, s2, 0x480, v38
	v_cmp_le_u32_e32 vcc_lo, s22, v46
	s_delay_alu instid0(VALU_DEP_3) | instskip(NEXT) | instid1(VALU_DEP_4)
	v_dual_add_f32 v45, v45, v3 :: v_dual_add_f32 v42, v42, v5
	v_dual_add_f32 v47, v47, v0 :: v_dual_add_nc_u32 v50, 32, v50
	v_add_nc_u32_e32 v49, 32, v49
	s_wait_alu 0xf1ff
	v_add_co_ci_u32_e64 v39, null, 0, v39, s2
	v_add_nc_u32_e32 v40, 32, v40
	s_or_b32 s3, vcc_lo, s3
	s_wait_alu 0xfffe
	s_and_not1_b32 exec_lo, exec_lo, s3
	s_cbranch_execz .LBB91_51
.LBB91_3:                               ; =>This Inner Loop Header: Depth=1
	s_wait_alu 0xfffe
	v_add_nc_u32_e32 v0, s4, v46
	s_mov_b32 s9, 0
	s_mov_b32 s11, exec_lo
	s_delay_alu instid0(VALU_DEP_1) | instskip(NEXT) | instid1(VALU_DEP_1)
	v_mad_co_i64_i32 v[0:1], null, v0, 36, s[12:13]
	v_add_co_u32 v2, vcc_lo, v0, v48
	s_wait_alu 0xfffd
	s_delay_alu instid0(VALU_DEP_2)
	v_add_co_ci_u32_e64 v3, null, 0, v1, vcc_lo
	v_add_co_u32 v0, vcc_lo, v0, v51
	s_wait_alu 0xfffd
	v_add_co_ci_u32_e64 v1, null, 0, v1, vcc_lo
	s_clause 0x1
	global_load_u16 v12, v[2:3], off
	global_load_b128 v[8:11], v[0:1], off offset:4
	s_clause 0x2
	global_load_b32 v52, v[38:39], off offset:32
	global_load_b128 v[0:3], v[38:39], off offset:16
	global_load_b128 v[4:7], v[38:39], off
	s_wait_loadcnt 0x4
	v_bfe_u32 v13, v12, 3, 4
	v_and_b32_e32 v58, 0xff, v12
	s_delay_alu instid0(VALU_DEP_2) | instskip(NEXT) | instid1(VALU_DEP_2)
	v_cmp_eq_u32_e32 vcc_lo, 0, v13
	v_cmpx_lt_i16_e32 0x7e, v58
	s_xor_b32 s11, exec_lo, s11
; %bb.4:                                ;   in Loop: Header=BB91_3 Depth=1
	v_cmp_ne_u16_e64 s2, 0x7f, v58
	s_and_b32 s9, s2, exec_lo
; %bb.5:                                ;   in Loop: Header=BB91_3 Depth=1
	s_and_not1_saveexec_b32 s11, s11
; %bb.6:                                ;   in Loop: Header=BB91_3 Depth=1
	v_cmp_ne_u16_e64 s2, 0, v58
	s_wait_alu 0xfffe
	s_and_not1_b32 s9, s9, exec_lo
	s_and_b32 s2, s2, exec_lo
	s_wait_alu 0xfffe
	s_or_b32 s9, s9, s2
; %bb.7:                                ;   in Loop: Header=BB91_3 Depth=1
	s_or_b32 exec_lo, exec_lo, s11
	v_dual_mov_b32 v53, 0 :: v_dual_and_b32 v14, 7, v12
	s_delay_alu instid0(VALU_DEP_1) | instskip(NEXT) | instid1(VALU_DEP_1)
	v_cvt_f32_ubyte0_e32 v14, v14
	v_fma_f32 v15, 0x3e000000, v14, 1.0
	s_wait_alu 0xfffd
	s_delay_alu instid0(VALU_DEP_1) | instskip(NEXT) | instid1(VALU_DEP_1)
	v_dual_cndmask_b32 v14, v15, v14 :: v_dual_add_nc_u32 v13, -7, v13
	v_cndmask_b32_e64 v13, v13, -9, vcc_lo
	s_delay_alu instid0(VALU_DEP_1) | instskip(NEXT) | instid1(VALU_DEP_1)
	v_ldexp_f32 v13, v14, v13
	v_mul_f32_e32 v61, 0.5, v13
	s_wait_alu 0xfffe
	s_and_saveexec_b32 s2, s9
; %bb.8:                                ;   in Loop: Header=BB91_3 Depth=1
	s_delay_alu instid0(VALU_DEP_1)
	v_mov_b32_e32 v53, v61
; %bb.9:                                ;   in Loop: Header=BB91_3 Depth=1
	s_wait_alu 0xfffe
	s_or_b32 exec_lo, exec_lo, s2
	v_lshrrev_b16 v59, 8, v12
	s_mov_b32 s9, 0
	s_mov_b32 s11, exec_lo
	s_delay_alu instid0(VALU_DEP_1) | instskip(NEXT) | instid1(VALU_DEP_1)
	v_and_b32_e32 v13, 0xffff, v59
	v_bfe_u32 v12, v13, 3, 4
	s_delay_alu instid0(VALU_DEP_1)
	v_cmp_eq_u32_e32 vcc_lo, 0, v12
	v_cmpx_lt_i16_e32 0x7e, v59
	s_xor_b32 s11, exec_lo, s11
; %bb.10:                               ;   in Loop: Header=BB91_3 Depth=1
	v_cmp_ne_u16_e64 s2, 0x7f, v59
	s_and_b32 s9, s2, exec_lo
; %bb.11:                               ;   in Loop: Header=BB91_3 Depth=1
	s_and_not1_saveexec_b32 s11, s11
; %bb.12:                               ;   in Loop: Header=BB91_3 Depth=1
	v_cmp_ne_u16_e64 s2, 0, v59
	s_wait_alu 0xfffe
	s_and_not1_b32 s9, s9, exec_lo
	s_and_b32 s2, s2, exec_lo
	s_wait_alu 0xfffe
	s_or_b32 s9, s9, s2
; %bb.13:                               ;   in Loop: Header=BB91_3 Depth=1
	s_or_b32 exec_lo, exec_lo, s11
	v_dual_mov_b32 v54, 0 :: v_dual_and_b32 v13, 7, v13
	s_delay_alu instid0(VALU_DEP_1) | instskip(NEXT) | instid1(VALU_DEP_1)
	v_cvt_f32_ubyte0_e32 v13, v13
	v_fma_f32 v14, 0x3e000000, v13, 1.0
	s_wait_alu 0xfffd
	s_delay_alu instid0(VALU_DEP_1) | instskip(NEXT) | instid1(VALU_DEP_1)
	v_dual_cndmask_b32 v13, v14, v13 :: v_dual_add_nc_u32 v12, -7, v12
	v_cndmask_b32_e64 v12, v12, -9, vcc_lo
	s_delay_alu instid0(VALU_DEP_1) | instskip(NEXT) | instid1(VALU_DEP_1)
	v_ldexp_f32 v12, v13, v12
	v_mul_f32_e32 v62, 0.5, v12
	s_wait_alu 0xfffe
	s_and_saveexec_b32 s2, s9
; %bb.14:                               ;   in Loop: Header=BB91_3 Depth=1
	s_delay_alu instid0(VALU_DEP_1)
	v_mov_b32_e32 v54, v62
; %bb.15:                               ;   in Loop: Header=BB91_3 Depth=1
	s_wait_alu 0xfffe
	s_or_b32 exec_lo, exec_lo, s2
	v_mad_co_u64_u32 v[12:13], null, v50, 36, v[36:37]
	s_mov_b32 s2, 0
	s_mov_b32 s9, exec_lo
	s_clause 0x2
	global_load_b32 v55, v[12:13], off offset:32
	global_load_b128 v[16:19], v[12:13], off offset:16
	global_load_b128 v[12:15], v[12:13], off
	v_cmpx_lt_i16_e32 0x7e, v58
	s_wait_alu 0xfffe
	s_xor_b32 s9, exec_lo, s9
	s_cbranch_execnz .LBB91_38
; %bb.16:                               ;   in Loop: Header=BB91_3 Depth=1
	s_wait_alu 0xfffe
	s_and_not1_saveexec_b32 s9, s9
	s_cbranch_execnz .LBB91_39
.LBB91_17:                              ;   in Loop: Header=BB91_3 Depth=1
	s_wait_alu 0xfffe
	s_or_b32 exec_lo, exec_lo, s9
	v_mov_b32_e32 v56, 0
	s_and_saveexec_b32 s9, s2
.LBB91_18:                              ;   in Loop: Header=BB91_3 Depth=1
	v_mov_b32_e32 v56, v61
.LBB91_19:                              ;   in Loop: Header=BB91_3 Depth=1
	s_wait_alu 0xfffe
	s_or_b32 exec_lo, exec_lo, s9
	s_mov_b32 s2, 0
	s_mov_b32 s9, exec_lo
	v_cmpx_lt_i16_e32 0x7e, v59
	s_wait_alu 0xfffe
	s_xor_b32 s9, exec_lo, s9
	s_cbranch_execnz .LBB91_40
; %bb.20:                               ;   in Loop: Header=BB91_3 Depth=1
	s_wait_alu 0xfffe
	s_and_not1_saveexec_b32 s9, s9
	s_cbranch_execnz .LBB91_41
.LBB91_21:                              ;   in Loop: Header=BB91_3 Depth=1
	s_wait_alu 0xfffe
	s_or_b32 exec_lo, exec_lo, s9
	v_mov_b32_e32 v57, 0
	s_and_saveexec_b32 s9, s2
.LBB91_22:                              ;   in Loop: Header=BB91_3 Depth=1
	v_mov_b32_e32 v57, v62
.LBB91_23:                              ;   in Loop: Header=BB91_3 Depth=1
	s_wait_alu 0xfffe
	s_or_b32 exec_lo, exec_lo, s9
	v_mad_co_u64_u32 v[20:21], null, v49, 36, v[36:37]
	s_mov_b32 s2, 0
	s_mov_b32 s9, exec_lo
	s_clause 0x2
	global_load_b32 v60, v[20:21], off offset:32
	global_load_b128 v[24:27], v[20:21], off offset:16
	global_load_b128 v[20:23], v[20:21], off
	v_cmpx_lt_i16_e32 0x7e, v58
	s_wait_alu 0xfffe
	s_xor_b32 s9, exec_lo, s9
	s_cbranch_execnz .LBB91_42
; %bb.24:                               ;   in Loop: Header=BB91_3 Depth=1
	s_wait_alu 0xfffe
	s_and_not1_saveexec_b32 s9, s9
	s_cbranch_execnz .LBB91_43
.LBB91_25:                              ;   in Loop: Header=BB91_3 Depth=1
	s_wait_alu 0xfffe
	s_or_b32 exec_lo, exec_lo, s9
	v_mov_b32_e32 v63, 0
	s_and_saveexec_b32 s9, s2
.LBB91_26:                              ;   in Loop: Header=BB91_3 Depth=1
	v_mov_b32_e32 v63, v61
.LBB91_27:                              ;   in Loop: Header=BB91_3 Depth=1
	s_wait_alu 0xfffe
	s_or_b32 exec_lo, exec_lo, s9
	s_mov_b32 s2, 0
	s_mov_b32 s9, exec_lo
	v_cmpx_lt_i16_e32 0x7e, v59
	s_wait_alu 0xfffe
	s_xor_b32 s9, exec_lo, s9
	s_cbranch_execnz .LBB91_44
; %bb.28:                               ;   in Loop: Header=BB91_3 Depth=1
	s_wait_alu 0xfffe
	s_and_not1_saveexec_b32 s9, s9
	s_cbranch_execnz .LBB91_45
.LBB91_29:                              ;   in Loop: Header=BB91_3 Depth=1
	s_wait_alu 0xfffe
	s_or_b32 exec_lo, exec_lo, s9
	v_mov_b32_e32 v64, 0
	s_and_saveexec_b32 s9, s2
.LBB91_30:                              ;   in Loop: Header=BB91_3 Depth=1
	v_mov_b32_e32 v64, v62
.LBB91_31:                              ;   in Loop: Header=BB91_3 Depth=1
	s_wait_alu 0xfffe
	s_or_b32 exec_lo, exec_lo, s9
	v_mad_co_u64_u32 v[28:29], null, v40, 36, v[36:37]
	s_mov_b32 s2, 0
	s_mov_b32 s9, exec_lo
	s_clause 0x2
	global_load_b32 v65, v[28:29], off offset:32
	global_load_b128 v[32:35], v[28:29], off offset:16
	global_load_b128 v[28:31], v[28:29], off
	v_cmpx_lt_i16_e32 0x7e, v58
	s_wait_alu 0xfffe
	s_xor_b32 s9, exec_lo, s9
	s_cbranch_execnz .LBB91_46
; %bb.32:                               ;   in Loop: Header=BB91_3 Depth=1
	s_wait_alu 0xfffe
	s_and_not1_saveexec_b32 s9, s9
	s_cbranch_execnz .LBB91_47
.LBB91_33:                              ;   in Loop: Header=BB91_3 Depth=1
	s_wait_alu 0xfffe
	s_or_b32 exec_lo, exec_lo, s9
	v_mov_b32_e32 v58, 0
	s_and_saveexec_b32 s9, s2
.LBB91_34:                              ;   in Loop: Header=BB91_3 Depth=1
	v_mov_b32_e32 v58, v61
.LBB91_35:                              ;   in Loop: Header=BB91_3 Depth=1
	s_wait_alu 0xfffe
	s_or_b32 exec_lo, exec_lo, s9
	s_mov_b32 s2, 0
	s_mov_b32 s9, exec_lo
	v_cmpx_lt_i16_e32 0x7e, v59
	s_wait_alu 0xfffe
	s_xor_b32 s9, exec_lo, s9
	s_cbranch_execnz .LBB91_48
; %bb.36:                               ;   in Loop: Header=BB91_3 Depth=1
	s_wait_alu 0xfffe
	s_and_not1_saveexec_b32 s9, s9
	s_cbranch_execnz .LBB91_49
.LBB91_37:                              ;   in Loop: Header=BB91_3 Depth=1
	s_wait_alu 0xfffe
	s_or_b32 exec_lo, exec_lo, s9
	v_mov_b32_e32 v59, 0
	s_and_saveexec_b32 s9, s2
	s_cbranch_execz .LBB91_2
	s_branch .LBB91_50
.LBB91_38:                              ;   in Loop: Header=BB91_3 Depth=1
	v_cmp_ne_u16_e32 vcc_lo, 0x7f, v58
	s_and_b32 s2, vcc_lo, exec_lo
	s_wait_alu 0xfffe
	s_and_not1_saveexec_b32 s9, s9
	s_cbranch_execz .LBB91_17
.LBB91_39:                              ;   in Loop: Header=BB91_3 Depth=1
	v_cmp_ne_u16_e32 vcc_lo, 0, v58
	s_and_not1_b32 s2, s2, exec_lo
	s_and_b32 s11, vcc_lo, exec_lo
	s_wait_alu 0xfffe
	s_or_b32 s2, s2, s11
	s_or_b32 exec_lo, exec_lo, s9
	v_mov_b32_e32 v56, 0
	s_wait_alu 0xfffe
	s_and_saveexec_b32 s9, s2
	s_cbranch_execnz .LBB91_18
	s_branch .LBB91_19
.LBB91_40:                              ;   in Loop: Header=BB91_3 Depth=1
	v_cmp_ne_u16_e32 vcc_lo, 0x7f, v59
	s_and_b32 s2, vcc_lo, exec_lo
	s_wait_alu 0xfffe
	s_and_not1_saveexec_b32 s9, s9
	s_cbranch_execz .LBB91_21
.LBB91_41:                              ;   in Loop: Header=BB91_3 Depth=1
	v_cmp_ne_u16_e32 vcc_lo, 0, v59
	s_and_not1_b32 s2, s2, exec_lo
	s_and_b32 s11, vcc_lo, exec_lo
	s_wait_alu 0xfffe
	s_or_b32 s2, s2, s11
	s_or_b32 exec_lo, exec_lo, s9
	v_mov_b32_e32 v57, 0
	s_wait_alu 0xfffe
	s_and_saveexec_b32 s9, s2
	s_cbranch_execnz .LBB91_22
	s_branch .LBB91_23
.LBB91_42:                              ;   in Loop: Header=BB91_3 Depth=1
	v_cmp_ne_u16_e32 vcc_lo, 0x7f, v58
	s_and_b32 s2, vcc_lo, exec_lo
	s_wait_alu 0xfffe
	s_and_not1_saveexec_b32 s9, s9
	s_cbranch_execz .LBB91_25
.LBB91_43:                              ;   in Loop: Header=BB91_3 Depth=1
	v_cmp_ne_u16_e32 vcc_lo, 0, v58
	s_and_not1_b32 s2, s2, exec_lo
	s_and_b32 s11, vcc_lo, exec_lo
	s_wait_alu 0xfffe
	s_or_b32 s2, s2, s11
	s_or_b32 exec_lo, exec_lo, s9
	v_mov_b32_e32 v63, 0
	s_wait_alu 0xfffe
	s_and_saveexec_b32 s9, s2
	s_cbranch_execnz .LBB91_26
	s_branch .LBB91_27
.LBB91_44:                              ;   in Loop: Header=BB91_3 Depth=1
	v_cmp_ne_u16_e32 vcc_lo, 0x7f, v59
	s_and_b32 s2, vcc_lo, exec_lo
	s_wait_alu 0xfffe
	s_and_not1_saveexec_b32 s9, s9
	s_cbranch_execz .LBB91_29
.LBB91_45:                              ;   in Loop: Header=BB91_3 Depth=1
	v_cmp_ne_u16_e32 vcc_lo, 0, v59
	s_and_not1_b32 s2, s2, exec_lo
	s_and_b32 s11, vcc_lo, exec_lo
	s_wait_alu 0xfffe
	s_or_b32 s2, s2, s11
	s_or_b32 exec_lo, exec_lo, s9
	v_mov_b32_e32 v64, 0
	s_wait_alu 0xfffe
	s_and_saveexec_b32 s9, s2
	s_cbranch_execnz .LBB91_30
	s_branch .LBB91_31
.LBB91_46:                              ;   in Loop: Header=BB91_3 Depth=1
	v_cmp_ne_u16_e32 vcc_lo, 0x7f, v58
                                        ; implicit-def: $vgpr58
	s_and_b32 s2, vcc_lo, exec_lo
	s_wait_alu 0xfffe
	s_and_not1_saveexec_b32 s9, s9
	s_cbranch_execz .LBB91_33
.LBB91_47:                              ;   in Loop: Header=BB91_3 Depth=1
	v_cmp_ne_u16_e32 vcc_lo, 0, v58
	s_and_not1_b32 s2, s2, exec_lo
	s_and_b32 s11, vcc_lo, exec_lo
	s_wait_alu 0xfffe
	s_or_b32 s2, s2, s11
	s_or_b32 exec_lo, exec_lo, s9
	v_mov_b32_e32 v58, 0
	s_wait_alu 0xfffe
	s_and_saveexec_b32 s9, s2
	s_cbranch_execnz .LBB91_34
	s_branch .LBB91_35
.LBB91_48:                              ;   in Loop: Header=BB91_3 Depth=1
	v_cmp_ne_u16_e32 vcc_lo, 0x7f, v59
                                        ; implicit-def: $vgpr59
	s_and_b32 s2, vcc_lo, exec_lo
	s_wait_alu 0xfffe
	s_and_not1_saveexec_b32 s9, s9
	s_cbranch_execz .LBB91_37
.LBB91_49:                              ;   in Loop: Header=BB91_3 Depth=1
	v_cmp_ne_u16_e32 vcc_lo, 0, v59
	s_and_not1_b32 s2, s2, exec_lo
	s_and_b32 s11, vcc_lo, exec_lo
	s_wait_alu 0xfffe
	s_or_b32 s2, s2, s11
	s_or_b32 exec_lo, exec_lo, s9
	v_mov_b32_e32 v59, 0
	s_wait_alu 0xfffe
	s_and_saveexec_b32 s9, s2
	s_cbranch_execz .LBB91_2
.LBB91_50:                              ;   in Loop: Header=BB91_3 Depth=1
	v_mov_b32_e32 v59, v62
	s_branch .LBB91_2
.LBB91_51:
	s_or_b32 exec_lo, exec_lo, s3
.LBB91_52:
	s_delay_alu instid0(SALU_CYCLE_1)
	s_or_b32 exec_lo, exec_lo, s21
	s_mov_b32 s3, 0
	; wave barrier
	global_inv scope:SCOPE_SE
	s_mov_b32 s2, exec_lo
	v_cmpx_eq_u32_e32 0, v44
	s_cbranch_execz .LBB91_61
; %bb.53:
	v_mbcnt_lo_u32_b32 v4, -1, 0
	s_load_b64 s[0:1], s[0:1], 0x38
	s_mul_i32 s2, s10, s19
	s_mul_i32 s4, s18, s20
	s_wait_alu 0xfffe
	s_add_co_i32 s2, s2, ttmp9
	v_xor_b32_e32 v0, 16, v4
	v_xor_b32_e32 v1, 8, v4
	;; [unrolled: 1-line block ×3, first 2 shown]
	s_wait_alu 0xfffe
	s_add_co_i32 s2, s2, s4
	s_wait_alu 0xfffe
	s_lshl_b64 s[2:3], s[2:3], 2
	v_cmp_gt_i32_e32 vcc_lo, 32, v0
	s_wait_alu 0xfffd
	v_cndmask_b32_e32 v0, v4, v0, vcc_lo
	v_cmp_gt_i32_e32 vcc_lo, 32, v1
	s_wait_kmcnt 0x0
	s_wait_alu 0xfffe
	s_add_nc_u64 s[0:1], s[0:1], s[2:3]
	s_wait_alu 0xfffd
	v_cndmask_b32_e32 v1, v4, v1, vcc_lo
	s_delay_alu instid0(VALU_DEP_1)
	v_lshlrev_b32_e32 v1, 2, v1
	v_lshlrev_b32_e32 v0, 2, v0
	ds_bpermute_b32 v2, v0, v47
	s_wait_dscnt 0x0
	v_add_f32_e32 v3, v47, v2
	v_xor_b32_e32 v2, 4, v4
	ds_bpermute_b32 v5, v1, v3
	v_cmp_gt_i32_e32 vcc_lo, 32, v2
	s_wait_dscnt 0x0
	s_wait_alu 0xfffd
	v_dual_cndmask_b32 v2, v4, v2 :: v_dual_add_f32 v5, v3, v5
	s_delay_alu instid0(VALU_DEP_1)
	v_lshlrev_b32_e32 v2, 2, v2
	v_xor_b32_e32 v3, 2, v4
	ds_bpermute_b32 v6, v2, v5
	v_cmp_gt_i32_e32 vcc_lo, 32, v3
	s_wait_alu 0xfffd
	v_cndmask_b32_e32 v3, v4, v3, vcc_lo
	v_cmp_gt_i32_e32 vcc_lo, 32, v7
	s_wait_alu 0xfffd
	v_cndmask_b32_e32 v4, v4, v7, vcc_lo
	v_cmp_eq_u32_e32 vcc_lo, 0, v43
	s_delay_alu instid0(VALU_DEP_2)
	v_lshlrev_b32_e32 v4, 2, v4
	v_lshlrev_b32_e32 v3, 2, v3
	s_wait_dscnt 0x0
	v_add_f32_e32 v5, v5, v6
	ds_bpermute_b32 v6, v3, v5
	s_wait_dscnt 0x0
	v_add_f32_e32 v5, v5, v6
	ds_bpermute_b32 v6, v4, v5
	s_and_saveexec_b32 s2, vcc_lo
	s_cbranch_execz .LBB91_55
; %bb.54:
	s_wait_dscnt 0x0
	v_dual_add_f32 v5, v5, v6 :: v_dual_mov_b32 v6, 0
	global_store_b32 v6, v5, s[0:1]
.LBB91_55:
	s_wait_alu 0xfffe
	s_or_b32 exec_lo, exec_lo, s2
	ds_bpermute_b32 v5, v0, v45
	s_wait_dscnt 0x0
	v_add_f32_e32 v5, v45, v5
	ds_bpermute_b32 v6, v1, v5
	s_wait_dscnt 0x0
	v_add_f32_e32 v5, v5, v6
	;; [unrolled: 3-line block ×4, first 2 shown]
	ds_bpermute_b32 v6, v4, v5
	s_and_saveexec_b32 s2, vcc_lo
	s_cbranch_execz .LBB91_57
; %bb.56:
	s_mov_b32 s7, 0
	s_wait_dscnt 0x0
	v_dual_add_f32 v5, v5, v6 :: v_dual_mov_b32 v6, 0
	s_wait_alu 0xfffe
	s_lshl_b64 s[4:5], s[6:7], 2
	s_wait_alu 0xfffe
	s_add_nc_u64 s[4:5], s[0:1], s[4:5]
	global_store_b32 v6, v5, s[4:5]
.LBB91_57:
	s_wait_alu 0xfffe
	s_or_b32 exec_lo, exec_lo, s2
	ds_bpermute_b32 v5, v0, v41
	s_wait_dscnt 0x0
	v_add_f32_e32 v5, v41, v5
	ds_bpermute_b32 v6, v1, v5
	s_wait_dscnt 0x0
	v_add_f32_e32 v5, v5, v6
	;; [unrolled: 3-line block ×4, first 2 shown]
	ds_bpermute_b32 v6, v4, v5
	s_and_saveexec_b32 s2, vcc_lo
	s_cbranch_execz .LBB91_59
; %bb.58:
	s_lshl_b32 s4, s6, 1
	s_mov_b32 s5, 0
	s_wait_dscnt 0x0
	v_dual_add_f32 v5, v5, v6 :: v_dual_mov_b32 v6, 0
	s_wait_alu 0xfffe
	s_lshl_b64 s[4:5], s[4:5], 2
	s_wait_alu 0xfffe
	s_add_nc_u64 s[4:5], s[0:1], s[4:5]
	global_store_b32 v6, v5, s[4:5]
.LBB91_59:
	s_wait_alu 0xfffe
	s_or_b32 exec_lo, exec_lo, s2
	ds_bpermute_b32 v0, v0, v42
	s_wait_dscnt 0x0
	v_add_f32_e32 v0, v42, v0
	ds_bpermute_b32 v1, v1, v0
	s_wait_dscnt 0x0
	v_add_f32_e32 v0, v0, v1
	ds_bpermute_b32 v1, v2, v0
	s_wait_dscnt 0x0
	v_add_f32_e32 v0, v0, v1
	ds_bpermute_b32 v1, v3, v0
	s_wait_dscnt 0x0
	v_add_f32_e32 v0, v0, v1
	ds_bpermute_b32 v1, v4, v0
	s_and_b32 exec_lo, exec_lo, vcc_lo
	s_cbranch_execz .LBB91_61
; %bb.60:
	s_mul_i32 s2, s6, 3
	s_mov_b32 s3, 0
	s_wait_dscnt 0x0
	v_dual_add_f32 v0, v0, v1 :: v_dual_mov_b32 v1, 0
	s_wait_alu 0xfffe
	s_lshl_b64 s[2:3], s[2:3], 2
	s_wait_alu 0xfffe
	s_add_nc_u64 s[0:1], s[0:1], s[2:3]
	global_store_b32 v1, v0, s[0:1]
.LBB91_61:
	s_endpgm
	.section	.rodata,"a",@progbits
	.p2align	6, 0x0
	.amdhsa_kernel _ZL13mul_mat_vec_qIL9ggml_type40ELi4ELb0ELb0EEvPKvS2_PKi31ggml_cuda_mm_fusion_args_devicePfj15HIP_vector_typeIjLj3EEjjjS8_jjjS8_jjjj
		.amdhsa_group_segment_fixed_size 0
		.amdhsa_private_segment_fixed_size 0
		.amdhsa_kernarg_size 144
		.amdhsa_user_sgpr_count 2
		.amdhsa_user_sgpr_dispatch_ptr 0
		.amdhsa_user_sgpr_queue_ptr 0
		.amdhsa_user_sgpr_kernarg_segment_ptr 1
		.amdhsa_user_sgpr_dispatch_id 0
		.amdhsa_user_sgpr_private_segment_size 0
		.amdhsa_wavefront_size32 1
		.amdhsa_uses_dynamic_stack 0
		.amdhsa_enable_private_segment 0
		.amdhsa_system_sgpr_workgroup_id_x 1
		.amdhsa_system_sgpr_workgroup_id_y 1
		.amdhsa_system_sgpr_workgroup_id_z 1
		.amdhsa_system_sgpr_workgroup_info 0
		.amdhsa_system_vgpr_workitem_id 1
		.amdhsa_next_free_vgpr 79
		.amdhsa_next_free_sgpr 30
		.amdhsa_reserve_vcc 1
		.amdhsa_float_round_mode_32 0
		.amdhsa_float_round_mode_16_64 0
		.amdhsa_float_denorm_mode_32 3
		.amdhsa_float_denorm_mode_16_64 3
		.amdhsa_fp16_overflow 0
		.amdhsa_workgroup_processor_mode 1
		.amdhsa_memory_ordered 1
		.amdhsa_forward_progress 1
		.amdhsa_inst_pref_size 28
		.amdhsa_round_robin_scheduling 0
		.amdhsa_exception_fp_ieee_invalid_op 0
		.amdhsa_exception_fp_denorm_src 0
		.amdhsa_exception_fp_ieee_div_zero 0
		.amdhsa_exception_fp_ieee_overflow 0
		.amdhsa_exception_fp_ieee_underflow 0
		.amdhsa_exception_fp_ieee_inexact 0
		.amdhsa_exception_int_div_zero 0
	.end_amdhsa_kernel
	.section	.text._ZL13mul_mat_vec_qIL9ggml_type40ELi4ELb0ELb0EEvPKvS2_PKi31ggml_cuda_mm_fusion_args_devicePfj15HIP_vector_typeIjLj3EEjjjS8_jjjS8_jjjj,"axG",@progbits,_ZL13mul_mat_vec_qIL9ggml_type40ELi4ELb0ELb0EEvPKvS2_PKi31ggml_cuda_mm_fusion_args_devicePfj15HIP_vector_typeIjLj3EEjjjS8_jjjS8_jjjj,comdat
.Lfunc_end91:
	.size	_ZL13mul_mat_vec_qIL9ggml_type40ELi4ELb0ELb0EEvPKvS2_PKi31ggml_cuda_mm_fusion_args_devicePfj15HIP_vector_typeIjLj3EEjjjS8_jjjS8_jjjj, .Lfunc_end91-_ZL13mul_mat_vec_qIL9ggml_type40ELi4ELb0ELb0EEvPKvS2_PKi31ggml_cuda_mm_fusion_args_devicePfj15HIP_vector_typeIjLj3EEjjjS8_jjjS8_jjjj
                                        ; -- End function
	.set _ZL13mul_mat_vec_qIL9ggml_type40ELi4ELb0ELb0EEvPKvS2_PKi31ggml_cuda_mm_fusion_args_devicePfj15HIP_vector_typeIjLj3EEjjjS8_jjjS8_jjjj.num_vgpr, 79
	.set _ZL13mul_mat_vec_qIL9ggml_type40ELi4ELb0ELb0EEvPKvS2_PKi31ggml_cuda_mm_fusion_args_devicePfj15HIP_vector_typeIjLj3EEjjjS8_jjjS8_jjjj.num_agpr, 0
	.set _ZL13mul_mat_vec_qIL9ggml_type40ELi4ELb0ELb0EEvPKvS2_PKi31ggml_cuda_mm_fusion_args_devicePfj15HIP_vector_typeIjLj3EEjjjS8_jjjS8_jjjj.numbered_sgpr, 30
	.set _ZL13mul_mat_vec_qIL9ggml_type40ELi4ELb0ELb0EEvPKvS2_PKi31ggml_cuda_mm_fusion_args_devicePfj15HIP_vector_typeIjLj3EEjjjS8_jjjS8_jjjj.num_named_barrier, 0
	.set _ZL13mul_mat_vec_qIL9ggml_type40ELi4ELb0ELb0EEvPKvS2_PKi31ggml_cuda_mm_fusion_args_devicePfj15HIP_vector_typeIjLj3EEjjjS8_jjjS8_jjjj.private_seg_size, 0
	.set _ZL13mul_mat_vec_qIL9ggml_type40ELi4ELb0ELb0EEvPKvS2_PKi31ggml_cuda_mm_fusion_args_devicePfj15HIP_vector_typeIjLj3EEjjjS8_jjjS8_jjjj.uses_vcc, 1
	.set _ZL13mul_mat_vec_qIL9ggml_type40ELi4ELb0ELb0EEvPKvS2_PKi31ggml_cuda_mm_fusion_args_devicePfj15HIP_vector_typeIjLj3EEjjjS8_jjjS8_jjjj.uses_flat_scratch, 0
	.set _ZL13mul_mat_vec_qIL9ggml_type40ELi4ELb0ELb0EEvPKvS2_PKi31ggml_cuda_mm_fusion_args_devicePfj15HIP_vector_typeIjLj3EEjjjS8_jjjS8_jjjj.has_dyn_sized_stack, 0
	.set _ZL13mul_mat_vec_qIL9ggml_type40ELi4ELb0ELb0EEvPKvS2_PKi31ggml_cuda_mm_fusion_args_devicePfj15HIP_vector_typeIjLj3EEjjjS8_jjjS8_jjjj.has_recursion, 0
	.set _ZL13mul_mat_vec_qIL9ggml_type40ELi4ELb0ELb0EEvPKvS2_PKi31ggml_cuda_mm_fusion_args_devicePfj15HIP_vector_typeIjLj3EEjjjS8_jjjS8_jjjj.has_indirect_call, 0
	.section	.AMDGPU.csdata,"",@progbits
; Kernel info:
; codeLenInByte = 3560
; TotalNumSgprs: 32
; NumVgprs: 79
; ScratchSize: 0
; MemoryBound: 0
; FloatMode: 240
; IeeeMode: 1
; LDSByteSize: 0 bytes/workgroup (compile time only)
; SGPRBlocks: 0
; VGPRBlocks: 9
; NumSGPRsForWavesPerEU: 32
; NumVGPRsForWavesPerEU: 79
; Occupancy: 16
; WaveLimiterHint : 0
; COMPUTE_PGM_RSRC2:SCRATCH_EN: 0
; COMPUTE_PGM_RSRC2:USER_SGPR: 2
; COMPUTE_PGM_RSRC2:TRAP_HANDLER: 0
; COMPUTE_PGM_RSRC2:TGID_X_EN: 1
; COMPUTE_PGM_RSRC2:TGID_Y_EN: 1
; COMPUTE_PGM_RSRC2:TGID_Z_EN: 1
; COMPUTE_PGM_RSRC2:TIDIG_COMP_CNT: 1
	.section	.text._ZL13mul_mat_vec_qIL9ggml_type40ELi5ELb0ELb0EEvPKvS2_PKi31ggml_cuda_mm_fusion_args_devicePfj15HIP_vector_typeIjLj3EEjjjS8_jjjS8_jjjj,"axG",@progbits,_ZL13mul_mat_vec_qIL9ggml_type40ELi5ELb0ELb0EEvPKvS2_PKi31ggml_cuda_mm_fusion_args_devicePfj15HIP_vector_typeIjLj3EEjjjS8_jjjS8_jjjj,comdat
	.globl	_ZL13mul_mat_vec_qIL9ggml_type40ELi5ELb0ELb0EEvPKvS2_PKi31ggml_cuda_mm_fusion_args_devicePfj15HIP_vector_typeIjLj3EEjjjS8_jjjS8_jjjj ; -- Begin function _ZL13mul_mat_vec_qIL9ggml_type40ELi5ELb0ELb0EEvPKvS2_PKi31ggml_cuda_mm_fusion_args_devicePfj15HIP_vector_typeIjLj3EEjjjS8_jjjS8_jjjj
	.p2align	8
	.type	_ZL13mul_mat_vec_qIL9ggml_type40ELi5ELb0ELb0EEvPKvS2_PKi31ggml_cuda_mm_fusion_args_devicePfj15HIP_vector_typeIjLj3EEjjjS8_jjjS8_jjjj,@function
_ZL13mul_mat_vec_qIL9ggml_type40ELi5ELb0ELb0EEvPKvS2_PKi31ggml_cuda_mm_fusion_args_devicePfj15HIP_vector_typeIjLj3EEjjjS8_jjjS8_jjjj: ; @_ZL13mul_mat_vec_qIL9ggml_type40ELi5ELb0ELb0EEvPKvS2_PKi31ggml_cuda_mm_fusion_args_devicePfj15HIP_vector_typeIjLj3EEjjjS8_jjjS8_jjjj
; %bb.0:
	v_bfe_u32 v53, v0, 10, 10
	s_clause 0x5
	s_load_b32 s2, s[0:1], 0x40
	s_load_b96 s[16:18], s[0:1], 0x80
	s_load_b128 s[4:7], s[0:1], 0x50
	s_load_b32 s23, s[0:1], 0x60
	s_load_b128 s[8:11], s[0:1], 0x68
	s_load_b32 s24, s[0:1], 0x78
	v_dual_mov_b32 v50, 0 :: v_dual_and_b32 v51, 0x3ff, v0
	v_dual_mov_b32 v49, 0 :: v_dual_lshlrev_b32 v0, 5, v53
	v_mov_b32_e32 v54, 0
	v_mov_b32_e32 v56, 0
	s_and_b32 s19, ttmp7, 0xffff
	s_delay_alu instid0(VALU_DEP_3) | instskip(SKIP_3) | instid1(VALU_DEP_2)
	v_add_nc_u16 v0, v0, v51
	s_lshr_b32 s20, ttmp7, 16
	s_mov_b32 s21, exec_lo
	v_mov_b32_e32 v52, 0
	v_lshrrev_b16 v0, 1, v0
	s_delay_alu instid0(VALU_DEP_1)
	v_and_b32_e32 v55, 0xffff, v0
	s_wait_kmcnt 0x0
	s_lshr_b32 s22, s2, 6
	s_delay_alu instid0(VALU_DEP_1) | instid1(SALU_CYCLE_1)
	v_cmpx_gt_u32_e64 s22, v55
	s_cbranch_execz .LBB92_64
; %bb.1:
	s_load_b128 s[12:15], s[0:1], 0x0
	s_mov_b32 s3, 0
	s_mul_i32 s26, s9, s19
	s_mov_b32 s27, s3
	s_mul_i32 s2, s17, s20
	s_mul_u64 s[26:27], s[26:27], 36
	v_lshlrev_b32_e32 v2, 2, v51
	v_mad_co_u64_u32 v[0:1], null, 0x48, v55, s[26:27]
	s_mul_hi_u32 s7, s7, s19
	s_mul_hi_u32 s9, s11, s20
	s_add_co_i32 s7, s19, s7
	v_dual_mov_b32 v50, 0 :: v_dual_and_b32 v3, 4, v2
	v_and_b32_e32 v2, 1, v51
	v_mad_co_u64_u32 v[0:1], null, s2, 36, v[0:1]
	s_mul_u64 s[28:29], s[2:3], 36
	s_add_co_i32 s9, s20, s9
	s_lshr_b32 s7, s7, s23
	s_lshr_b32 s11, s9, s24
	s_mul_i32 s7, s7, s8
	s_wait_kmcnt 0x0
	s_add_nc_u64 s[8:9], s[14:15], s[28:29]
	v_mad_co_u64_u32 v[0:1], null, v2, 36, v[0:1]
	s_add_nc_u64 s[8:9], s[8:9], s[26:27]
	s_mul_i32 s4, s4, ttmp9
	v_mad_co_u64_u32 v[44:45], null, v2, 36, s[8:9]
	v_lshlrev_b32_e32 v2, 1, v55
	v_lshrrev_b32_e32 v57, 1, v3
	v_add_co_u32 v46, vcc_lo, s14, v0
	v_add_lshl_u32 v58, s5, v55, 1
	s_delay_alu instid0(VALU_DEP_4)
	v_mad_co_u64_u32 v[48:49], null, s5, 3, v[2:3]
	v_add_co_ci_u32_e64 v47, null, s15, v1, vcc_lo
	v_lshl_add_u32 v59, s5, 2, v2
	v_add_nc_u32_e32 v60, s5, v2
	v_dual_mov_b32 v52, 0 :: v_dual_lshlrev_b32 v61, 2, v3
	v_dual_mov_b32 v49, 0 :: v_dual_mov_b32 v54, 0
	v_mov_b32_e32 v56, 0
	s_mul_i32 s2, s11, s16
	s_add_co_i32 s7, s7, s4
	s_mov_b32 s5, 0xf4f8fafc
	s_wait_alu 0xfffe
	s_add_co_i32 s4, s2, s7
	s_mov_b32 s7, 0xc080604
	s_mov_b32 s8, 0x4040404
	s_branch .LBB92_3
.LBB92_2:                               ;   in Loop: Header=BB92_3 Depth=1
	s_wait_alu 0xfffe
	s_or_b32 exec_lo, exec_lo, s9
	s_wait_loadcnt 0xf
	v_ashrrev_i32_e32 v74, 4, v10
	v_and_b32_e32 v85, 0x7070707, v10
	v_lshrrev_b32_e32 v10, 1, v10
	s_wait_loadcnt 0x6
	v_cvt_f32_f16_e32 v20, v20
	v_ashrrev_i32_e32 v72, 4, v11
	v_and_b32_e32 v81, 0x7070707, v74
	v_lshrrev_b32_e32 v74, 1, v74
	v_perm_b32 v87, s5, 0xfdfeff00, v85
	v_perm_b32 v85, s7, 0x3020100, v85
	v_and_or_b32 v10, v10, s8, 0x3020100
	v_and_b32_e32 v79, 0x7070707, v11
	v_lshrrev_b32_e32 v11, 1, v11
	v_perm_b32 v84, s5, 0xfdfeff00, v81
	v_perm_b32 v81, s7, 0x3020100, v81
	v_and_or_b32 v74, v74, s8, 0x3020100
	v_perm_b32 v10, v87, v85, v10
	v_perm_b32 v82, s5, 0xfdfeff00, v79
	v_perm_b32 v79, s7, 0x3020100, v79
	v_and_or_b32 v11, v11, s8, 0x3020100
	v_perm_b32 v74, v84, v81, v74
	v_dot4_i32_iu8 v1, v10, v1, 0 neg_lo:[1,1,0]
	v_ashrrev_i32_e32 v86, 4, v9
	v_ashrrev_i32_e32 v84, 4, v8
	v_perm_b32 v11, v82, v79, v11
	s_wait_loadcnt 0x4
	v_dot4_i32_iu8 v29, v10, v29, 0 neg_lo:[1,1,0]
	v_dot4_i32_iu8 v1, v74, v3, v1 neg_lo:[1,1,0]
	v_and_b32_e32 v88, 0x7070707, v86
	v_lshrrev_b32_e32 v85, 1, v86
	v_and_b32_e32 v89, 0x7070707, v84
	v_lshrrev_b32_e32 v84, 1, v84
	v_dot4_i32_iu8 v1, v11, v2, v1 neg_lo:[1,1,0]
	v_cvt_f32_f16_e32 v2, v4
	v_and_b32_e32 v86, 0x7070707, v8
	v_lshrrev_b32_e32 v8, 1, v8
	v_dot4_i32_iu8 v29, v74, v31, v29 neg_lo:[1,1,0]
	v_perm_b32 v91, s5, 0xfdfeff00, v89
	v_perm_b32 v89, s7, 0x3020100, v89
	;; [unrolled: 1-line block ×4, first 2 shown]
	v_and_or_b32 v8, v8, s8, 0x3020100
	v_and_or_b32 v84, v84, s8, 0x3020100
	v_dot4_i32_iu8 v29, v11, v30, v29 neg_lo:[1,1,0]
	s_wait_loadcnt 0x3
	v_cvt_f32_f16_e32 v30, v32
	v_and_b32_e32 v87, 0x7070707, v9
	v_lshrrev_b32_e32 v9, 1, v9
	v_perm_b32 v8, v90, v86, v8
	v_perm_b32 v84, v91, v89, v84
	;; [unrolled: 1-line block ×5, first 2 shown]
	v_and_or_b32 v9, v9, s8, 0x3020100
	v_dot4_i32_iu8 v5, v8, v5, 0 neg_lo:[1,1,0]
	v_dot4_i32_iu8 v33, v8, v33, 0 neg_lo:[1,1,0]
	v_perm_b32 v88, s7, 0x3020100, v88
	v_and_or_b32 v85, v85, s8, 0x3020100
	v_perm_b32 v9, v86, v87, v9
	v_dot4_i32_iu8 v5, v84, v7, v5 neg_lo:[1,1,0]
	v_dot4_i32_iu8 v33, v84, v35, v33 neg_lo:[1,1,0]
	;; [unrolled: 1-line block ×4, first 2 shown]
	s_wait_loadcnt 0x1
	v_dot4_i32_iu8 v32, v10, v41, 0 neg_lo:[1,1,0]
	v_dot4_i32_iu8 v3, v9, v6, v5 neg_lo:[1,1,0]
	v_cvt_f32_f16_e32 v6, v12
	v_and_b32_e32 v80, 0x7070707, v72
	v_lshrrev_b32_e32 v72, 1, v72
	v_dot4_i32_iu8 v31, v9, v34, v33 neg_lo:[1,1,0]
	v_dot4_i32_iu8 v13, v84, v15, v13 neg_lo:[1,1,0]
	;; [unrolled: 1-line block ×4, first 2 shown]
	v_and_or_b32 v35, v72, s8, 0x3020100
	v_perm_b32 v72, v81, v88, v85
	v_dot4_i32_iu8 v13, v9, v14, v13 neg_lo:[1,1,0]
	v_dot4_i32_iu8 v25, v10, v25, 0 neg_lo:[1,1,0]
	;; [unrolled: 1-line block ×5, first 2 shown]
	s_wait_loadcnt 0x0
	v_dot4_i32_iu8 v31, v8, v37, 0 neg_lo:[1,1,0]
	v_dot4_i32_iu8 v8, v74, v19, v17 neg_lo:[1,1,0]
	;; [unrolled: 1-line block ×3, first 2 shown]
	v_mul_f32_e32 v3, v66, v6
	v_perm_b32 v83, s5, 0xfdfeff00, v80
	v_perm_b32 v80, s7, 0x3020100, v80
	v_dot4_i32_iu8 v31, v84, v39, v31 neg_lo:[1,1,0]
	v_dot4_i32_iu8 v7, v11, v18, v8 neg_lo:[1,1,0]
	;; [unrolled: 1-line block ×4, first 2 shown]
	v_perm_b32 v33, v83, v80, v35
	v_dot4_i32_iu8 v31, v9, v38, v31 neg_lo:[1,1,0]
	v_dot4_i32_iu8 v21, v9, v22, v21 neg_lo:[1,1,0]
	v_cvt_f32_i32_e32 v0, v0
	v_dot4_i32_iu8 v25, v11, v26, v25 neg_lo:[1,1,0]
	v_dot4_i32_iu8 v5, v33, v65, v7 neg_lo:[1,1,0]
	;; [unrolled: 1-line block ×4, first 2 shown]
	v_cvt_f32_f16_e32 v23, v36
	v_cvt_f32_i32_e32 v7, v10
	v_cvt_f32_i32_e32 v4, v5
	v_dot4_i32_iu8 v1, v33, v62, v1 neg_lo:[1,1,0]
	v_mul_f32_e32 v5, v63, v2
	v_cvt_f32_i32_e32 v27, v31
	v_dot4_i32_iu8 v21, v72, v24, v21 neg_lo:[1,1,0]
	v_fma_f32 v3, v3, v7, 0
	v_dual_mul_f32 v7, v69, v23 :: v_dual_mul_f32 v2, v64, v2
	v_cvt_f32_i32_e32 v1, v1
	v_fma_f32 v0, v5, v0, 0
	v_dot4_i32_iu8 v29, v33, v75, v29 neg_lo:[1,1,0]
	v_cvt_f32_i32_e32 v28, v28
	v_mul_f32_e32 v34, v76, v30
	v_cvt_f32_i32_e32 v22, v22
	v_dot4_i32_iu8 v24, v33, v68, v25 neg_lo:[1,1,0]
	v_cvt_f32_i32_e32 v21, v21
	v_mul_f32_e32 v25, v70, v20
	v_fma_f32 v5, v7, v27, 0
	v_dual_mul_f32 v7, v71, v23 :: v_dual_fmac_f32 v0, v2, v1
	v_cvt_f32_i32_e32 v29, v29
	v_fma_f32 v28, v34, v28, 0
	v_mul_f32_e32 v30, v77, v30
	v_cvt_f32_i32_e32 v15, v24
	v_fma_f32 v17, v25, v21, 0
	v_mul_f32_e32 v8, v73, v20
	v_mul_f32_e32 v6, v67, v6
	v_dual_fmac_f32 v5, v7, v22 :: v_dual_add_f32 v56, v56, v0
	v_dual_fmac_f32 v28, v30, v29 :: v_dual_add_nc_u32 v55, 16, v55
	s_delay_alu instid0(VALU_DEP_2) | instskip(NEXT) | instid1(VALU_DEP_4)
	v_dual_fmac_f32 v17, v8, v15 :: v_dual_add_f32 v50, v50, v5
	v_fmac_f32_e32 v3, v6, v4
	v_add_co_u32 v46, vcc_lo, 0x480, v46
	s_wait_alu 0xfffd
	v_add_co_ci_u32_e64 v47, null, 0, v47, vcc_lo
	v_cmp_le_u32_e32 vcc_lo, s22, v55
	v_dual_add_f32 v49, v49, v28 :: v_dual_add_nc_u32 v58, 32, v58
	v_add_f32_e32 v52, v52, v17
	v_add_f32_e32 v54, v54, v3
	v_add_nc_u32_e32 v48, 32, v48
	v_add_nc_u32_e32 v59, 32, v59
	v_add_nc_u32_e32 v60, 32, v60
	s_or_b32 s3, vcc_lo, s3
	s_wait_alu 0xfffe
	s_and_not1_b32 exec_lo, exec_lo, s3
	s_cbranch_execz .LBB92_63
.LBB92_3:                               ; =>This Inner Loop Header: Depth=1
	s_wait_alu 0xfffe
	v_add_nc_u32_e32 v0, s4, v55
	s_mov_b32 s9, 0
	s_mov_b32 s11, exec_lo
	s_delay_alu instid0(VALU_DEP_1) | instskip(NEXT) | instid1(VALU_DEP_1)
	v_mad_co_i64_i32 v[0:1], null, v0, 36, s[12:13]
	v_add_co_u32 v2, vcc_lo, v0, v57
	s_wait_alu 0xfffd
	s_delay_alu instid0(VALU_DEP_2)
	v_add_co_ci_u32_e64 v3, null, 0, v1, vcc_lo
	v_add_co_u32 v0, vcc_lo, v0, v61
	s_wait_alu 0xfffd
	v_add_co_ci_u32_e64 v1, null, 0, v1, vcc_lo
	s_clause 0x1
	global_load_u16 v12, v[2:3], off
	global_load_b128 v[8:11], v[0:1], off offset:4
	s_clause 0x2
	global_load_b32 v62, v[46:47], off offset:32
	global_load_b128 v[0:3], v[46:47], off offset:16
	global_load_b128 v[4:7], v[46:47], off
	s_wait_loadcnt 0x4
	v_bfe_u32 v13, v12, 3, 4
	v_and_b32_e32 v69, 0xff, v12
	s_delay_alu instid0(VALU_DEP_2) | instskip(NEXT) | instid1(VALU_DEP_2)
	v_cmp_eq_u32_e32 vcc_lo, 0, v13
	v_cmpx_lt_i16_e32 0x7e, v69
	s_xor_b32 s11, exec_lo, s11
; %bb.4:                                ;   in Loop: Header=BB92_3 Depth=1
	v_cmp_ne_u16_e64 s2, 0x7f, v69
	s_and_b32 s9, s2, exec_lo
; %bb.5:                                ;   in Loop: Header=BB92_3 Depth=1
	s_and_not1_saveexec_b32 s11, s11
; %bb.6:                                ;   in Loop: Header=BB92_3 Depth=1
	v_cmp_ne_u16_e64 s2, 0, v69
	s_wait_alu 0xfffe
	s_and_not1_b32 s9, s9, exec_lo
	s_and_b32 s2, s2, exec_lo
	s_wait_alu 0xfffe
	s_or_b32 s9, s9, s2
; %bb.7:                                ;   in Loop: Header=BB92_3 Depth=1
	s_or_b32 exec_lo, exec_lo, s11
	v_dual_mov_b32 v63, 0 :: v_dual_and_b32 v14, 7, v12
	s_delay_alu instid0(VALU_DEP_1) | instskip(NEXT) | instid1(VALU_DEP_1)
	v_cvt_f32_ubyte0_e32 v14, v14
	v_fma_f32 v15, 0x3e000000, v14, 1.0
	s_wait_alu 0xfffd
	s_delay_alu instid0(VALU_DEP_1) | instskip(NEXT) | instid1(VALU_DEP_1)
	v_dual_cndmask_b32 v14, v15, v14 :: v_dual_add_nc_u32 v13, -7, v13
	v_cndmask_b32_e64 v13, v13, -9, vcc_lo
	s_delay_alu instid0(VALU_DEP_1) | instskip(NEXT) | instid1(VALU_DEP_1)
	v_ldexp_f32 v13, v14, v13
	v_mul_f32_e32 v72, 0.5, v13
	s_wait_alu 0xfffe
	s_and_saveexec_b32 s2, s9
; %bb.8:                                ;   in Loop: Header=BB92_3 Depth=1
	s_delay_alu instid0(VALU_DEP_1)
	v_mov_b32_e32 v63, v72
; %bb.9:                                ;   in Loop: Header=BB92_3 Depth=1
	s_wait_alu 0xfffe
	s_or_b32 exec_lo, exec_lo, s2
	v_lshrrev_b16 v71, 8, v12
	s_mov_b32 s9, 0
	s_mov_b32 s11, exec_lo
	s_delay_alu instid0(VALU_DEP_1) | instskip(NEXT) | instid1(VALU_DEP_1)
	v_and_b32_e32 v13, 0xffff, v71
	v_bfe_u32 v12, v13, 3, 4
	s_delay_alu instid0(VALU_DEP_1)
	v_cmp_eq_u32_e32 vcc_lo, 0, v12
	v_cmpx_lt_i16_e32 0x7e, v71
	s_xor_b32 s11, exec_lo, s11
; %bb.10:                               ;   in Loop: Header=BB92_3 Depth=1
	v_cmp_ne_u16_e64 s2, 0x7f, v71
	s_and_b32 s9, s2, exec_lo
; %bb.11:                               ;   in Loop: Header=BB92_3 Depth=1
	s_and_not1_saveexec_b32 s11, s11
; %bb.12:                               ;   in Loop: Header=BB92_3 Depth=1
	v_cmp_ne_u16_e64 s2, 0, v71
	s_wait_alu 0xfffe
	s_and_not1_b32 s9, s9, exec_lo
	s_and_b32 s2, s2, exec_lo
	s_wait_alu 0xfffe
	s_or_b32 s9, s9, s2
; %bb.13:                               ;   in Loop: Header=BB92_3 Depth=1
	s_or_b32 exec_lo, exec_lo, s11
	v_dual_mov_b32 v64, 0 :: v_dual_and_b32 v13, 7, v13
	s_delay_alu instid0(VALU_DEP_1) | instskip(NEXT) | instid1(VALU_DEP_1)
	v_cvt_f32_ubyte0_e32 v13, v13
	v_fma_f32 v14, 0x3e000000, v13, 1.0
	s_wait_alu 0xfffd
	s_delay_alu instid0(VALU_DEP_1) | instskip(NEXT) | instid1(VALU_DEP_1)
	v_dual_cndmask_b32 v13, v14, v13 :: v_dual_add_nc_u32 v12, -7, v12
	v_cndmask_b32_e64 v12, v12, -9, vcc_lo
	s_delay_alu instid0(VALU_DEP_1) | instskip(NEXT) | instid1(VALU_DEP_1)
	v_ldexp_f32 v12, v13, v12
	v_mul_f32_e32 v74, 0.5, v12
	s_wait_alu 0xfffe
	s_and_saveexec_b32 s2, s9
; %bb.14:                               ;   in Loop: Header=BB92_3 Depth=1
	s_delay_alu instid0(VALU_DEP_1)
	v_mov_b32_e32 v64, v74
; %bb.15:                               ;   in Loop: Header=BB92_3 Depth=1
	s_wait_alu 0xfffe
	s_or_b32 exec_lo, exec_lo, s2
	v_mad_co_u64_u32 v[12:13], null, v60, 36, v[44:45]
	s_mov_b32 s2, 0
	s_mov_b32 s9, exec_lo
	s_clause 0x2
	global_load_b32 v65, v[12:13], off offset:32
	global_load_b128 v[16:19], v[12:13], off offset:16
	global_load_b128 v[12:15], v[12:13], off
	v_cmpx_lt_i16_e32 0x7e, v69
	s_wait_alu 0xfffe
	s_xor_b32 s9, exec_lo, s9
	s_cbranch_execnz .LBB92_46
; %bb.16:                               ;   in Loop: Header=BB92_3 Depth=1
	s_wait_alu 0xfffe
	s_and_not1_saveexec_b32 s9, s9
	s_cbranch_execnz .LBB92_47
.LBB92_17:                              ;   in Loop: Header=BB92_3 Depth=1
	s_wait_alu 0xfffe
	s_or_b32 exec_lo, exec_lo, s9
	v_mov_b32_e32 v66, 0
	s_and_saveexec_b32 s9, s2
.LBB92_18:                              ;   in Loop: Header=BB92_3 Depth=1
	v_mov_b32_e32 v66, v72
.LBB92_19:                              ;   in Loop: Header=BB92_3 Depth=1
	s_wait_alu 0xfffe
	s_or_b32 exec_lo, exec_lo, s9
	s_mov_b32 s2, 0
	s_mov_b32 s9, exec_lo
	v_cmpx_lt_i16_e32 0x7e, v71
	s_wait_alu 0xfffe
	s_xor_b32 s9, exec_lo, s9
	s_cbranch_execnz .LBB92_48
; %bb.20:                               ;   in Loop: Header=BB92_3 Depth=1
	s_wait_alu 0xfffe
	s_and_not1_saveexec_b32 s9, s9
	s_cbranch_execnz .LBB92_49
.LBB92_21:                              ;   in Loop: Header=BB92_3 Depth=1
	s_wait_alu 0xfffe
	s_or_b32 exec_lo, exec_lo, s9
	v_mov_b32_e32 v67, 0
	s_and_saveexec_b32 s9, s2
.LBB92_22:                              ;   in Loop: Header=BB92_3 Depth=1
	v_mov_b32_e32 v67, v74
.LBB92_23:                              ;   in Loop: Header=BB92_3 Depth=1
	s_wait_alu 0xfffe
	s_or_b32 exec_lo, exec_lo, s9
	v_mad_co_u64_u32 v[20:21], null, v58, 36, v[44:45]
	s_mov_b32 s2, 0
	s_mov_b32 s9, exec_lo
	s_clause 0x2
	global_load_b32 v68, v[20:21], off offset:32
	global_load_b128 v[24:27], v[20:21], off offset:16
	global_load_b128 v[20:23], v[20:21], off
	v_cmpx_lt_i16_e32 0x7e, v69
	s_wait_alu 0xfffe
	s_xor_b32 s9, exec_lo, s9
	s_cbranch_execnz .LBB92_50
; %bb.24:                               ;   in Loop: Header=BB92_3 Depth=1
	s_wait_alu 0xfffe
	s_and_not1_saveexec_b32 s9, s9
	s_cbranch_execnz .LBB92_51
.LBB92_25:                              ;   in Loop: Header=BB92_3 Depth=1
	s_wait_alu 0xfffe
	s_or_b32 exec_lo, exec_lo, s9
	v_mov_b32_e32 v70, 0
	s_and_saveexec_b32 s9, s2
.LBB92_26:                              ;   in Loop: Header=BB92_3 Depth=1
	v_mov_b32_e32 v70, v72
.LBB92_27:                              ;   in Loop: Header=BB92_3 Depth=1
	s_wait_alu 0xfffe
	s_or_b32 exec_lo, exec_lo, s9
	s_mov_b32 s2, 0
	s_mov_b32 s9, exec_lo
	v_cmpx_lt_i16_e32 0x7e, v71
	s_wait_alu 0xfffe
	s_xor_b32 s9, exec_lo, s9
	s_cbranch_execnz .LBB92_52
; %bb.28:                               ;   in Loop: Header=BB92_3 Depth=1
	s_wait_alu 0xfffe
	s_and_not1_saveexec_b32 s9, s9
	s_cbranch_execnz .LBB92_53
.LBB92_29:                              ;   in Loop: Header=BB92_3 Depth=1
	s_wait_alu 0xfffe
	s_or_b32 exec_lo, exec_lo, s9
	v_mov_b32_e32 v73, 0
	s_and_saveexec_b32 s9, s2
.LBB92_30:                              ;   in Loop: Header=BB92_3 Depth=1
	v_mov_b32_e32 v73, v74
.LBB92_31:                              ;   in Loop: Header=BB92_3 Depth=1
	s_wait_alu 0xfffe
	s_or_b32 exec_lo, exec_lo, s9
	v_mad_co_u64_u32 v[32:33], null, v48, 36, v[44:45]
	s_mov_b32 s2, 0
	s_mov_b32 s9, exec_lo
	s_clause 0x2
	global_load_b32 v75, v[32:33], off offset:32
	global_load_b128 v[28:31], v[32:33], off offset:16
	global_load_b128 v[32:35], v[32:33], off
	v_cmpx_lt_i16_e32 0x7e, v69
	s_wait_alu 0xfffe
	s_xor_b32 s9, exec_lo, s9
	s_cbranch_execnz .LBB92_54
; %bb.32:                               ;   in Loop: Header=BB92_3 Depth=1
	s_wait_alu 0xfffe
	s_and_not1_saveexec_b32 s9, s9
	s_cbranch_execnz .LBB92_55
.LBB92_33:                              ;   in Loop: Header=BB92_3 Depth=1
	s_wait_alu 0xfffe
	s_or_b32 exec_lo, exec_lo, s9
	v_mov_b32_e32 v76, 0
	s_and_saveexec_b32 s9, s2
.LBB92_34:                              ;   in Loop: Header=BB92_3 Depth=1
	v_mov_b32_e32 v76, v72
.LBB92_35:                              ;   in Loop: Header=BB92_3 Depth=1
	s_wait_alu 0xfffe
	s_or_b32 exec_lo, exec_lo, s9
	s_mov_b32 s2, 0
	s_mov_b32 s9, exec_lo
	v_cmpx_lt_i16_e32 0x7e, v71
	s_wait_alu 0xfffe
	s_xor_b32 s9, exec_lo, s9
	s_cbranch_execnz .LBB92_56
; %bb.36:                               ;   in Loop: Header=BB92_3 Depth=1
	s_wait_alu 0xfffe
	s_and_not1_saveexec_b32 s9, s9
	s_cbranch_execnz .LBB92_57
.LBB92_37:                              ;   in Loop: Header=BB92_3 Depth=1
	s_wait_alu 0xfffe
	s_or_b32 exec_lo, exec_lo, s9
	v_mov_b32_e32 v77, 0
	s_and_saveexec_b32 s9, s2
.LBB92_38:                              ;   in Loop: Header=BB92_3 Depth=1
	v_mov_b32_e32 v77, v74
.LBB92_39:                              ;   in Loop: Header=BB92_3 Depth=1
	s_wait_alu 0xfffe
	s_or_b32 exec_lo, exec_lo, s9
	v_mad_co_u64_u32 v[36:37], null, v59, 36, v[44:45]
	s_mov_b32 s2, 0
	s_mov_b32 s9, exec_lo
	s_clause 0x2
	global_load_b32 v78, v[36:37], off offset:32
	global_load_b128 v[40:43], v[36:37], off offset:16
	global_load_b128 v[36:39], v[36:37], off
	v_cmpx_lt_i16_e32 0x7e, v69
	s_wait_alu 0xfffe
	s_xor_b32 s9, exec_lo, s9
	s_cbranch_execnz .LBB92_58
; %bb.40:                               ;   in Loop: Header=BB92_3 Depth=1
	s_wait_alu 0xfffe
	s_and_not1_saveexec_b32 s9, s9
	s_cbranch_execnz .LBB92_59
.LBB92_41:                              ;   in Loop: Header=BB92_3 Depth=1
	s_wait_alu 0xfffe
	s_or_b32 exec_lo, exec_lo, s9
	v_mov_b32_e32 v69, 0
	s_and_saveexec_b32 s9, s2
.LBB92_42:                              ;   in Loop: Header=BB92_3 Depth=1
	v_mov_b32_e32 v69, v72
.LBB92_43:                              ;   in Loop: Header=BB92_3 Depth=1
	s_wait_alu 0xfffe
	s_or_b32 exec_lo, exec_lo, s9
	s_mov_b32 s2, 0
	s_mov_b32 s9, exec_lo
	v_cmpx_lt_i16_e32 0x7e, v71
	s_wait_alu 0xfffe
	s_xor_b32 s9, exec_lo, s9
	s_cbranch_execnz .LBB92_60
; %bb.44:                               ;   in Loop: Header=BB92_3 Depth=1
	s_wait_alu 0xfffe
	s_and_not1_saveexec_b32 s9, s9
	s_cbranch_execnz .LBB92_61
.LBB92_45:                              ;   in Loop: Header=BB92_3 Depth=1
	s_wait_alu 0xfffe
	s_or_b32 exec_lo, exec_lo, s9
	v_mov_b32_e32 v71, 0
	s_and_saveexec_b32 s9, s2
	s_cbranch_execz .LBB92_2
	s_branch .LBB92_62
.LBB92_46:                              ;   in Loop: Header=BB92_3 Depth=1
	v_cmp_ne_u16_e32 vcc_lo, 0x7f, v69
	s_and_b32 s2, vcc_lo, exec_lo
	s_wait_alu 0xfffe
	s_and_not1_saveexec_b32 s9, s9
	s_cbranch_execz .LBB92_17
.LBB92_47:                              ;   in Loop: Header=BB92_3 Depth=1
	v_cmp_ne_u16_e32 vcc_lo, 0, v69
	s_and_not1_b32 s2, s2, exec_lo
	s_and_b32 s11, vcc_lo, exec_lo
	s_wait_alu 0xfffe
	s_or_b32 s2, s2, s11
	s_or_b32 exec_lo, exec_lo, s9
	v_mov_b32_e32 v66, 0
	s_wait_alu 0xfffe
	s_and_saveexec_b32 s9, s2
	s_cbranch_execnz .LBB92_18
	s_branch .LBB92_19
.LBB92_48:                              ;   in Loop: Header=BB92_3 Depth=1
	v_cmp_ne_u16_e32 vcc_lo, 0x7f, v71
	s_and_b32 s2, vcc_lo, exec_lo
	s_wait_alu 0xfffe
	s_and_not1_saveexec_b32 s9, s9
	s_cbranch_execz .LBB92_21
.LBB92_49:                              ;   in Loop: Header=BB92_3 Depth=1
	v_cmp_ne_u16_e32 vcc_lo, 0, v71
	s_and_not1_b32 s2, s2, exec_lo
	s_and_b32 s11, vcc_lo, exec_lo
	s_wait_alu 0xfffe
	s_or_b32 s2, s2, s11
	s_or_b32 exec_lo, exec_lo, s9
	v_mov_b32_e32 v67, 0
	s_wait_alu 0xfffe
	s_and_saveexec_b32 s9, s2
	s_cbranch_execnz .LBB92_22
	s_branch .LBB92_23
.LBB92_50:                              ;   in Loop: Header=BB92_3 Depth=1
	v_cmp_ne_u16_e32 vcc_lo, 0x7f, v69
	s_and_b32 s2, vcc_lo, exec_lo
	s_wait_alu 0xfffe
	s_and_not1_saveexec_b32 s9, s9
	s_cbranch_execz .LBB92_25
.LBB92_51:                              ;   in Loop: Header=BB92_3 Depth=1
	v_cmp_ne_u16_e32 vcc_lo, 0, v69
	s_and_not1_b32 s2, s2, exec_lo
	s_and_b32 s11, vcc_lo, exec_lo
	s_wait_alu 0xfffe
	s_or_b32 s2, s2, s11
	s_or_b32 exec_lo, exec_lo, s9
	v_mov_b32_e32 v70, 0
	s_wait_alu 0xfffe
	s_and_saveexec_b32 s9, s2
	s_cbranch_execnz .LBB92_26
	s_branch .LBB92_27
.LBB92_52:                              ;   in Loop: Header=BB92_3 Depth=1
	v_cmp_ne_u16_e32 vcc_lo, 0x7f, v71
	s_and_b32 s2, vcc_lo, exec_lo
	s_wait_alu 0xfffe
	s_and_not1_saveexec_b32 s9, s9
	s_cbranch_execz .LBB92_29
.LBB92_53:                              ;   in Loop: Header=BB92_3 Depth=1
	v_cmp_ne_u16_e32 vcc_lo, 0, v71
	s_and_not1_b32 s2, s2, exec_lo
	s_and_b32 s11, vcc_lo, exec_lo
	s_wait_alu 0xfffe
	s_or_b32 s2, s2, s11
	s_or_b32 exec_lo, exec_lo, s9
	v_mov_b32_e32 v73, 0
	s_wait_alu 0xfffe
	s_and_saveexec_b32 s9, s2
	s_cbranch_execnz .LBB92_30
	s_branch .LBB92_31
.LBB92_54:                              ;   in Loop: Header=BB92_3 Depth=1
	v_cmp_ne_u16_e32 vcc_lo, 0x7f, v69
	s_and_b32 s2, vcc_lo, exec_lo
	s_wait_alu 0xfffe
	s_and_not1_saveexec_b32 s9, s9
	s_cbranch_execz .LBB92_33
.LBB92_55:                              ;   in Loop: Header=BB92_3 Depth=1
	v_cmp_ne_u16_e32 vcc_lo, 0, v69
	s_and_not1_b32 s2, s2, exec_lo
	s_and_b32 s11, vcc_lo, exec_lo
	s_wait_alu 0xfffe
	s_or_b32 s2, s2, s11
	s_or_b32 exec_lo, exec_lo, s9
	v_mov_b32_e32 v76, 0
	s_wait_alu 0xfffe
	s_and_saveexec_b32 s9, s2
	s_cbranch_execnz .LBB92_34
	s_branch .LBB92_35
.LBB92_56:                              ;   in Loop: Header=BB92_3 Depth=1
	v_cmp_ne_u16_e32 vcc_lo, 0x7f, v71
	s_and_b32 s2, vcc_lo, exec_lo
	s_wait_alu 0xfffe
	s_and_not1_saveexec_b32 s9, s9
	s_cbranch_execz .LBB92_37
.LBB92_57:                              ;   in Loop: Header=BB92_3 Depth=1
	v_cmp_ne_u16_e32 vcc_lo, 0, v71
	s_and_not1_b32 s2, s2, exec_lo
	s_and_b32 s11, vcc_lo, exec_lo
	s_wait_alu 0xfffe
	s_or_b32 s2, s2, s11
	s_or_b32 exec_lo, exec_lo, s9
	v_mov_b32_e32 v77, 0
	s_wait_alu 0xfffe
	s_and_saveexec_b32 s9, s2
	s_cbranch_execnz .LBB92_38
	s_branch .LBB92_39
.LBB92_58:                              ;   in Loop: Header=BB92_3 Depth=1
	v_cmp_ne_u16_e32 vcc_lo, 0x7f, v69
                                        ; implicit-def: $vgpr69
	s_and_b32 s2, vcc_lo, exec_lo
	s_wait_alu 0xfffe
	s_and_not1_saveexec_b32 s9, s9
	s_cbranch_execz .LBB92_41
.LBB92_59:                              ;   in Loop: Header=BB92_3 Depth=1
	v_cmp_ne_u16_e32 vcc_lo, 0, v69
	s_and_not1_b32 s2, s2, exec_lo
	s_and_b32 s11, vcc_lo, exec_lo
	s_wait_alu 0xfffe
	s_or_b32 s2, s2, s11
	s_or_b32 exec_lo, exec_lo, s9
	v_mov_b32_e32 v69, 0
	s_wait_alu 0xfffe
	s_and_saveexec_b32 s9, s2
	s_cbranch_execnz .LBB92_42
	s_branch .LBB92_43
.LBB92_60:                              ;   in Loop: Header=BB92_3 Depth=1
	v_cmp_ne_u16_e32 vcc_lo, 0x7f, v71
                                        ; implicit-def: $vgpr71
	s_and_b32 s2, vcc_lo, exec_lo
	s_wait_alu 0xfffe
	s_and_not1_saveexec_b32 s9, s9
	s_cbranch_execz .LBB92_45
.LBB92_61:                              ;   in Loop: Header=BB92_3 Depth=1
	v_cmp_ne_u16_e32 vcc_lo, 0, v71
	s_and_not1_b32 s2, s2, exec_lo
	s_and_b32 s11, vcc_lo, exec_lo
	s_wait_alu 0xfffe
	s_or_b32 s2, s2, s11
	s_or_b32 exec_lo, exec_lo, s9
	v_mov_b32_e32 v71, 0
	s_wait_alu 0xfffe
	s_and_saveexec_b32 s9, s2
	s_cbranch_execz .LBB92_2
.LBB92_62:                              ;   in Loop: Header=BB92_3 Depth=1
	v_mov_b32_e32 v71, v74
	s_branch .LBB92_2
.LBB92_63:
	s_or_b32 exec_lo, exec_lo, s3
.LBB92_64:
	s_delay_alu instid0(SALU_CYCLE_1)
	s_or_b32 exec_lo, exec_lo, s21
	s_mov_b32 s3, 0
	; wave barrier
	global_inv scope:SCOPE_SE
	s_mov_b32 s2, exec_lo
	v_cmpx_eq_u32_e32 0, v53
	s_cbranch_execz .LBB92_75
; %bb.65:
	v_mbcnt_lo_u32_b32 v4, -1, 0
	s_load_b64 s[0:1], s[0:1], 0x38
	s_mul_i32 s2, s10, s19
	s_mul_i32 s4, s18, s20
	s_wait_alu 0xfffe
	s_add_co_i32 s2, s2, ttmp9
	v_xor_b32_e32 v0, 16, v4
	v_xor_b32_e32 v1, 8, v4
	;; [unrolled: 1-line block ×3, first 2 shown]
	s_wait_alu 0xfffe
	s_add_co_i32 s2, s2, s4
	s_wait_alu 0xfffe
	s_lshl_b64 s[2:3], s[2:3], 2
	v_cmp_gt_i32_e32 vcc_lo, 32, v0
	s_wait_alu 0xfffd
	v_cndmask_b32_e32 v0, v4, v0, vcc_lo
	v_cmp_gt_i32_e32 vcc_lo, 32, v1
	s_wait_kmcnt 0x0
	s_wait_alu 0xfffe
	s_add_nc_u64 s[0:1], s[0:1], s[2:3]
	s_wait_alu 0xfffd
	v_cndmask_b32_e32 v1, v4, v1, vcc_lo
	s_delay_alu instid0(VALU_DEP_1)
	v_lshlrev_b32_e32 v1, 2, v1
	v_lshlrev_b32_e32 v0, 2, v0
	ds_bpermute_b32 v2, v0, v56
	s_wait_dscnt 0x0
	v_add_f32_e32 v3, v56, v2
	v_xor_b32_e32 v2, 4, v4
	ds_bpermute_b32 v5, v1, v3
	v_cmp_gt_i32_e32 vcc_lo, 32, v2
	s_wait_dscnt 0x0
	s_wait_alu 0xfffd
	v_dual_cndmask_b32 v2, v4, v2 :: v_dual_add_f32 v5, v3, v5
	s_delay_alu instid0(VALU_DEP_1)
	v_lshlrev_b32_e32 v2, 2, v2
	v_xor_b32_e32 v3, 2, v4
	ds_bpermute_b32 v6, v2, v5
	v_cmp_gt_i32_e32 vcc_lo, 32, v3
	s_wait_alu 0xfffd
	v_cndmask_b32_e32 v3, v4, v3, vcc_lo
	v_cmp_gt_i32_e32 vcc_lo, 32, v7
	s_wait_alu 0xfffd
	v_cndmask_b32_e32 v4, v4, v7, vcc_lo
	v_cmp_eq_u32_e32 vcc_lo, 0, v51
	s_delay_alu instid0(VALU_DEP_2)
	v_lshlrev_b32_e32 v4, 2, v4
	v_lshlrev_b32_e32 v3, 2, v3
	s_wait_dscnt 0x0
	v_add_f32_e32 v5, v5, v6
	ds_bpermute_b32 v6, v3, v5
	s_wait_dscnt 0x0
	v_add_f32_e32 v5, v5, v6
	ds_bpermute_b32 v6, v4, v5
	s_and_saveexec_b32 s2, vcc_lo
	s_cbranch_execz .LBB92_67
; %bb.66:
	s_wait_dscnt 0x0
	v_dual_add_f32 v5, v5, v6 :: v_dual_mov_b32 v6, 0
	global_store_b32 v6, v5, s[0:1]
.LBB92_67:
	s_wait_alu 0xfffe
	s_or_b32 exec_lo, exec_lo, s2
	ds_bpermute_b32 v5, v0, v54
	s_wait_dscnt 0x0
	v_add_f32_e32 v5, v54, v5
	ds_bpermute_b32 v6, v1, v5
	s_wait_dscnt 0x0
	v_add_f32_e32 v5, v5, v6
	;; [unrolled: 3-line block ×4, first 2 shown]
	ds_bpermute_b32 v6, v4, v5
	s_and_saveexec_b32 s2, vcc_lo
	s_cbranch_execz .LBB92_69
; %bb.68:
	s_mov_b32 s7, 0
	s_wait_dscnt 0x0
	v_dual_add_f32 v5, v5, v6 :: v_dual_mov_b32 v6, 0
	s_wait_alu 0xfffe
	s_lshl_b64 s[4:5], s[6:7], 2
	s_wait_alu 0xfffe
	s_add_nc_u64 s[4:5], s[0:1], s[4:5]
	global_store_b32 v6, v5, s[4:5]
.LBB92_69:
	s_wait_alu 0xfffe
	s_or_b32 exec_lo, exec_lo, s2
	ds_bpermute_b32 v5, v0, v52
	s_wait_dscnt 0x0
	v_add_f32_e32 v5, v52, v5
	ds_bpermute_b32 v6, v1, v5
	s_wait_dscnt 0x0
	v_add_f32_e32 v5, v5, v6
	;; [unrolled: 3-line block ×4, first 2 shown]
	ds_bpermute_b32 v6, v4, v5
	s_and_saveexec_b32 s2, vcc_lo
	s_cbranch_execz .LBB92_71
; %bb.70:
	s_lshl_b32 s4, s6, 1
	s_mov_b32 s5, 0
	s_wait_dscnt 0x0
	v_dual_add_f32 v5, v5, v6 :: v_dual_mov_b32 v6, 0
	s_wait_alu 0xfffe
	s_lshl_b64 s[4:5], s[4:5], 2
	s_wait_alu 0xfffe
	s_add_nc_u64 s[4:5], s[0:1], s[4:5]
	global_store_b32 v6, v5, s[4:5]
.LBB92_71:
	s_wait_alu 0xfffe
	s_or_b32 exec_lo, exec_lo, s2
	ds_bpermute_b32 v5, v0, v49
	s_wait_dscnt 0x0
	v_add_f32_e32 v5, v49, v5
	ds_bpermute_b32 v6, v1, v5
	s_wait_dscnt 0x0
	v_add_f32_e32 v5, v5, v6
	;; [unrolled: 3-line block ×4, first 2 shown]
	ds_bpermute_b32 v6, v4, v5
	s_and_saveexec_b32 s2, vcc_lo
	s_cbranch_execz .LBB92_73
; %bb.72:
	s_mul_i32 s4, s6, 3
	s_mov_b32 s5, 0
	s_wait_dscnt 0x0
	v_dual_add_f32 v5, v5, v6 :: v_dual_mov_b32 v6, 0
	s_wait_alu 0xfffe
	s_lshl_b64 s[4:5], s[4:5], 2
	s_wait_alu 0xfffe
	s_add_nc_u64 s[4:5], s[0:1], s[4:5]
	global_store_b32 v6, v5, s[4:5]
.LBB92_73:
	s_wait_alu 0xfffe
	s_or_b32 exec_lo, exec_lo, s2
	ds_bpermute_b32 v0, v0, v50
	s_wait_dscnt 0x0
	v_add_f32_e32 v0, v50, v0
	ds_bpermute_b32 v1, v1, v0
	s_wait_dscnt 0x0
	v_add_f32_e32 v0, v0, v1
	ds_bpermute_b32 v1, v2, v0
	s_wait_dscnt 0x0
	v_add_f32_e32 v0, v0, v1
	ds_bpermute_b32 v1, v3, v0
	s_wait_dscnt 0x0
	v_add_f32_e32 v0, v0, v1
	ds_bpermute_b32 v1, v4, v0
	s_and_b32 exec_lo, exec_lo, vcc_lo
	s_cbranch_execz .LBB92_75
; %bb.74:
	s_lshl_b32 s2, s6, 2
	s_mov_b32 s3, 0
	s_wait_dscnt 0x0
	v_dual_add_f32 v0, v0, v1 :: v_dual_mov_b32 v1, 0
	s_wait_alu 0xfffe
	s_lshl_b64 s[2:3], s[2:3], 2
	s_wait_alu 0xfffe
	s_add_nc_u64 s[0:1], s[0:1], s[2:3]
	global_store_b32 v1, v0, s[0:1]
.LBB92_75:
	s_endpgm
	.section	.rodata,"a",@progbits
	.p2align	6, 0x0
	.amdhsa_kernel _ZL13mul_mat_vec_qIL9ggml_type40ELi5ELb0ELb0EEvPKvS2_PKi31ggml_cuda_mm_fusion_args_devicePfj15HIP_vector_typeIjLj3EEjjjS8_jjjS8_jjjj
		.amdhsa_group_segment_fixed_size 0
		.amdhsa_private_segment_fixed_size 0
		.amdhsa_kernarg_size 144
		.amdhsa_user_sgpr_count 2
		.amdhsa_user_sgpr_dispatch_ptr 0
		.amdhsa_user_sgpr_queue_ptr 0
		.amdhsa_user_sgpr_kernarg_segment_ptr 1
		.amdhsa_user_sgpr_dispatch_id 0
		.amdhsa_user_sgpr_private_segment_size 0
		.amdhsa_wavefront_size32 1
		.amdhsa_uses_dynamic_stack 0
		.amdhsa_enable_private_segment 0
		.amdhsa_system_sgpr_workgroup_id_x 1
		.amdhsa_system_sgpr_workgroup_id_y 1
		.amdhsa_system_sgpr_workgroup_id_z 1
		.amdhsa_system_sgpr_workgroup_info 0
		.amdhsa_system_vgpr_workitem_id 1
		.amdhsa_next_free_vgpr 92
		.amdhsa_next_free_sgpr 30
		.amdhsa_reserve_vcc 1
		.amdhsa_float_round_mode_32 0
		.amdhsa_float_round_mode_16_64 0
		.amdhsa_float_denorm_mode_32 3
		.amdhsa_float_denorm_mode_16_64 3
		.amdhsa_fp16_overflow 0
		.amdhsa_workgroup_processor_mode 1
		.amdhsa_memory_ordered 1
		.amdhsa_forward_progress 1
		.amdhsa_inst_pref_size 33
		.amdhsa_round_robin_scheduling 0
		.amdhsa_exception_fp_ieee_invalid_op 0
		.amdhsa_exception_fp_denorm_src 0
		.amdhsa_exception_fp_ieee_div_zero 0
		.amdhsa_exception_fp_ieee_overflow 0
		.amdhsa_exception_fp_ieee_underflow 0
		.amdhsa_exception_fp_ieee_inexact 0
		.amdhsa_exception_int_div_zero 0
	.end_amdhsa_kernel
	.section	.text._ZL13mul_mat_vec_qIL9ggml_type40ELi5ELb0ELb0EEvPKvS2_PKi31ggml_cuda_mm_fusion_args_devicePfj15HIP_vector_typeIjLj3EEjjjS8_jjjS8_jjjj,"axG",@progbits,_ZL13mul_mat_vec_qIL9ggml_type40ELi5ELb0ELb0EEvPKvS2_PKi31ggml_cuda_mm_fusion_args_devicePfj15HIP_vector_typeIjLj3EEjjjS8_jjjS8_jjjj,comdat
.Lfunc_end92:
	.size	_ZL13mul_mat_vec_qIL9ggml_type40ELi5ELb0ELb0EEvPKvS2_PKi31ggml_cuda_mm_fusion_args_devicePfj15HIP_vector_typeIjLj3EEjjjS8_jjjS8_jjjj, .Lfunc_end92-_ZL13mul_mat_vec_qIL9ggml_type40ELi5ELb0ELb0EEvPKvS2_PKi31ggml_cuda_mm_fusion_args_devicePfj15HIP_vector_typeIjLj3EEjjjS8_jjjS8_jjjj
                                        ; -- End function
	.set _ZL13mul_mat_vec_qIL9ggml_type40ELi5ELb0ELb0EEvPKvS2_PKi31ggml_cuda_mm_fusion_args_devicePfj15HIP_vector_typeIjLj3EEjjjS8_jjjS8_jjjj.num_vgpr, 92
	.set _ZL13mul_mat_vec_qIL9ggml_type40ELi5ELb0ELb0EEvPKvS2_PKi31ggml_cuda_mm_fusion_args_devicePfj15HIP_vector_typeIjLj3EEjjjS8_jjjS8_jjjj.num_agpr, 0
	.set _ZL13mul_mat_vec_qIL9ggml_type40ELi5ELb0ELb0EEvPKvS2_PKi31ggml_cuda_mm_fusion_args_devicePfj15HIP_vector_typeIjLj3EEjjjS8_jjjS8_jjjj.numbered_sgpr, 30
	.set _ZL13mul_mat_vec_qIL9ggml_type40ELi5ELb0ELb0EEvPKvS2_PKi31ggml_cuda_mm_fusion_args_devicePfj15HIP_vector_typeIjLj3EEjjjS8_jjjS8_jjjj.num_named_barrier, 0
	.set _ZL13mul_mat_vec_qIL9ggml_type40ELi5ELb0ELb0EEvPKvS2_PKi31ggml_cuda_mm_fusion_args_devicePfj15HIP_vector_typeIjLj3EEjjjS8_jjjS8_jjjj.private_seg_size, 0
	.set _ZL13mul_mat_vec_qIL9ggml_type40ELi5ELb0ELb0EEvPKvS2_PKi31ggml_cuda_mm_fusion_args_devicePfj15HIP_vector_typeIjLj3EEjjjS8_jjjS8_jjjj.uses_vcc, 1
	.set _ZL13mul_mat_vec_qIL9ggml_type40ELi5ELb0ELb0EEvPKvS2_PKi31ggml_cuda_mm_fusion_args_devicePfj15HIP_vector_typeIjLj3EEjjjS8_jjjS8_jjjj.uses_flat_scratch, 0
	.set _ZL13mul_mat_vec_qIL9ggml_type40ELi5ELb0ELb0EEvPKvS2_PKi31ggml_cuda_mm_fusion_args_devicePfj15HIP_vector_typeIjLj3EEjjjS8_jjjS8_jjjj.has_dyn_sized_stack, 0
	.set _ZL13mul_mat_vec_qIL9ggml_type40ELi5ELb0ELb0EEvPKvS2_PKi31ggml_cuda_mm_fusion_args_devicePfj15HIP_vector_typeIjLj3EEjjjS8_jjjS8_jjjj.has_recursion, 0
	.set _ZL13mul_mat_vec_qIL9ggml_type40ELi5ELb0ELb0EEvPKvS2_PKi31ggml_cuda_mm_fusion_args_devicePfj15HIP_vector_typeIjLj3EEjjjS8_jjjS8_jjjj.has_indirect_call, 0
	.section	.AMDGPU.csdata,"",@progbits
; Kernel info:
; codeLenInByte = 4144
; TotalNumSgprs: 32
; NumVgprs: 92
; ScratchSize: 0
; MemoryBound: 0
; FloatMode: 240
; IeeeMode: 1
; LDSByteSize: 0 bytes/workgroup (compile time only)
; SGPRBlocks: 0
; VGPRBlocks: 11
; NumSGPRsForWavesPerEU: 32
; NumVGPRsForWavesPerEU: 92
; Occupancy: 16
; WaveLimiterHint : 0
; COMPUTE_PGM_RSRC2:SCRATCH_EN: 0
; COMPUTE_PGM_RSRC2:USER_SGPR: 2
; COMPUTE_PGM_RSRC2:TRAP_HANDLER: 0
; COMPUTE_PGM_RSRC2:TGID_X_EN: 1
; COMPUTE_PGM_RSRC2:TGID_Y_EN: 1
; COMPUTE_PGM_RSRC2:TGID_Z_EN: 1
; COMPUTE_PGM_RSRC2:TIDIG_COMP_CNT: 1
	.section	.text._ZL13mul_mat_vec_qIL9ggml_type40ELi6ELb0ELb0EEvPKvS2_PKi31ggml_cuda_mm_fusion_args_devicePfj15HIP_vector_typeIjLj3EEjjjS8_jjjS8_jjjj,"axG",@progbits,_ZL13mul_mat_vec_qIL9ggml_type40ELi6ELb0ELb0EEvPKvS2_PKi31ggml_cuda_mm_fusion_args_devicePfj15HIP_vector_typeIjLj3EEjjjS8_jjjS8_jjjj,comdat
	.globl	_ZL13mul_mat_vec_qIL9ggml_type40ELi6ELb0ELb0EEvPKvS2_PKi31ggml_cuda_mm_fusion_args_devicePfj15HIP_vector_typeIjLj3EEjjjS8_jjjS8_jjjj ; -- Begin function _ZL13mul_mat_vec_qIL9ggml_type40ELi6ELb0ELb0EEvPKvS2_PKi31ggml_cuda_mm_fusion_args_devicePfj15HIP_vector_typeIjLj3EEjjjS8_jjjS8_jjjj
	.p2align	8
	.type	_ZL13mul_mat_vec_qIL9ggml_type40ELi6ELb0ELb0EEvPKvS2_PKi31ggml_cuda_mm_fusion_args_devicePfj15HIP_vector_typeIjLj3EEjjjS8_jjjS8_jjjj,@function
_ZL13mul_mat_vec_qIL9ggml_type40ELi6ELb0ELb0EEvPKvS2_PKi31ggml_cuda_mm_fusion_args_devicePfj15HIP_vector_typeIjLj3EEjjjS8_jjjS8_jjjj: ; @_ZL13mul_mat_vec_qIL9ggml_type40ELi6ELb0ELb0EEvPKvS2_PKi31ggml_cuda_mm_fusion_args_devicePfj15HIP_vector_typeIjLj3EEjjjS8_jjjS8_jjjj
; %bb.0:
	v_bfe_u32 v63, v0, 10, 10
	s_clause 0x5
	s_load_b32 s2, s[0:1], 0x40
	s_load_b96 s[16:18], s[0:1], 0x80
	s_load_b128 s[4:7], s[0:1], 0x50
	s_load_b32 s23, s[0:1], 0x60
	s_load_b128 s[8:11], s[0:1], 0x68
	s_load_b32 s24, s[0:1], 0x78
	v_dual_mov_b32 v59, 0 :: v_dual_and_b32 v60, 0x3ff, v0
	v_dual_mov_b32 v61, 0 :: v_dual_lshlrev_b32 v0, 5, v63
	v_mov_b32_e32 v62, 0
	v_mov_b32_e32 v64, 0
	;; [unrolled: 1-line block ×3, first 2 shown]
	s_delay_alu instid0(VALU_DEP_4) | instskip(SKIP_3) | instid1(VALU_DEP_1)
	v_add_nc_u16 v0, v0, v60
	s_and_b32 s19, ttmp7, 0xffff
	s_lshr_b32 s20, ttmp7, 16
	s_mov_b32 s21, exec_lo
	v_lshrrev_b16 v0, 1, v0
	s_delay_alu instid0(VALU_DEP_1)
	v_dual_mov_b32 v58, 0 :: v_dual_and_b32 v65, 0xffff, v0
	s_wait_kmcnt 0x0
	s_lshr_b32 s22, s2, 6
	s_delay_alu instid0(VALU_DEP_1) | instid1(SALU_CYCLE_1)
	v_cmpx_gt_u32_e64 s22, v65
	s_cbranch_execz .LBB93_76
; %bb.1:
	s_load_b128 s[12:15], s[0:1], 0x0
	s_mov_b32 s3, 0
	s_mul_i32 s26, s9, s19
	s_mov_b32 s27, s3
	s_mul_i32 s2, s17, s20
	s_mul_u64 s[26:27], s[26:27], 36
	v_dual_mov_b32 v59, 0 :: v_dual_lshlrev_b32 v2, 2, v60
	v_mad_co_u64_u32 v[0:1], null, 0x48, v65, s[26:27]
	s_mul_hi_u32 s7, s7, s19
	s_mul_hi_u32 s9, s11, s20
	s_add_co_i32 s7, s19, s7
	s_mul_u64 s[28:29], s[2:3], 36
	s_add_co_i32 s9, s20, s9
	s_lshr_b32 s7, s7, s23
	v_mad_co_u64_u32 v[0:1], null, s2, 36, v[0:1]
	v_and_b32_e32 v3, 4, v2
	v_dual_mov_b32 v61, 0 :: v_dual_and_b32 v2, 1, v60
	s_lshr_b32 s11, s9, s24
	s_mul_i32 s7, s7, s8
	s_wait_kmcnt 0x0
	s_add_nc_u64 s[8:9], s[14:15], s[28:29]
	s_delay_alu instid0(VALU_DEP_3)
	v_mad_co_u64_u32 v[0:1], null, v2, 36, v[0:1]
	s_add_nc_u64 s[8:9], s[8:9], s[26:27]
	s_mul_i32 s4, s4, ttmp9
	v_mad_co_u64_u32 v[52:53], null, v2, 36, s[8:9]
	v_lshlrev_b32_e32 v2, 1, v65
	v_add_lshl_u32 v68, s5, v65, 1
	v_add_co_u32 v54, vcc_lo, s14, v0
	s_delay_alu instid0(VALU_DEP_1) | instskip(NEXT) | instid1(VALU_DEP_4)
	v_add_co_ci_u32_e64 v55, null, s15, v1, vcc_lo
	v_mad_co_u64_u32 v[56:57], null, s5, 3, v[2:3]
	v_mad_co_u64_u32 v[57:58], null, s5, 5, v[2:3]
	v_lshl_add_u32 v69, s5, 2, v2
	v_add_nc_u32_e32 v70, s5, v2
	v_mov_b32_e32 v58, 0
	v_lshrrev_b32_e32 v67, 1, v3
	v_dual_mov_b32 v62, 0 :: v_dual_lshlrev_b32 v71, 2, v3
	v_mov_b32_e32 v64, 0
	v_mov_b32_e32 v66, 0
	s_mul_i32 s2, s11, s16
	s_add_co_i32 s7, s7, s4
	s_mov_b32 s5, 0xf4f8fafc
	s_wait_alu 0xfffe
	s_add_co_i32 s4, s2, s7
	s_mov_b32 s7, 0xc080604
	s_mov_b32 s8, 0x4040404
	s_branch .LBB93_3
.LBB93_2:                               ;   in Loop: Header=BB93_3 Depth=1
	s_wait_alu 0xfffe
	s_or_b32 exec_lo, exec_lo, s9
	s_wait_loadcnt 0x12
	v_ashrrev_i32_e32 v92, 4, v26
	s_wait_loadcnt 0x3
	v_cvt_f32_f16_e32 v36, v36
	v_and_b32_e32 v93, 0x7070707, v26
	v_lshrrev_b32_e32 v26, 1, v26
	v_ashrrev_i32_e32 v96, 4, v24
	v_and_b32_e32 v99, 0x7070707, v92
	v_lshrrev_b32_e32 v92, 1, v92
	v_and_b32_e32 v97, 0x7070707, v24
	v_lshrrev_b32_e32 v24, 1, v24
	v_perm_b32 v102, s5, 0xfdfeff00, v93
	v_perm_b32 v101, s5, 0xfdfeff00, v99
	;; [unrolled: 1-line block ×3, first 2 shown]
	v_and_or_b32 v92, v92, s8, 0x3020100
	v_perm_b32 v93, s7, 0x3020100, v93
	v_and_or_b32 v26, v26, s8, 0x3020100
	v_ashrrev_i32_e32 v84, 4, v27
	v_and_b32_e32 v86, 0x7070707, v27
	v_lshrrev_b32_e32 v27, 1, v27
	v_perm_b32 v92, v101, v99, v92
	v_perm_b32 v26, v102, v93, v26
	;; [unrolled: 1-line block ×3, first 2 shown]
	v_and_b32_e32 v101, 0x7070707, v96
	v_perm_b32 v97, s7, 0x3020100, v97
	v_lshrrev_b32_e32 v96, 1, v96
	v_and_or_b32 v24, v24, s8, 0x3020100
	v_ashrrev_i32_e32 v94, 4, v25
	v_and_b32_e32 v95, 0x7070707, v25
	v_lshrrev_b32_e32 v25, 1, v25
	v_perm_b32 v103, s5, 0xfdfeff00, v86
	v_perm_b32 v86, s7, 0x3020100, v86
	v_and_or_b32 v27, v27, s8, 0x3020100
	v_perm_b32 v104, s5, 0xfdfeff00, v101
	v_perm_b32 v101, s7, 0x3020100, v101
	v_and_or_b32 v96, v96, s8, 0x3020100
	v_perm_b32 v24, v99, v97, v24
	v_dot4_i32_iu8 v21, v26, v21, 0 neg_lo:[1,1,0]
	v_perm_b32 v97, s5, 0xfdfeff00, v95
	v_perm_b32 v95, s7, 0x3020100, v95
	v_and_or_b32 v25, v25, s8, 0x3020100
	v_perm_b32 v96, v104, v101, v96
	v_dot4_i32_iu8 v37, v24, v37, 0 neg_lo:[1,1,0]
	v_perm_b32 v27, v103, v86, v27
	v_dot4_i32_iu8 v21, v92, v23, v21 neg_lo:[1,1,0]
	v_cvt_f32_f16_e32 v16, v16
	v_and_b32_e32 v93, 0x7070707, v94
	v_lshrrev_b32_e32 v94, 1, v94
	v_and_b32_e32 v98, 0x7070707, v84
	v_lshrrev_b32_e32 v84, 1, v84
	v_perm_b32 v25, v97, v95, v25
	v_dot4_i32_iu8 v41, v26, v41, 0 neg_lo:[1,1,0]
	v_and_or_b32 v94, v94, s8, 0x3020100
	v_dot4_i32_iu8 v37, v96, v39, v37 neg_lo:[1,1,0]
	v_dot4_i32_iu8 v21, v27, v22, v21 neg_lo:[1,1,0]
	;; [unrolled: 1-line block ×3, first 2 shown]
	v_mul_f32_e32 v22, v79, v16
	v_perm_b32 v102, s5, 0xfdfeff00, v93
	v_perm_b32 v93, s7, 0x3020100, v93
	v_dot4_i32_iu8 v5, v24, v5, 0 neg_lo:[1,1,0]
	v_perm_b32 v100, s5, 0xfdfeff00, v98
	v_perm_b32 v98, s7, 0x3020100, v98
	v_and_or_b32 v39, v84, s8, 0x3020100
	v_perm_b32 v84, v102, v93, v94
	v_dot4_i32_iu8 v41, v92, v43, v41 neg_lo:[1,1,0]
	v_dot4_i32_iu8 v37, v25, v38, v37 neg_lo:[1,1,0]
	;; [unrolled: 1-line block ×6, first 2 shown]
	v_perm_b32 v38, v100, v98, v39
	v_dot4_i32_iu8 v39, v27, v42, v41 neg_lo:[1,1,0]
	v_dot4_i32_iu8 v37, v84, v40, v37 neg_lo:[1,1,0]
	;; [unrolled: 1-line block ×7, first 2 shown]
	v_cvt_f32_i32_e32 v37, v37
	v_mul_f32_e32 v40, v89, v36
	s_wait_loadcnt 0x0
	v_dot4_i32_iu8 v41, v24, v45, 0 neg_lo:[1,1,0]
	v_dot4_i32_iu8 v33, v24, v33, 0 neg_lo:[1,1,0]
	;; [unrolled: 1-line block ×7, first 2 shown]
	v_cvt_f32_f16_e32 v2, v4
	v_dot4_i32_iu8 v42, v26, v49, 0 neg_lo:[1,1,0]
	v_cvt_f32_i32_e32 v39, v39
	v_fma_f32 v37, v40, v37, 0
	v_mul_f32_e32 v36, v91, v36
	v_dot4_i32_iu8 v40, v96, v47, v41 neg_lo:[1,1,0]
	v_dot4_i32_iu8 v29, v26, v29, 0 neg_lo:[1,1,0]
	;; [unrolled: 1-line block ×4, first 2 shown]
	v_mul_f32_e32 v10, v80, v16
	v_dot4_i32_iu8 v9, v84, v12, v9 neg_lo:[1,1,0]
	v_cvt_f32_f16_e32 v6, v8
	v_cvt_f32_i32_e32 v4, v5
	v_dot4_i32_iu8 v1, v38, v72, v1 neg_lo:[1,1,0]
	v_cvt_f32_i32_e32 v0, v0
	v_mul_f32_e32 v5, v73, v2
	v_dot4_i32_iu8 v41, v92, v51, v42 neg_lo:[1,1,0]
	v_fmac_f32_e32 v37, v36, v39
	v_dot4_i32_iu8 v36, v25, v46, v40 neg_lo:[1,1,0]
	v_dot4_i32_iu8 v29, v92, v31, v29 neg_lo:[1,1,0]
	;; [unrolled: 1-line block ×3, first 2 shown]
	v_cvt_f32_f16_e32 v33, v44
	v_dot4_i32_iu8 v17, v25, v18, v17 neg_lo:[1,1,0]
	v_cvt_f32_i32_e32 v7, v9
	v_cvt_f32_i32_e32 v1, v1
	v_fma_f32 v0, v5, v0, 0
	v_mul_f32_e32 v2, v74, v2
	v_mul_f32_e32 v3, v76, v6
	v_dot4_i32_iu8 v39, v27, v50, v41 neg_lo:[1,1,0]
	v_dot4_i32_iu8 v35, v84, v48, v36 neg_lo:[1,1,0]
	;; [unrolled: 1-line block ×4, first 2 shown]
	v_cvt_f32_f16_e32 v30, v32
	v_dot4_i32_iu8 v17, v84, v20, v17 neg_lo:[1,1,0]
	v_mul_f32_e32 v6, v77, v6
	v_fmac_f32_e32 v0, v2, v1
	v_fma_f32 v3, v3, v7, 0
	v_dot4_i32_iu8 v36, v38, v90, v39 neg_lo:[1,1,0]
	v_cvt_f32_i32_e32 v34, v35
	v_dot4_i32_iu8 v19, v38, v81, v29 neg_lo:[1,1,0]
	v_cvt_f32_i32_e32 v28, v28
	v_mul_f32_e32 v29, v85, v30
	v_dot4_i32_iu8 v21, v38, v78, v21 neg_lo:[1,1,0]
	v_cvt_f32_i32_e32 v17, v17
	v_dual_fmac_f32 v3, v6, v4 :: v_dual_add_nc_u32 v70, 32, v70
	v_mul_f32_e32 v7, v82, v33
	v_cvt_f32_i32_e32 v18, v36
	v_cvt_f32_i32_e32 v19, v19
	v_fma_f32 v23, v29, v28, 0
	v_mul_f32_e32 v20, v87, v30
	v_cvt_f32_i32_e32 v11, v21
	v_fma_f32 v15, v22, v17, 0
	v_add_f32_e32 v64, v64, v3
	v_fma_f32 v5, v7, v34, 0
	v_mul_f32_e32 v7, v83, v33
	v_add_nc_u32_e32 v65, 16, v65
	v_dual_fmac_f32 v23, v20, v19 :: v_dual_add_f32 v66, v66, v0
	v_dual_fmac_f32 v15, v10, v11 :: v_dual_add_nc_u32 v68, 32, v68
	s_delay_alu instid0(VALU_DEP_4)
	v_fmac_f32_e32 v5, v7, v18
	v_add_co_u32 v54, vcc_lo, 0x480, v54
	s_wait_alu 0xfffd
	v_add_co_ci_u32_e64 v55, null, 0, v55, vcc_lo
	v_cmp_le_u32_e32 vcc_lo, s22, v65
	v_dual_add_f32 v58, v58, v37 :: v_dual_add_f32 v61, v61, v23
	v_add_nc_u32_e32 v56, 32, v56
	v_dual_add_f32 v62, v62, v15 :: v_dual_add_f32 v59, v59, v5
	v_add_nc_u32_e32 v69, 32, v69
	v_add_nc_u32_e32 v57, 32, v57
	s_or_b32 s3, vcc_lo, s3
	s_wait_alu 0xfffe
	s_and_not1_b32 exec_lo, exec_lo, s3
	s_cbranch_execz .LBB93_75
.LBB93_3:                               ; =>This Inner Loop Header: Depth=1
	s_wait_alu 0xfffe
	v_add_nc_u32_e32 v0, s4, v65
	s_mov_b32 s9, 0
	s_mov_b32 s11, exec_lo
	s_delay_alu instid0(VALU_DEP_1) | instskip(NEXT) | instid1(VALU_DEP_1)
	v_mad_co_i64_i32 v[0:1], null, v0, 36, s[12:13]
	v_add_co_u32 v2, vcc_lo, v0, v67
	s_wait_alu 0xfffd
	s_delay_alu instid0(VALU_DEP_2)
	v_add_co_ci_u32_e64 v3, null, 0, v1, vcc_lo
	v_add_co_u32 v0, vcc_lo, v0, v71
	s_wait_alu 0xfffd
	v_add_co_ci_u32_e64 v1, null, 0, v1, vcc_lo
	s_clause 0x1
	global_load_u16 v8, v[2:3], off
	global_load_b128 v[24:27], v[0:1], off offset:4
	s_clause 0x2
	global_load_b32 v72, v[54:55], off offset:32
	global_load_b128 v[0:3], v[54:55], off offset:16
	global_load_b128 v[4:7], v[54:55], off
	s_wait_loadcnt 0x4
	v_bfe_u32 v9, v8, 3, 4
	v_and_b32_e32 v82, 0xff, v8
	s_delay_alu instid0(VALU_DEP_2) | instskip(NEXT) | instid1(VALU_DEP_2)
	v_cmp_eq_u32_e32 vcc_lo, 0, v9
	v_cmpx_lt_i16_e32 0x7e, v82
	s_xor_b32 s11, exec_lo, s11
; %bb.4:                                ;   in Loop: Header=BB93_3 Depth=1
	v_cmp_ne_u16_e64 s2, 0x7f, v82
	s_and_b32 s9, s2, exec_lo
; %bb.5:                                ;   in Loop: Header=BB93_3 Depth=1
	s_and_not1_saveexec_b32 s11, s11
; %bb.6:                                ;   in Loop: Header=BB93_3 Depth=1
	v_cmp_ne_u16_e64 s2, 0, v82
	s_wait_alu 0xfffe
	s_and_not1_b32 s9, s9, exec_lo
	s_and_b32 s2, s2, exec_lo
	s_wait_alu 0xfffe
	s_or_b32 s9, s9, s2
; %bb.7:                                ;   in Loop: Header=BB93_3 Depth=1
	s_or_b32 exec_lo, exec_lo, s11
	v_dual_mov_b32 v73, 0 :: v_dual_and_b32 v10, 7, v8
	s_delay_alu instid0(VALU_DEP_1) | instskip(NEXT) | instid1(VALU_DEP_1)
	v_cvt_f32_ubyte0_e32 v10, v10
	v_fma_f32 v11, 0x3e000000, v10, 1.0
	s_wait_alu 0xfffd
	s_delay_alu instid0(VALU_DEP_1) | instskip(NEXT) | instid1(VALU_DEP_1)
	v_dual_cndmask_b32 v10, v11, v10 :: v_dual_add_nc_u32 v9, -7, v9
	v_cndmask_b32_e64 v9, v9, -9, vcc_lo
	s_delay_alu instid0(VALU_DEP_1) | instskip(NEXT) | instid1(VALU_DEP_1)
	v_ldexp_f32 v9, v10, v9
	v_mul_f32_e32 v84, 0.5, v9
	s_wait_alu 0xfffe
	s_and_saveexec_b32 s2, s9
; %bb.8:                                ;   in Loop: Header=BB93_3 Depth=1
	s_delay_alu instid0(VALU_DEP_1)
	v_mov_b32_e32 v73, v84
; %bb.9:                                ;   in Loop: Header=BB93_3 Depth=1
	s_wait_alu 0xfffe
	s_or_b32 exec_lo, exec_lo, s2
	v_lshrrev_b16 v83, 8, v8
	s_mov_b32 s9, 0
	s_mov_b32 s11, exec_lo
	s_delay_alu instid0(VALU_DEP_1) | instskip(NEXT) | instid1(VALU_DEP_1)
	v_and_b32_e32 v9, 0xffff, v83
	v_bfe_u32 v8, v9, 3, 4
	s_delay_alu instid0(VALU_DEP_1)
	v_cmp_eq_u32_e32 vcc_lo, 0, v8
	v_cmpx_lt_i16_e32 0x7e, v83
	s_xor_b32 s11, exec_lo, s11
; %bb.10:                               ;   in Loop: Header=BB93_3 Depth=1
	v_cmp_ne_u16_e64 s2, 0x7f, v83
	s_and_b32 s9, s2, exec_lo
; %bb.11:                               ;   in Loop: Header=BB93_3 Depth=1
	s_and_not1_saveexec_b32 s11, s11
; %bb.12:                               ;   in Loop: Header=BB93_3 Depth=1
	v_cmp_ne_u16_e64 s2, 0, v83
	s_wait_alu 0xfffe
	s_and_not1_b32 s9, s9, exec_lo
	s_and_b32 s2, s2, exec_lo
	s_wait_alu 0xfffe
	s_or_b32 s9, s9, s2
; %bb.13:                               ;   in Loop: Header=BB93_3 Depth=1
	s_or_b32 exec_lo, exec_lo, s11
	v_dual_mov_b32 v74, 0 :: v_dual_and_b32 v9, 7, v9
	s_delay_alu instid0(VALU_DEP_1) | instskip(NEXT) | instid1(VALU_DEP_1)
	v_cvt_f32_ubyte0_e32 v9, v9
	v_fma_f32 v10, 0x3e000000, v9, 1.0
	s_wait_alu 0xfffd
	s_delay_alu instid0(VALU_DEP_1) | instskip(NEXT) | instid1(VALU_DEP_1)
	v_dual_cndmask_b32 v9, v10, v9 :: v_dual_add_nc_u32 v8, -7, v8
	v_cndmask_b32_e64 v8, v8, -9, vcc_lo
	s_delay_alu instid0(VALU_DEP_1) | instskip(NEXT) | instid1(VALU_DEP_1)
	v_ldexp_f32 v8, v9, v8
	v_mul_f32_e32 v86, 0.5, v8
	s_wait_alu 0xfffe
	s_and_saveexec_b32 s2, s9
; %bb.14:                               ;   in Loop: Header=BB93_3 Depth=1
	s_delay_alu instid0(VALU_DEP_1)
	v_mov_b32_e32 v74, v86
; %bb.15:                               ;   in Loop: Header=BB93_3 Depth=1
	s_wait_alu 0xfffe
	s_or_b32 exec_lo, exec_lo, s2
	v_mad_co_u64_u32 v[8:9], null, v70, 36, v[52:53]
	s_mov_b32 s2, 0
	s_mov_b32 s9, exec_lo
	s_clause 0x2
	global_load_b32 v75, v[8:9], off offset:32
	global_load_b128 v[12:15], v[8:9], off offset:16
	global_load_b128 v[8:11], v[8:9], off
	v_cmpx_lt_i16_e32 0x7e, v82
	s_wait_alu 0xfffe
	s_xor_b32 s9, exec_lo, s9
	s_cbranch_execnz .LBB93_54
; %bb.16:                               ;   in Loop: Header=BB93_3 Depth=1
	s_wait_alu 0xfffe
	s_and_not1_saveexec_b32 s9, s9
	s_cbranch_execnz .LBB93_55
.LBB93_17:                              ;   in Loop: Header=BB93_3 Depth=1
	s_wait_alu 0xfffe
	s_or_b32 exec_lo, exec_lo, s9
	v_mov_b32_e32 v76, 0
	s_and_saveexec_b32 s9, s2
.LBB93_18:                              ;   in Loop: Header=BB93_3 Depth=1
	v_mov_b32_e32 v76, v84
.LBB93_19:                              ;   in Loop: Header=BB93_3 Depth=1
	s_wait_alu 0xfffe
	s_or_b32 exec_lo, exec_lo, s9
	s_mov_b32 s2, 0
	s_mov_b32 s9, exec_lo
	v_cmpx_lt_i16_e32 0x7e, v83
	s_wait_alu 0xfffe
	s_xor_b32 s9, exec_lo, s9
	s_cbranch_execnz .LBB93_56
; %bb.20:                               ;   in Loop: Header=BB93_3 Depth=1
	s_wait_alu 0xfffe
	s_and_not1_saveexec_b32 s9, s9
	s_cbranch_execnz .LBB93_57
.LBB93_21:                              ;   in Loop: Header=BB93_3 Depth=1
	s_wait_alu 0xfffe
	s_or_b32 exec_lo, exec_lo, s9
	v_mov_b32_e32 v77, 0
	s_and_saveexec_b32 s9, s2
.LBB93_22:                              ;   in Loop: Header=BB93_3 Depth=1
	v_mov_b32_e32 v77, v86
.LBB93_23:                              ;   in Loop: Header=BB93_3 Depth=1
	s_wait_alu 0xfffe
	s_or_b32 exec_lo, exec_lo, s9
	v_mad_co_u64_u32 v[16:17], null, v68, 36, v[52:53]
	s_mov_b32 s2, 0
	s_mov_b32 s9, exec_lo
	s_clause 0x2
	global_load_b32 v78, v[16:17], off offset:32
	global_load_b128 v[20:23], v[16:17], off offset:16
	global_load_b128 v[16:19], v[16:17], off
	v_cmpx_lt_i16_e32 0x7e, v82
	s_wait_alu 0xfffe
	s_xor_b32 s9, exec_lo, s9
	s_cbranch_execnz .LBB93_58
; %bb.24:                               ;   in Loop: Header=BB93_3 Depth=1
	s_wait_alu 0xfffe
	s_and_not1_saveexec_b32 s9, s9
	s_cbranch_execnz .LBB93_59
.LBB93_25:                              ;   in Loop: Header=BB93_3 Depth=1
	s_wait_alu 0xfffe
	s_or_b32 exec_lo, exec_lo, s9
	v_mov_b32_e32 v79, 0
	s_and_saveexec_b32 s9, s2
.LBB93_26:                              ;   in Loop: Header=BB93_3 Depth=1
	v_mov_b32_e32 v79, v84
.LBB93_27:                              ;   in Loop: Header=BB93_3 Depth=1
	s_wait_alu 0xfffe
	s_or_b32 exec_lo, exec_lo, s9
	s_mov_b32 s2, 0
	s_mov_b32 s9, exec_lo
	v_cmpx_lt_i16_e32 0x7e, v83
	s_wait_alu 0xfffe
	s_xor_b32 s9, exec_lo, s9
	s_cbranch_execnz .LBB93_60
; %bb.28:                               ;   in Loop: Header=BB93_3 Depth=1
	s_wait_alu 0xfffe
	s_and_not1_saveexec_b32 s9, s9
	s_cbranch_execnz .LBB93_61
.LBB93_29:                              ;   in Loop: Header=BB93_3 Depth=1
	s_wait_alu 0xfffe
	s_or_b32 exec_lo, exec_lo, s9
	v_mov_b32_e32 v80, 0
	s_and_saveexec_b32 s9, s2
.LBB93_30:                              ;   in Loop: Header=BB93_3 Depth=1
	v_mov_b32_e32 v80, v86
.LBB93_31:                              ;   in Loop: Header=BB93_3 Depth=1
	s_wait_alu 0xfffe
	s_or_b32 exec_lo, exec_lo, s9
	v_mad_co_u64_u32 v[32:33], null, v56, 36, v[52:53]
	s_mov_b32 s2, 0
	s_mov_b32 s9, exec_lo
	s_clause 0x2
	global_load_b32 v81, v[32:33], off offset:32
	global_load_b128 v[28:31], v[32:33], off offset:16
	global_load_b128 v[32:35], v[32:33], off
	v_cmpx_lt_i16_e32 0x7e, v82
	s_wait_alu 0xfffe
	s_xor_b32 s9, exec_lo, s9
	s_cbranch_execnz .LBB93_62
; %bb.32:                               ;   in Loop: Header=BB93_3 Depth=1
	s_wait_alu 0xfffe
	s_and_not1_saveexec_b32 s9, s9
	s_cbranch_execnz .LBB93_63
.LBB93_33:                              ;   in Loop: Header=BB93_3 Depth=1
	s_wait_alu 0xfffe
	s_or_b32 exec_lo, exec_lo, s9
	v_mov_b32_e32 v85, 0
	s_and_saveexec_b32 s9, s2
.LBB93_34:                              ;   in Loop: Header=BB93_3 Depth=1
	v_mov_b32_e32 v85, v84
.LBB93_35:                              ;   in Loop: Header=BB93_3 Depth=1
	s_wait_alu 0xfffe
	s_or_b32 exec_lo, exec_lo, s9
	s_mov_b32 s2, 0
	s_mov_b32 s9, exec_lo
	v_cmpx_lt_i16_e32 0x7e, v83
	s_wait_alu 0xfffe
	s_xor_b32 s9, exec_lo, s9
	s_cbranch_execnz .LBB93_64
; %bb.36:                               ;   in Loop: Header=BB93_3 Depth=1
	s_wait_alu 0xfffe
	s_and_not1_saveexec_b32 s9, s9
	s_cbranch_execnz .LBB93_65
.LBB93_37:                              ;   in Loop: Header=BB93_3 Depth=1
	s_wait_alu 0xfffe
	s_or_b32 exec_lo, exec_lo, s9
	v_mov_b32_e32 v87, 0
	s_and_saveexec_b32 s9, s2
.LBB93_38:                              ;   in Loop: Header=BB93_3 Depth=1
	v_mov_b32_e32 v87, v86
.LBB93_39:                              ;   in Loop: Header=BB93_3 Depth=1
	s_wait_alu 0xfffe
	s_or_b32 exec_lo, exec_lo, s9
	v_mad_co_u64_u32 v[36:37], null, v69, 36, v[52:53]
	s_mov_b32 s2, 0
	s_mov_b32 s9, exec_lo
	s_clause 0x2
	global_load_b32 v88, v[36:37], off offset:32
	global_load_b128 v[40:43], v[36:37], off offset:16
	global_load_b128 v[36:39], v[36:37], off
	v_cmpx_lt_i16_e32 0x7e, v82
	s_wait_alu 0xfffe
	s_xor_b32 s9, exec_lo, s9
	s_cbranch_execnz .LBB93_66
; %bb.40:                               ;   in Loop: Header=BB93_3 Depth=1
	s_wait_alu 0xfffe
	s_and_not1_saveexec_b32 s9, s9
	s_cbranch_execnz .LBB93_67
.LBB93_41:                              ;   in Loop: Header=BB93_3 Depth=1
	s_wait_alu 0xfffe
	s_or_b32 exec_lo, exec_lo, s9
	v_mov_b32_e32 v89, 0
	s_and_saveexec_b32 s9, s2
.LBB93_42:                              ;   in Loop: Header=BB93_3 Depth=1
	v_mov_b32_e32 v89, v84
.LBB93_43:                              ;   in Loop: Header=BB93_3 Depth=1
	s_wait_alu 0xfffe
	s_or_b32 exec_lo, exec_lo, s9
	s_mov_b32 s2, 0
	s_mov_b32 s9, exec_lo
	v_cmpx_lt_i16_e32 0x7e, v83
	s_wait_alu 0xfffe
	s_xor_b32 s9, exec_lo, s9
	s_cbranch_execnz .LBB93_68
; %bb.44:                               ;   in Loop: Header=BB93_3 Depth=1
	s_wait_alu 0xfffe
	s_and_not1_saveexec_b32 s9, s9
	s_cbranch_execnz .LBB93_69
.LBB93_45:                              ;   in Loop: Header=BB93_3 Depth=1
	s_wait_alu 0xfffe
	s_or_b32 exec_lo, exec_lo, s9
	v_mov_b32_e32 v91, 0
	s_and_saveexec_b32 s9, s2
.LBB93_46:                              ;   in Loop: Header=BB93_3 Depth=1
	v_mov_b32_e32 v91, v86
.LBB93_47:                              ;   in Loop: Header=BB93_3 Depth=1
	s_wait_alu 0xfffe
	s_or_b32 exec_lo, exec_lo, s9
	v_mad_co_u64_u32 v[44:45], null, v57, 36, v[52:53]
	s_mov_b32 s2, 0
	s_mov_b32 s9, exec_lo
	s_clause 0x2
	global_load_b32 v90, v[44:45], off offset:32
	global_load_b128 v[48:51], v[44:45], off offset:16
	global_load_b128 v[44:47], v[44:45], off
	v_cmpx_lt_i16_e32 0x7e, v82
	s_wait_alu 0xfffe
	s_xor_b32 s9, exec_lo, s9
	s_cbranch_execnz .LBB93_70
; %bb.48:                               ;   in Loop: Header=BB93_3 Depth=1
	s_wait_alu 0xfffe
	s_and_not1_saveexec_b32 s9, s9
	s_cbranch_execnz .LBB93_71
.LBB93_49:                              ;   in Loop: Header=BB93_3 Depth=1
	s_wait_alu 0xfffe
	s_or_b32 exec_lo, exec_lo, s9
	v_mov_b32_e32 v82, 0
	s_and_saveexec_b32 s9, s2
.LBB93_50:                              ;   in Loop: Header=BB93_3 Depth=1
	v_mov_b32_e32 v82, v84
.LBB93_51:                              ;   in Loop: Header=BB93_3 Depth=1
	s_wait_alu 0xfffe
	s_or_b32 exec_lo, exec_lo, s9
	s_mov_b32 s2, 0
	s_mov_b32 s9, exec_lo
	v_cmpx_lt_i16_e32 0x7e, v83
	s_wait_alu 0xfffe
	s_xor_b32 s9, exec_lo, s9
	s_cbranch_execnz .LBB93_72
; %bb.52:                               ;   in Loop: Header=BB93_3 Depth=1
	s_wait_alu 0xfffe
	s_and_not1_saveexec_b32 s9, s9
	s_cbranch_execnz .LBB93_73
.LBB93_53:                              ;   in Loop: Header=BB93_3 Depth=1
	s_wait_alu 0xfffe
	s_or_b32 exec_lo, exec_lo, s9
	v_mov_b32_e32 v83, 0
	s_and_saveexec_b32 s9, s2
	s_cbranch_execz .LBB93_2
	s_branch .LBB93_74
.LBB93_54:                              ;   in Loop: Header=BB93_3 Depth=1
	v_cmp_ne_u16_e32 vcc_lo, 0x7f, v82
	s_and_b32 s2, vcc_lo, exec_lo
	s_wait_alu 0xfffe
	s_and_not1_saveexec_b32 s9, s9
	s_cbranch_execz .LBB93_17
.LBB93_55:                              ;   in Loop: Header=BB93_3 Depth=1
	v_cmp_ne_u16_e32 vcc_lo, 0, v82
	s_and_not1_b32 s2, s2, exec_lo
	s_and_b32 s11, vcc_lo, exec_lo
	s_wait_alu 0xfffe
	s_or_b32 s2, s2, s11
	s_or_b32 exec_lo, exec_lo, s9
	v_mov_b32_e32 v76, 0
	s_wait_alu 0xfffe
	s_and_saveexec_b32 s9, s2
	s_cbranch_execnz .LBB93_18
	s_branch .LBB93_19
.LBB93_56:                              ;   in Loop: Header=BB93_3 Depth=1
	v_cmp_ne_u16_e32 vcc_lo, 0x7f, v83
	s_and_b32 s2, vcc_lo, exec_lo
	s_wait_alu 0xfffe
	s_and_not1_saveexec_b32 s9, s9
	s_cbranch_execz .LBB93_21
.LBB93_57:                              ;   in Loop: Header=BB93_3 Depth=1
	v_cmp_ne_u16_e32 vcc_lo, 0, v83
	s_and_not1_b32 s2, s2, exec_lo
	s_and_b32 s11, vcc_lo, exec_lo
	s_wait_alu 0xfffe
	s_or_b32 s2, s2, s11
	s_or_b32 exec_lo, exec_lo, s9
	v_mov_b32_e32 v77, 0
	s_wait_alu 0xfffe
	s_and_saveexec_b32 s9, s2
	s_cbranch_execnz .LBB93_22
	s_branch .LBB93_23
.LBB93_58:                              ;   in Loop: Header=BB93_3 Depth=1
	v_cmp_ne_u16_e32 vcc_lo, 0x7f, v82
	s_and_b32 s2, vcc_lo, exec_lo
	s_wait_alu 0xfffe
	s_and_not1_saveexec_b32 s9, s9
	s_cbranch_execz .LBB93_25
.LBB93_59:                              ;   in Loop: Header=BB93_3 Depth=1
	v_cmp_ne_u16_e32 vcc_lo, 0, v82
	s_and_not1_b32 s2, s2, exec_lo
	s_and_b32 s11, vcc_lo, exec_lo
	s_wait_alu 0xfffe
	s_or_b32 s2, s2, s11
	s_or_b32 exec_lo, exec_lo, s9
	v_mov_b32_e32 v79, 0
	s_wait_alu 0xfffe
	s_and_saveexec_b32 s9, s2
	s_cbranch_execnz .LBB93_26
	s_branch .LBB93_27
.LBB93_60:                              ;   in Loop: Header=BB93_3 Depth=1
	v_cmp_ne_u16_e32 vcc_lo, 0x7f, v83
	s_and_b32 s2, vcc_lo, exec_lo
	s_wait_alu 0xfffe
	s_and_not1_saveexec_b32 s9, s9
	s_cbranch_execz .LBB93_29
.LBB93_61:                              ;   in Loop: Header=BB93_3 Depth=1
	v_cmp_ne_u16_e32 vcc_lo, 0, v83
	s_and_not1_b32 s2, s2, exec_lo
	s_and_b32 s11, vcc_lo, exec_lo
	s_wait_alu 0xfffe
	s_or_b32 s2, s2, s11
	s_or_b32 exec_lo, exec_lo, s9
	v_mov_b32_e32 v80, 0
	s_wait_alu 0xfffe
	s_and_saveexec_b32 s9, s2
	s_cbranch_execnz .LBB93_30
	s_branch .LBB93_31
.LBB93_62:                              ;   in Loop: Header=BB93_3 Depth=1
	v_cmp_ne_u16_e32 vcc_lo, 0x7f, v82
	s_and_b32 s2, vcc_lo, exec_lo
	s_wait_alu 0xfffe
	s_and_not1_saveexec_b32 s9, s9
	s_cbranch_execz .LBB93_33
.LBB93_63:                              ;   in Loop: Header=BB93_3 Depth=1
	v_cmp_ne_u16_e32 vcc_lo, 0, v82
	s_and_not1_b32 s2, s2, exec_lo
	s_and_b32 s11, vcc_lo, exec_lo
	s_wait_alu 0xfffe
	s_or_b32 s2, s2, s11
	s_or_b32 exec_lo, exec_lo, s9
	v_mov_b32_e32 v85, 0
	s_wait_alu 0xfffe
	s_and_saveexec_b32 s9, s2
	s_cbranch_execnz .LBB93_34
	s_branch .LBB93_35
.LBB93_64:                              ;   in Loop: Header=BB93_3 Depth=1
	v_cmp_ne_u16_e32 vcc_lo, 0x7f, v83
	s_and_b32 s2, vcc_lo, exec_lo
	s_wait_alu 0xfffe
	s_and_not1_saveexec_b32 s9, s9
	s_cbranch_execz .LBB93_37
.LBB93_65:                              ;   in Loop: Header=BB93_3 Depth=1
	v_cmp_ne_u16_e32 vcc_lo, 0, v83
	s_and_not1_b32 s2, s2, exec_lo
	s_and_b32 s11, vcc_lo, exec_lo
	s_wait_alu 0xfffe
	s_or_b32 s2, s2, s11
	s_or_b32 exec_lo, exec_lo, s9
	v_mov_b32_e32 v87, 0
	s_wait_alu 0xfffe
	s_and_saveexec_b32 s9, s2
	s_cbranch_execnz .LBB93_38
	s_branch .LBB93_39
.LBB93_66:                              ;   in Loop: Header=BB93_3 Depth=1
	v_cmp_ne_u16_e32 vcc_lo, 0x7f, v82
	s_and_b32 s2, vcc_lo, exec_lo
	s_wait_alu 0xfffe
	s_and_not1_saveexec_b32 s9, s9
	s_cbranch_execz .LBB93_41
.LBB93_67:                              ;   in Loop: Header=BB93_3 Depth=1
	v_cmp_ne_u16_e32 vcc_lo, 0, v82
	s_and_not1_b32 s2, s2, exec_lo
	s_and_b32 s11, vcc_lo, exec_lo
	s_wait_alu 0xfffe
	s_or_b32 s2, s2, s11
	s_or_b32 exec_lo, exec_lo, s9
	v_mov_b32_e32 v89, 0
	s_wait_alu 0xfffe
	s_and_saveexec_b32 s9, s2
	s_cbranch_execnz .LBB93_42
	s_branch .LBB93_43
.LBB93_68:                              ;   in Loop: Header=BB93_3 Depth=1
	v_cmp_ne_u16_e32 vcc_lo, 0x7f, v83
	s_and_b32 s2, vcc_lo, exec_lo
	s_wait_alu 0xfffe
	s_and_not1_saveexec_b32 s9, s9
	s_cbranch_execz .LBB93_45
.LBB93_69:                              ;   in Loop: Header=BB93_3 Depth=1
	v_cmp_ne_u16_e32 vcc_lo, 0, v83
	s_and_not1_b32 s2, s2, exec_lo
	s_and_b32 s11, vcc_lo, exec_lo
	s_wait_alu 0xfffe
	s_or_b32 s2, s2, s11
	s_or_b32 exec_lo, exec_lo, s9
	v_mov_b32_e32 v91, 0
	s_wait_alu 0xfffe
	s_and_saveexec_b32 s9, s2
	s_cbranch_execnz .LBB93_46
	s_branch .LBB93_47
.LBB93_70:                              ;   in Loop: Header=BB93_3 Depth=1
	v_cmp_ne_u16_e32 vcc_lo, 0x7f, v82
                                        ; implicit-def: $vgpr82
	s_and_b32 s2, vcc_lo, exec_lo
	s_wait_alu 0xfffe
	s_and_not1_saveexec_b32 s9, s9
	s_cbranch_execz .LBB93_49
.LBB93_71:                              ;   in Loop: Header=BB93_3 Depth=1
	v_cmp_ne_u16_e32 vcc_lo, 0, v82
	s_and_not1_b32 s2, s2, exec_lo
	s_and_b32 s11, vcc_lo, exec_lo
	s_wait_alu 0xfffe
	s_or_b32 s2, s2, s11
	s_or_b32 exec_lo, exec_lo, s9
	v_mov_b32_e32 v82, 0
	s_wait_alu 0xfffe
	s_and_saveexec_b32 s9, s2
	s_cbranch_execnz .LBB93_50
	s_branch .LBB93_51
.LBB93_72:                              ;   in Loop: Header=BB93_3 Depth=1
	v_cmp_ne_u16_e32 vcc_lo, 0x7f, v83
                                        ; implicit-def: $vgpr83
	s_and_b32 s2, vcc_lo, exec_lo
	s_wait_alu 0xfffe
	s_and_not1_saveexec_b32 s9, s9
	s_cbranch_execz .LBB93_53
.LBB93_73:                              ;   in Loop: Header=BB93_3 Depth=1
	v_cmp_ne_u16_e32 vcc_lo, 0, v83
	s_and_not1_b32 s2, s2, exec_lo
	s_and_b32 s11, vcc_lo, exec_lo
	s_wait_alu 0xfffe
	s_or_b32 s2, s2, s11
	s_or_b32 exec_lo, exec_lo, s9
	v_mov_b32_e32 v83, 0
	s_wait_alu 0xfffe
	s_and_saveexec_b32 s9, s2
	s_cbranch_execz .LBB93_2
.LBB93_74:                              ;   in Loop: Header=BB93_3 Depth=1
	v_mov_b32_e32 v83, v86
	s_branch .LBB93_2
.LBB93_75:
	s_or_b32 exec_lo, exec_lo, s3
.LBB93_76:
	s_delay_alu instid0(SALU_CYCLE_1)
	s_or_b32 exec_lo, exec_lo, s21
	s_mov_b32 s3, 0
	; wave barrier
	global_inv scope:SCOPE_SE
	s_mov_b32 s2, exec_lo
	v_cmpx_eq_u32_e32 0, v63
	s_cbranch_execz .LBB93_89
; %bb.77:
	v_mbcnt_lo_u32_b32 v4, -1, 0
	s_load_b64 s[0:1], s[0:1], 0x38
	s_mul_i32 s2, s10, s19
	s_mul_i32 s4, s18, s20
	s_wait_alu 0xfffe
	s_add_co_i32 s2, s2, ttmp9
	v_xor_b32_e32 v0, 16, v4
	v_xor_b32_e32 v1, 8, v4
	;; [unrolled: 1-line block ×3, first 2 shown]
	s_wait_alu 0xfffe
	s_add_co_i32 s2, s2, s4
	s_wait_alu 0xfffe
	s_lshl_b64 s[2:3], s[2:3], 2
	v_cmp_gt_i32_e32 vcc_lo, 32, v0
	s_wait_alu 0xfffd
	v_cndmask_b32_e32 v0, v4, v0, vcc_lo
	v_cmp_gt_i32_e32 vcc_lo, 32, v1
	s_wait_kmcnt 0x0
	s_wait_alu 0xfffe
	s_add_nc_u64 s[0:1], s[0:1], s[2:3]
	s_wait_alu 0xfffd
	v_cndmask_b32_e32 v1, v4, v1, vcc_lo
	s_delay_alu instid0(VALU_DEP_1)
	v_lshlrev_b32_e32 v1, 2, v1
	v_lshlrev_b32_e32 v0, 2, v0
	ds_bpermute_b32 v2, v0, v66
	s_wait_dscnt 0x0
	v_add_f32_e32 v3, v66, v2
	v_xor_b32_e32 v2, 4, v4
	ds_bpermute_b32 v5, v1, v3
	v_cmp_gt_i32_e32 vcc_lo, 32, v2
	s_wait_dscnt 0x0
	s_wait_alu 0xfffd
	v_dual_cndmask_b32 v2, v4, v2 :: v_dual_add_f32 v5, v3, v5
	s_delay_alu instid0(VALU_DEP_1)
	v_lshlrev_b32_e32 v2, 2, v2
	v_xor_b32_e32 v3, 2, v4
	ds_bpermute_b32 v6, v2, v5
	v_cmp_gt_i32_e32 vcc_lo, 32, v3
	s_wait_alu 0xfffd
	v_cndmask_b32_e32 v3, v4, v3, vcc_lo
	v_cmp_gt_i32_e32 vcc_lo, 32, v7
	s_wait_alu 0xfffd
	v_cndmask_b32_e32 v4, v4, v7, vcc_lo
	v_cmp_eq_u32_e32 vcc_lo, 0, v60
	s_delay_alu instid0(VALU_DEP_2)
	v_lshlrev_b32_e32 v4, 2, v4
	v_lshlrev_b32_e32 v3, 2, v3
	s_wait_dscnt 0x0
	v_add_f32_e32 v5, v5, v6
	ds_bpermute_b32 v6, v3, v5
	s_wait_dscnt 0x0
	v_add_f32_e32 v5, v5, v6
	ds_bpermute_b32 v6, v4, v5
	s_and_saveexec_b32 s2, vcc_lo
	s_cbranch_execz .LBB93_79
; %bb.78:
	s_wait_dscnt 0x0
	v_dual_add_f32 v5, v5, v6 :: v_dual_mov_b32 v6, 0
	global_store_b32 v6, v5, s[0:1]
.LBB93_79:
	s_wait_alu 0xfffe
	s_or_b32 exec_lo, exec_lo, s2
	ds_bpermute_b32 v5, v0, v64
	s_wait_dscnt 0x0
	v_add_f32_e32 v5, v64, v5
	ds_bpermute_b32 v6, v1, v5
	s_wait_dscnt 0x0
	v_add_f32_e32 v5, v5, v6
	;; [unrolled: 3-line block ×4, first 2 shown]
	ds_bpermute_b32 v6, v4, v5
	s_and_saveexec_b32 s2, vcc_lo
	s_cbranch_execz .LBB93_81
; %bb.80:
	s_mov_b32 s7, 0
	s_wait_dscnt 0x0
	v_dual_add_f32 v5, v5, v6 :: v_dual_mov_b32 v6, 0
	s_wait_alu 0xfffe
	s_lshl_b64 s[4:5], s[6:7], 2
	s_wait_alu 0xfffe
	s_add_nc_u64 s[4:5], s[0:1], s[4:5]
	global_store_b32 v6, v5, s[4:5]
.LBB93_81:
	s_wait_alu 0xfffe
	s_or_b32 exec_lo, exec_lo, s2
	ds_bpermute_b32 v5, v0, v62
	s_wait_dscnt 0x0
	v_add_f32_e32 v5, v62, v5
	ds_bpermute_b32 v6, v1, v5
	s_wait_dscnt 0x0
	v_add_f32_e32 v5, v5, v6
	;; [unrolled: 3-line block ×4, first 2 shown]
	ds_bpermute_b32 v6, v4, v5
	s_and_saveexec_b32 s2, vcc_lo
	s_cbranch_execz .LBB93_83
; %bb.82:
	s_lshl_b32 s4, s6, 1
	s_mov_b32 s5, 0
	s_wait_dscnt 0x0
	v_dual_add_f32 v5, v5, v6 :: v_dual_mov_b32 v6, 0
	s_wait_alu 0xfffe
	s_lshl_b64 s[4:5], s[4:5], 2
	s_wait_alu 0xfffe
	s_add_nc_u64 s[4:5], s[0:1], s[4:5]
	global_store_b32 v6, v5, s[4:5]
.LBB93_83:
	s_wait_alu 0xfffe
	s_or_b32 exec_lo, exec_lo, s2
	ds_bpermute_b32 v5, v0, v61
	s_wait_dscnt 0x0
	v_add_f32_e32 v5, v61, v5
	ds_bpermute_b32 v6, v1, v5
	s_wait_dscnt 0x0
	v_add_f32_e32 v5, v5, v6
	;; [unrolled: 3-line block ×4, first 2 shown]
	ds_bpermute_b32 v6, v4, v5
	s_and_saveexec_b32 s2, vcc_lo
	s_cbranch_execz .LBB93_85
; %bb.84:
	s_mul_i32 s4, s6, 3
	s_mov_b32 s5, 0
	s_wait_dscnt 0x0
	v_dual_add_f32 v5, v5, v6 :: v_dual_mov_b32 v6, 0
	s_wait_alu 0xfffe
	s_lshl_b64 s[4:5], s[4:5], 2
	s_wait_alu 0xfffe
	s_add_nc_u64 s[4:5], s[0:1], s[4:5]
	global_store_b32 v6, v5, s[4:5]
.LBB93_85:
	s_wait_alu 0xfffe
	s_or_b32 exec_lo, exec_lo, s2
	ds_bpermute_b32 v5, v0, v58
	s_wait_dscnt 0x0
	v_add_f32_e32 v5, v58, v5
	ds_bpermute_b32 v6, v1, v5
	s_wait_dscnt 0x0
	v_add_f32_e32 v5, v5, v6
	;; [unrolled: 3-line block ×4, first 2 shown]
	ds_bpermute_b32 v6, v4, v5
	s_and_saveexec_b32 s2, vcc_lo
	s_cbranch_execz .LBB93_87
; %bb.86:
	s_lshl_b32 s4, s6, 2
	s_mov_b32 s5, 0
	s_wait_dscnt 0x0
	v_dual_add_f32 v5, v5, v6 :: v_dual_mov_b32 v6, 0
	s_wait_alu 0xfffe
	s_lshl_b64 s[4:5], s[4:5], 2
	s_wait_alu 0xfffe
	s_add_nc_u64 s[4:5], s[0:1], s[4:5]
	global_store_b32 v6, v5, s[4:5]
.LBB93_87:
	s_wait_alu 0xfffe
	s_or_b32 exec_lo, exec_lo, s2
	ds_bpermute_b32 v0, v0, v59
	s_wait_dscnt 0x0
	v_add_f32_e32 v0, v59, v0
	ds_bpermute_b32 v1, v1, v0
	s_wait_dscnt 0x0
	v_add_f32_e32 v0, v0, v1
	;; [unrolled: 3-line block ×4, first 2 shown]
	ds_bpermute_b32 v1, v4, v0
	s_and_b32 exec_lo, exec_lo, vcc_lo
	s_cbranch_execz .LBB93_89
; %bb.88:
	s_mul_i32 s2, s6, 5
	s_mov_b32 s3, 0
	s_wait_dscnt 0x0
	v_dual_add_f32 v0, v0, v1 :: v_dual_mov_b32 v1, 0
	s_wait_alu 0xfffe
	s_lshl_b64 s[2:3], s[2:3], 2
	s_wait_alu 0xfffe
	s_add_nc_u64 s[0:1], s[0:1], s[2:3]
	global_store_b32 v1, v0, s[0:1]
.LBB93_89:
	s_nop 0
	s_sendmsg sendmsg(MSG_DEALLOC_VGPRS)
	s_endpgm
	.section	.rodata,"a",@progbits
	.p2align	6, 0x0
	.amdhsa_kernel _ZL13mul_mat_vec_qIL9ggml_type40ELi6ELb0ELb0EEvPKvS2_PKi31ggml_cuda_mm_fusion_args_devicePfj15HIP_vector_typeIjLj3EEjjjS8_jjjS8_jjjj
		.amdhsa_group_segment_fixed_size 0
		.amdhsa_private_segment_fixed_size 0
		.amdhsa_kernarg_size 144
		.amdhsa_user_sgpr_count 2
		.amdhsa_user_sgpr_dispatch_ptr 0
		.amdhsa_user_sgpr_queue_ptr 0
		.amdhsa_user_sgpr_kernarg_segment_ptr 1
		.amdhsa_user_sgpr_dispatch_id 0
		.amdhsa_user_sgpr_private_segment_size 0
		.amdhsa_wavefront_size32 1
		.amdhsa_uses_dynamic_stack 0
		.amdhsa_enable_private_segment 0
		.amdhsa_system_sgpr_workgroup_id_x 1
		.amdhsa_system_sgpr_workgroup_id_y 1
		.amdhsa_system_sgpr_workgroup_id_z 1
		.amdhsa_system_sgpr_workgroup_info 0
		.amdhsa_system_vgpr_workitem_id 1
		.amdhsa_next_free_vgpr 105
		.amdhsa_next_free_sgpr 30
		.amdhsa_reserve_vcc 1
		.amdhsa_float_round_mode_32 0
		.amdhsa_float_round_mode_16_64 0
		.amdhsa_float_denorm_mode_32 3
		.amdhsa_float_denorm_mode_16_64 3
		.amdhsa_fp16_overflow 0
		.amdhsa_workgroup_processor_mode 1
		.amdhsa_memory_ordered 1
		.amdhsa_forward_progress 1
		.amdhsa_inst_pref_size 37
		.amdhsa_round_robin_scheduling 0
		.amdhsa_exception_fp_ieee_invalid_op 0
		.amdhsa_exception_fp_denorm_src 0
		.amdhsa_exception_fp_ieee_div_zero 0
		.amdhsa_exception_fp_ieee_overflow 0
		.amdhsa_exception_fp_ieee_underflow 0
		.amdhsa_exception_fp_ieee_inexact 0
		.amdhsa_exception_int_div_zero 0
	.end_amdhsa_kernel
	.section	.text._ZL13mul_mat_vec_qIL9ggml_type40ELi6ELb0ELb0EEvPKvS2_PKi31ggml_cuda_mm_fusion_args_devicePfj15HIP_vector_typeIjLj3EEjjjS8_jjjS8_jjjj,"axG",@progbits,_ZL13mul_mat_vec_qIL9ggml_type40ELi6ELb0ELb0EEvPKvS2_PKi31ggml_cuda_mm_fusion_args_devicePfj15HIP_vector_typeIjLj3EEjjjS8_jjjS8_jjjj,comdat
.Lfunc_end93:
	.size	_ZL13mul_mat_vec_qIL9ggml_type40ELi6ELb0ELb0EEvPKvS2_PKi31ggml_cuda_mm_fusion_args_devicePfj15HIP_vector_typeIjLj3EEjjjS8_jjjS8_jjjj, .Lfunc_end93-_ZL13mul_mat_vec_qIL9ggml_type40ELi6ELb0ELb0EEvPKvS2_PKi31ggml_cuda_mm_fusion_args_devicePfj15HIP_vector_typeIjLj3EEjjjS8_jjjS8_jjjj
                                        ; -- End function
	.set _ZL13mul_mat_vec_qIL9ggml_type40ELi6ELb0ELb0EEvPKvS2_PKi31ggml_cuda_mm_fusion_args_devicePfj15HIP_vector_typeIjLj3EEjjjS8_jjjS8_jjjj.num_vgpr, 105
	.set _ZL13mul_mat_vec_qIL9ggml_type40ELi6ELb0ELb0EEvPKvS2_PKi31ggml_cuda_mm_fusion_args_devicePfj15HIP_vector_typeIjLj3EEjjjS8_jjjS8_jjjj.num_agpr, 0
	.set _ZL13mul_mat_vec_qIL9ggml_type40ELi6ELb0ELb0EEvPKvS2_PKi31ggml_cuda_mm_fusion_args_devicePfj15HIP_vector_typeIjLj3EEjjjS8_jjjS8_jjjj.numbered_sgpr, 30
	.set _ZL13mul_mat_vec_qIL9ggml_type40ELi6ELb0ELb0EEvPKvS2_PKi31ggml_cuda_mm_fusion_args_devicePfj15HIP_vector_typeIjLj3EEjjjS8_jjjS8_jjjj.num_named_barrier, 0
	.set _ZL13mul_mat_vec_qIL9ggml_type40ELi6ELb0ELb0EEvPKvS2_PKi31ggml_cuda_mm_fusion_args_devicePfj15HIP_vector_typeIjLj3EEjjjS8_jjjS8_jjjj.private_seg_size, 0
	.set _ZL13mul_mat_vec_qIL9ggml_type40ELi6ELb0ELb0EEvPKvS2_PKi31ggml_cuda_mm_fusion_args_devicePfj15HIP_vector_typeIjLj3EEjjjS8_jjjS8_jjjj.uses_vcc, 1
	.set _ZL13mul_mat_vec_qIL9ggml_type40ELi6ELb0ELb0EEvPKvS2_PKi31ggml_cuda_mm_fusion_args_devicePfj15HIP_vector_typeIjLj3EEjjjS8_jjjS8_jjjj.uses_flat_scratch, 0
	.set _ZL13mul_mat_vec_qIL9ggml_type40ELi6ELb0ELb0EEvPKvS2_PKi31ggml_cuda_mm_fusion_args_devicePfj15HIP_vector_typeIjLj3EEjjjS8_jjjS8_jjjj.has_dyn_sized_stack, 0
	.set _ZL13mul_mat_vec_qIL9ggml_type40ELi6ELb0ELb0EEvPKvS2_PKi31ggml_cuda_mm_fusion_args_devicePfj15HIP_vector_typeIjLj3EEjjjS8_jjjS8_jjjj.has_recursion, 0
	.set _ZL13mul_mat_vec_qIL9ggml_type40ELi6ELb0ELb0EEvPKvS2_PKi31ggml_cuda_mm_fusion_args_devicePfj15HIP_vector_typeIjLj3EEjjjS8_jjjS8_jjjj.has_indirect_call, 0
	.section	.AMDGPU.csdata,"",@progbits
; Kernel info:
; codeLenInByte = 4720
; TotalNumSgprs: 32
; NumVgprs: 105
; ScratchSize: 0
; MemoryBound: 0
; FloatMode: 240
; IeeeMode: 1
; LDSByteSize: 0 bytes/workgroup (compile time only)
; SGPRBlocks: 0
; VGPRBlocks: 13
; NumSGPRsForWavesPerEU: 32
; NumVGPRsForWavesPerEU: 105
; Occupancy: 12
; WaveLimiterHint : 0
; COMPUTE_PGM_RSRC2:SCRATCH_EN: 0
; COMPUTE_PGM_RSRC2:USER_SGPR: 2
; COMPUTE_PGM_RSRC2:TRAP_HANDLER: 0
; COMPUTE_PGM_RSRC2:TGID_X_EN: 1
; COMPUTE_PGM_RSRC2:TGID_Y_EN: 1
; COMPUTE_PGM_RSRC2:TGID_Z_EN: 1
; COMPUTE_PGM_RSRC2:TIDIG_COMP_CNT: 1
	.section	.text._ZL13mul_mat_vec_qIL9ggml_type40ELi7ELb0ELb0EEvPKvS2_PKi31ggml_cuda_mm_fusion_args_devicePfj15HIP_vector_typeIjLj3EEjjjS8_jjjS8_jjjj,"axG",@progbits,_ZL13mul_mat_vec_qIL9ggml_type40ELi7ELb0ELb0EEvPKvS2_PKi31ggml_cuda_mm_fusion_args_devicePfj15HIP_vector_typeIjLj3EEjjjS8_jjjS8_jjjj,comdat
	.globl	_ZL13mul_mat_vec_qIL9ggml_type40ELi7ELb0ELb0EEvPKvS2_PKi31ggml_cuda_mm_fusion_args_devicePfj15HIP_vector_typeIjLj3EEjjjS8_jjjS8_jjjj ; -- Begin function _ZL13mul_mat_vec_qIL9ggml_type40ELi7ELb0ELb0EEvPKvS2_PKi31ggml_cuda_mm_fusion_args_devicePfj15HIP_vector_typeIjLj3EEjjjS8_jjjS8_jjjj
	.p2align	8
	.type	_ZL13mul_mat_vec_qIL9ggml_type40ELi7ELb0ELb0EEvPKvS2_PKi31ggml_cuda_mm_fusion_args_devicePfj15HIP_vector_typeIjLj3EEjjjS8_jjjS8_jjjj,@function
_ZL13mul_mat_vec_qIL9ggml_type40ELi7ELb0ELb0EEvPKvS2_PKi31ggml_cuda_mm_fusion_args_devicePfj15HIP_vector_typeIjLj3EEjjjS8_jjjS8_jjjj: ; @_ZL13mul_mat_vec_qIL9ggml_type40ELi7ELb0ELb0EEvPKvS2_PKi31ggml_cuda_mm_fusion_args_devicePfj15HIP_vector_typeIjLj3EEjjjS8_jjjS8_jjjj
; %bb.0:
	v_bfe_u32 v73, v0, 10, 10
	s_clause 0x5
	s_load_b32 s2, s[0:1], 0x40
	s_load_b96 s[16:18], s[0:1], 0x80
	s_load_b128 s[4:7], s[0:1], 0x50
	s_load_b32 s23, s[0:1], 0x60
	s_load_b128 s[8:11], s[0:1], 0x68
	s_load_b32 s24, s[0:1], 0x78
	v_dual_mov_b32 v68, 0 :: v_dual_and_b32 v69, 0x3ff, v0
	v_dual_mov_b32 v67, 0 :: v_dual_lshlrev_b32 v0, 5, v73
	v_dual_mov_b32 v71, 0 :: v_dual_mov_b32 v72, 0
	v_mov_b32_e32 v74, 0
	s_delay_alu instid0(VALU_DEP_3)
	v_add_nc_u16 v0, v0, v69
	v_mov_b32_e32 v76, 0
	s_and_b32 s19, ttmp7, 0xffff
	s_lshr_b32 s20, ttmp7, 16
	s_mov_b32 s21, exec_lo
	v_lshrrev_b16 v0, 1, v0
	s_delay_alu instid0(VALU_DEP_1)
	v_dual_mov_b32 v70, 0 :: v_dual_and_b32 v75, 0xffff, v0
	s_wait_kmcnt 0x0
	s_lshr_b32 s22, s2, 6
	s_delay_alu instid0(VALU_DEP_1) | instid1(SALU_CYCLE_1)
	v_cmpx_gt_u32_e64 s22, v75
	s_cbranch_execz .LBB94_88
; %bb.1:
	s_load_b128 s[12:15], s[0:1], 0x0
	s_mov_b32 s3, 0
	s_mul_i32 s26, s9, s19
	s_mov_b32 s27, s3
	s_mul_i32 s2, s17, s20
	s_mul_u64 s[26:27], s[26:27], 36
	s_mul_hi_u32 s7, s7, s19
	v_mad_co_u64_u32 v[0:1], null, 0x48, v75, s[26:27]
	v_lshlrev_b32_e32 v2, 2, v69
	s_mul_hi_u32 s9, s11, s20
	s_add_co_i32 s7, s19, s7
	s_mul_u64 s[28:29], s[2:3], 36
	s_add_co_i32 s9, s20, s9
	s_lshr_b32 s7, s7, s23
	s_delay_alu instid0(VALU_DEP_2)
	v_mad_co_u64_u32 v[0:1], null, s2, 36, v[0:1]
	v_dual_mov_b32 v68, 0 :: v_dual_and_b32 v3, 4, v2
	v_dual_mov_b32 v71, 0 :: v_dual_and_b32 v2, 1, v69
	s_lshr_b32 s11, s9, s24
	s_mul_i32 s7, s7, s8
	s_wait_kmcnt 0x0
	s_add_nc_u64 s[8:9], s[14:15], s[28:29]
	s_delay_alu instid0(VALU_DEP_3)
	v_mad_co_u64_u32 v[0:1], null, v2, 36, v[0:1]
	s_add_nc_u64 s[8:9], s[8:9], s[26:27]
	s_mul_i32 s4, s4, ttmp9
	v_mad_co_u64_u32 v[60:61], null, v2, 36, s[8:9]
	v_lshlrev_b32_e32 v2, 1, v75
	v_lshrrev_b32_e32 v77, 1, v3
	v_add_co_u32 v62, vcc_lo, s14, v0
	v_add_lshl_u32 v78, s5, v75, 1
	s_delay_alu instid0(VALU_DEP_4)
	v_mad_co_u64_u32 v[64:65], null, s5, 3, v[2:3]
	v_mad_co_u64_u32 v[65:66], null, s5, 5, v[2:3]
	;; [unrolled: 1-line block ×3, first 2 shown]
	v_add_co_ci_u32_e64 v63, null, s15, v1, vcc_lo
	v_lshl_add_u32 v79, s5, 2, v2
	v_add_nc_u32_e32 v80, s5, v2
	v_dual_mov_b32 v70, 0 :: v_dual_lshlrev_b32 v81, 2, v3
	v_dual_mov_b32 v67, 0 :: v_dual_mov_b32 v72, 0
	v_mov_b32_e32 v74, 0
	v_mov_b32_e32 v76, 0
	s_mul_i32 s2, s11, s16
	s_add_co_i32 s7, s7, s4
	s_mov_b32 s5, 0xf4f8fafc
	s_wait_alu 0xfffe
	s_add_co_i32 s4, s2, s7
	s_mov_b32 s7, 0xc080604
	s_mov_b32 s8, 0x4040404
	s_branch .LBB94_3
.LBB94_2:                               ;   in Loop: Header=BB94_3 Depth=1
	s_wait_alu 0xfffe
	s_or_b32 exec_lo, exec_lo, s9
	s_wait_loadcnt 0x15
	v_ashrrev_i32_e32 v94, 4, v18
	s_wait_loadcnt 0x6
	v_cvt_f32_f16_e32 v36, v36
	v_and_b32_e32 v111, 0x7070707, v18
	v_lshrrev_b32_e32 v18, 1, v18
	v_ashrrev_i32_e32 v93, 4, v19
	v_and_b32_e32 v107, 0x7070707, v94
	v_lshrrev_b32_e32 v94, 1, v94
	v_perm_b32 v113, s5, 0xfdfeff00, v111
	v_perm_b32 v111, s7, 0x3020100, v111
	v_and_or_b32 v18, v18, s8, 0x3020100
	v_and_b32_e32 v105, 0x7070707, v19
	v_lshrrev_b32_e32 v19, 1, v19
	v_perm_b32 v110, s5, 0xfdfeff00, v107
	v_perm_b32 v107, s7, 0x3020100, v107
	v_and_or_b32 v94, v94, s8, 0x3020100
	v_perm_b32 v18, v113, v111, v18
	v_perm_b32 v108, s5, 0xfdfeff00, v105
	;; [unrolled: 1-line block ×3, first 2 shown]
	v_and_or_b32 v19, v19, s8, 0x3020100
	v_perm_b32 v94, v110, v107, v94
	v_ashrrev_i32_e32 v110, 4, v16
	v_and_b32_e32 v113, 0x7070707, v16
	v_lshrrev_b32_e32 v16, 1, v16
	v_dot4_i32_iu8 v25, v18, v25, 0 neg_lo:[1,1,0]
	v_perm_b32 v19, v108, v105, v19
	v_dot4_i32_iu8 v41, v18, v41, 0 neg_lo:[1,1,0]
	v_perm_b32 v116, s5, 0xfdfeff00, v113
	v_perm_b32 v113, s7, 0x3020100, v113
	v_and_or_b32 v16, v16, s8, 0x3020100
	v_dot4_i32_iu8 v25, v94, v27, v25 neg_lo:[1,1,0]
	v_cvt_f32_f16_e32 v20, v20
	v_and_b32_e32 v115, 0x7070707, v110
	v_lshrrev_b32_e32 v110, 1, v110
	v_ashrrev_i32_e32 v112, 4, v17
	v_and_b32_e32 v111, 0x7070707, v17
	v_lshrrev_b32_e32 v17, 1, v17
	v_perm_b32 v16, v116, v113, v16
	v_and_or_b32 v110, v110, s8, 0x3020100
	s_wait_loadcnt 0x4
	v_dot4_i32_iu8 v45, v18, v45, 0 neg_lo:[1,1,0]
	v_dot4_i32_iu8 v41, v94, v43, v41 neg_lo:[1,1,0]
	;; [unrolled: 1-line block ×3, first 2 shown]
	v_mul_f32_e32 v26, v89, v20
	v_perm_b32 v117, s5, 0xfdfeff00, v115
	v_perm_b32 v115, s7, 0x3020100, v115
	v_and_or_b32 v17, v17, s8, 0x3020100
	s_wait_loadcnt 0x3
	v_dot4_i32_iu8 v49, v16, v49, 0 neg_lo:[1,1,0]
	v_dot4_i32_iu8 v45, v94, v47, v45 neg_lo:[1,1,0]
	;; [unrolled: 1-line block ×3, first 2 shown]
	v_perm_b32 v110, v117, v115, v110
	v_mul_f32_e32 v42, v99, v36
	v_mul_f32_e32 v36, v100, v36
	v_and_b32_e32 v114, 0x7070707, v112
	v_lshrrev_b32_e32 v112, 1, v112
	v_perm_b32 v113, s5, 0xfdfeff00, v111
	v_perm_b32 v111, s7, 0x3020100, v111
	v_dot4_i32_iu8 v49, v110, v51, v49 neg_lo:[1,1,0]
	v_perm_b32 v107, s5, 0xfdfeff00, v114
	v_perm_b32 v114, s7, 0x3020100, v114
	v_and_or_b32 v112, v112, s8, 0x3020100
	v_perm_b32 v17, v113, v111, v17
	v_dot4_i32_iu8 v45, v19, v46, v45 neg_lo:[1,1,0]
	v_cvt_f32_f16_e32 v46, v48
	v_and_b32_e32 v106, 0x7070707, v93
	v_lshrrev_b32_e32 v93, 1, v93
	v_dot4_i32_iu8 v47, v17, v50, v49 neg_lo:[1,1,0]
	v_dot4_i32_iu8 v21, v16, v21, 0 neg_lo:[1,1,0]
	s_wait_loadcnt 0x1
	v_dot4_i32_iu8 v48, v18, v53, 0 neg_lo:[1,1,0]
	v_dot4_i32_iu8 v37, v16, v37, 0 neg_lo:[1,1,0]
	v_and_or_b32 v51, v93, s8, 0x3020100
	v_perm_b32 v93, v107, v114, v112
	v_dot4_i32_iu8 v21, v110, v23, v21 neg_lo:[1,1,0]
	v_dot4_i32_iu8 v29, v18, v29, 0 neg_lo:[1,1,0]
	;; [unrolled: 1-line block ×5, first 2 shown]
	v_mul_f32_e32 v47, v102, v46
	v_perm_b32 v109, s5, 0xfdfeff00, v106
	v_perm_b32 v106, s7, 0x3020100, v106
	v_mul_f32_e32 v46, v103, v46
	v_cvt_f32_i32_e32 v44, v44
	v_dot4_i32_iu8 v21, v17, v22, v21 neg_lo:[1,1,0]
	v_dot4_i32_iu8 v29, v94, v31, v29 neg_lo:[1,1,0]
	v_perm_b32 v49, v109, v106, v51
	v_dot4_i32_iu8 v13, v18, v13, 0 neg_lo:[1,1,0]
	v_fma_f32 v44, v47, v44, 0
	v_dot4_i32_iu8 v47, v94, v55, v48 neg_lo:[1,1,0]
	v_dot4_i32_iu8 v21, v93, v24, v21 neg_lo:[1,1,0]
	;; [unrolled: 1-line block ×7, first 2 shown]
	v_cvt_f32_i32_e32 v45, v45
	v_dot4_i32_iu8 v37, v17, v38, v37 neg_lo:[1,1,0]
	v_dot4_i32_iu8 v33, v16, v33, 0 neg_lo:[1,1,0]
	;; [unrolled: 1-line block ×4, first 2 shown]
	v_fmac_f32_e32 v44, v46, v45
	s_wait_loadcnt 0x0
	v_dot4_i32_iu8 v45, v16, v57, 0 neg_lo:[1,1,0]
	v_cvt_f32_f16_e32 v30, v32
	v_dot4_i32_iu8 v25, v49, v88, v25 neg_lo:[1,1,0]
	v_cvt_f32_i32_e32 v21, v21
	v_dot4_i32_iu8 v13, v94, v15, v13 neg_lo:[1,1,0]
	v_dot4_i32_iu8 v39, v110, v59, v45 neg_lo:[1,1,0]
	;; [unrolled: 1-line block ×9, first 2 shown]
	v_dual_mul_f32 v29, v96, v30 :: v_dual_mul_f32 v10, v90, v20
	v_cvt_f32_i32_e32 v11, v25
	v_fma_f32 v15, v26, v21, 0
	v_dot4_i32_iu8 v7, v19, v14, v13 neg_lo:[1,1,0]
	v_dot4_i32_iu8 v9, v93, v12, v9 neg_lo:[1,1,0]
	;; [unrolled: 1-line block ×3, first 2 shown]
	v_cvt_f32_f16_e32 v6, v8
	v_dot4_i32_iu8 v1, v19, v2, v1 neg_lo:[1,1,0]
	v_cvt_f32_f16_e32 v40, v56
	v_cvt_f32_i32_e32 v37, v37
	v_dot4_i32_iu8 v39, v93, v52, v39 neg_lo:[1,1,0]
	v_dot4_i32_iu8 v31, v17, v34, v33 neg_lo:[1,1,0]
	;; [unrolled: 1-line block ×3, first 2 shown]
	v_cvt_f32_i32_e32 v7, v9
	v_dot4_i32_iu8 v0, v93, v0, v3 neg_lo:[1,1,0]
	v_cvt_f32_f16_e32 v2, v4
	v_dot4_i32_iu8 v1, v49, v82, v1 neg_lo:[1,1,0]
	v_fmac_f32_e32 v15, v10, v11
	v_mul_f32_e32 v3, v86, v6
	v_fma_f32 v35, v42, v37, 0
	v_cvt_f32_i32_e32 v37, v39
	v_dot4_i32_iu8 v28, v93, v28, v31 neg_lo:[1,1,0]
	v_cvt_f32_i32_e32 v4, v5
	v_cvt_f32_i32_e32 v0, v0
	;; [unrolled: 1-line block ×3, first 2 shown]
	v_dual_mul_f32 v5, v83, v2 :: v_dual_add_f32 v72, v72, v15
	v_fma_f32 v3, v3, v7, 0
	v_dual_mul_f32 v7, v91, v40 :: v_dual_mul_f32 v2, v84, v2
	v_dot4_i32_iu8 v41, v49, v98, v41 neg_lo:[1,1,0]
	v_cvt_f32_i32_e32 v33, v38
	v_cvt_f32_i32_e32 v28, v28
	v_mul_f32_e32 v6, v87, v6
	v_fma_f32 v0, v5, v0, 0
	v_fma_f32 v5, v7, v37, 0
	v_mul_f32_e32 v7, v92, v40
	v_dual_add_f32 v67, v67, v44 :: v_dual_mul_f32 v24, v97, v30
	v_cvt_f32_i32_e32 v41, v41
	v_cvt_f32_i32_e32 v22, v23
	v_fma_f32 v23, v29, v28, 0
	v_dual_fmac_f32 v5, v7, v33 :: v_dual_add_nc_u32 v78, 32, v78
	v_add_nc_u32_e32 v75, 16, v75
	v_fmac_f32_e32 v35, v36, v41
	s_delay_alu instid0(VALU_DEP_3)
	v_dual_fmac_f32 v3, v6, v4 :: v_dual_add_f32 v68, v68, v5
	v_dual_fmac_f32 v23, v24, v22 :: v_dual_fmac_f32 v0, v2, v1
	v_add_co_u32 v62, vcc_lo, 0x480, v62
	s_wait_alu 0xfffd
	v_add_co_ci_u32_e64 v63, null, 0, v63, vcc_lo
	v_cmp_le_u32_e32 vcc_lo, s22, v75
	v_add_f32_e32 v70, v70, v35
	v_add_f32_e32 v74, v74, v3
	v_dual_add_f32 v71, v71, v23 :: v_dual_add_nc_u32 v64, 32, v64
	v_dual_add_f32 v76, v76, v0 :: v_dual_add_nc_u32 v79, 32, v79
	v_add_nc_u32_e32 v65, 32, v65
	v_add_nc_u32_e32 v66, 32, v66
	;; [unrolled: 1-line block ×3, first 2 shown]
	s_or_b32 s3, vcc_lo, s3
	s_wait_alu 0xfffe
	s_and_not1_b32 exec_lo, exec_lo, s3
	s_cbranch_execz .LBB94_87
.LBB94_3:                               ; =>This Inner Loop Header: Depth=1
	s_wait_alu 0xfffe
	v_add_nc_u32_e32 v0, s4, v75
	s_mov_b32 s9, 0
	s_mov_b32 s11, exec_lo
	s_delay_alu instid0(VALU_DEP_1) | instskip(NEXT) | instid1(VALU_DEP_1)
	v_mad_co_i64_i32 v[0:1], null, v0, 36, s[12:13]
	v_add_co_u32 v2, vcc_lo, v0, v77
	s_wait_alu 0xfffd
	s_delay_alu instid0(VALU_DEP_2)
	v_add_co_ci_u32_e64 v3, null, 0, v1, vcc_lo
	v_add_co_u32 v0, vcc_lo, v0, v81
	s_wait_alu 0xfffd
	v_add_co_ci_u32_e64 v1, null, 0, v1, vcc_lo
	s_clause 0x1
	global_load_u16 v8, v[2:3], off
	global_load_b128 v[16:19], v[0:1], off offset:4
	s_clause 0x2
	global_load_b32 v82, v[62:63], off offset:32
	global_load_b128 v[0:3], v[62:63], off offset:16
	global_load_b128 v[4:7], v[62:63], off
	s_wait_loadcnt 0x4
	v_bfe_u32 v9, v8, 3, 4
	v_and_b32_e32 v91, 0xff, v8
	s_delay_alu instid0(VALU_DEP_2) | instskip(NEXT) | instid1(VALU_DEP_2)
	v_cmp_eq_u32_e32 vcc_lo, 0, v9
	v_cmpx_lt_i16_e32 0x7e, v91
	s_xor_b32 s11, exec_lo, s11
; %bb.4:                                ;   in Loop: Header=BB94_3 Depth=1
	v_cmp_ne_u16_e64 s2, 0x7f, v91
	s_and_b32 s9, s2, exec_lo
; %bb.5:                                ;   in Loop: Header=BB94_3 Depth=1
	s_and_not1_saveexec_b32 s11, s11
; %bb.6:                                ;   in Loop: Header=BB94_3 Depth=1
	v_cmp_ne_u16_e64 s2, 0, v91
	s_wait_alu 0xfffe
	s_and_not1_b32 s9, s9, exec_lo
	s_and_b32 s2, s2, exec_lo
	s_wait_alu 0xfffe
	s_or_b32 s9, s9, s2
; %bb.7:                                ;   in Loop: Header=BB94_3 Depth=1
	s_or_b32 exec_lo, exec_lo, s11
	v_dual_mov_b32 v83, 0 :: v_dual_and_b32 v10, 7, v8
	s_delay_alu instid0(VALU_DEP_1) | instskip(NEXT) | instid1(VALU_DEP_1)
	v_cvt_f32_ubyte0_e32 v10, v10
	v_fma_f32 v11, 0x3e000000, v10, 1.0
	s_wait_alu 0xfffd
	s_delay_alu instid0(VALU_DEP_1) | instskip(NEXT) | instid1(VALU_DEP_1)
	v_dual_cndmask_b32 v10, v11, v10 :: v_dual_add_nc_u32 v9, -7, v9
	v_cndmask_b32_e64 v9, v9, -9, vcc_lo
	s_delay_alu instid0(VALU_DEP_1) | instskip(NEXT) | instid1(VALU_DEP_1)
	v_ldexp_f32 v9, v10, v9
	v_mul_f32_e32 v93, 0.5, v9
	s_wait_alu 0xfffe
	s_and_saveexec_b32 s2, s9
; %bb.8:                                ;   in Loop: Header=BB94_3 Depth=1
	s_delay_alu instid0(VALU_DEP_1)
	v_mov_b32_e32 v83, v93
; %bb.9:                                ;   in Loop: Header=BB94_3 Depth=1
	s_wait_alu 0xfffe
	s_or_b32 exec_lo, exec_lo, s2
	v_lshrrev_b16 v92, 8, v8
	s_mov_b32 s9, 0
	s_mov_b32 s11, exec_lo
	s_delay_alu instid0(VALU_DEP_1) | instskip(NEXT) | instid1(VALU_DEP_1)
	v_and_b32_e32 v9, 0xffff, v92
	v_bfe_u32 v8, v9, 3, 4
	s_delay_alu instid0(VALU_DEP_1)
	v_cmp_eq_u32_e32 vcc_lo, 0, v8
	v_cmpx_lt_i16_e32 0x7e, v92
	s_xor_b32 s11, exec_lo, s11
; %bb.10:                               ;   in Loop: Header=BB94_3 Depth=1
	v_cmp_ne_u16_e64 s2, 0x7f, v92
	s_and_b32 s9, s2, exec_lo
; %bb.11:                               ;   in Loop: Header=BB94_3 Depth=1
	s_and_not1_saveexec_b32 s11, s11
; %bb.12:                               ;   in Loop: Header=BB94_3 Depth=1
	v_cmp_ne_u16_e64 s2, 0, v92
	s_wait_alu 0xfffe
	s_and_not1_b32 s9, s9, exec_lo
	s_and_b32 s2, s2, exec_lo
	s_wait_alu 0xfffe
	s_or_b32 s9, s9, s2
; %bb.13:                               ;   in Loop: Header=BB94_3 Depth=1
	s_or_b32 exec_lo, exec_lo, s11
	v_dual_mov_b32 v84, 0 :: v_dual_and_b32 v9, 7, v9
	s_delay_alu instid0(VALU_DEP_1) | instskip(NEXT) | instid1(VALU_DEP_1)
	v_cvt_f32_ubyte0_e32 v9, v9
	v_fma_f32 v10, 0x3e000000, v9, 1.0
	s_wait_alu 0xfffd
	s_delay_alu instid0(VALU_DEP_1) | instskip(NEXT) | instid1(VALU_DEP_1)
	v_dual_cndmask_b32 v9, v10, v9 :: v_dual_add_nc_u32 v8, -7, v8
	v_cndmask_b32_e64 v8, v8, -9, vcc_lo
	s_delay_alu instid0(VALU_DEP_1) | instskip(NEXT) | instid1(VALU_DEP_1)
	v_ldexp_f32 v8, v9, v8
	v_mul_f32_e32 v94, 0.5, v8
	s_wait_alu 0xfffe
	s_and_saveexec_b32 s2, s9
; %bb.14:                               ;   in Loop: Header=BB94_3 Depth=1
	s_delay_alu instid0(VALU_DEP_1)
	v_mov_b32_e32 v84, v94
; %bb.15:                               ;   in Loop: Header=BB94_3 Depth=1
	s_wait_alu 0xfffe
	s_or_b32 exec_lo, exec_lo, s2
	v_mad_co_u64_u32 v[8:9], null, v80, 36, v[60:61]
	s_mov_b32 s2, 0
	s_mov_b32 s9, exec_lo
	s_clause 0x2
	global_load_b32 v85, v[8:9], off offset:32
	global_load_b128 v[12:15], v[8:9], off offset:16
	global_load_b128 v[8:11], v[8:9], off
	v_cmpx_lt_i16_e32 0x7e, v91
	s_wait_alu 0xfffe
	s_xor_b32 s9, exec_lo, s9
	s_cbranch_execnz .LBB94_62
; %bb.16:                               ;   in Loop: Header=BB94_3 Depth=1
	s_wait_alu 0xfffe
	s_and_not1_saveexec_b32 s9, s9
	s_cbranch_execnz .LBB94_63
.LBB94_17:                              ;   in Loop: Header=BB94_3 Depth=1
	s_wait_alu 0xfffe
	s_or_b32 exec_lo, exec_lo, s9
	v_mov_b32_e32 v86, 0
	s_and_saveexec_b32 s9, s2
.LBB94_18:                              ;   in Loop: Header=BB94_3 Depth=1
	v_mov_b32_e32 v86, v93
.LBB94_19:                              ;   in Loop: Header=BB94_3 Depth=1
	s_wait_alu 0xfffe
	s_or_b32 exec_lo, exec_lo, s9
	s_mov_b32 s2, 0
	s_mov_b32 s9, exec_lo
	v_cmpx_lt_i16_e32 0x7e, v92
	s_wait_alu 0xfffe
	s_xor_b32 s9, exec_lo, s9
	s_cbranch_execnz .LBB94_64
; %bb.20:                               ;   in Loop: Header=BB94_3 Depth=1
	s_wait_alu 0xfffe
	s_and_not1_saveexec_b32 s9, s9
	s_cbranch_execnz .LBB94_65
.LBB94_21:                              ;   in Loop: Header=BB94_3 Depth=1
	s_wait_alu 0xfffe
	s_or_b32 exec_lo, exec_lo, s9
	v_mov_b32_e32 v87, 0
	s_and_saveexec_b32 s9, s2
.LBB94_22:                              ;   in Loop: Header=BB94_3 Depth=1
	v_mov_b32_e32 v87, v94
.LBB94_23:                              ;   in Loop: Header=BB94_3 Depth=1
	s_wait_alu 0xfffe
	s_or_b32 exec_lo, exec_lo, s9
	v_mad_co_u64_u32 v[20:21], null, v78, 36, v[60:61]
	s_mov_b32 s2, 0
	s_mov_b32 s9, exec_lo
	s_clause 0x2
	global_load_b32 v88, v[20:21], off offset:32
	global_load_b128 v[24:27], v[20:21], off offset:16
	global_load_b128 v[20:23], v[20:21], off
	v_cmpx_lt_i16_e32 0x7e, v91
	s_wait_alu 0xfffe
	s_xor_b32 s9, exec_lo, s9
	s_cbranch_execnz .LBB94_66
; %bb.24:                               ;   in Loop: Header=BB94_3 Depth=1
	s_wait_alu 0xfffe
	s_and_not1_saveexec_b32 s9, s9
	s_cbranch_execnz .LBB94_67
.LBB94_25:                              ;   in Loop: Header=BB94_3 Depth=1
	s_wait_alu 0xfffe
	s_or_b32 exec_lo, exec_lo, s9
	v_mov_b32_e32 v89, 0
	s_and_saveexec_b32 s9, s2
.LBB94_26:                              ;   in Loop: Header=BB94_3 Depth=1
	v_mov_b32_e32 v89, v93
.LBB94_27:                              ;   in Loop: Header=BB94_3 Depth=1
	s_wait_alu 0xfffe
	s_or_b32 exec_lo, exec_lo, s9
	s_mov_b32 s2, 0
	s_mov_b32 s9, exec_lo
	v_cmpx_lt_i16_e32 0x7e, v92
	s_wait_alu 0xfffe
	s_xor_b32 s9, exec_lo, s9
	s_cbranch_execnz .LBB94_68
; %bb.28:                               ;   in Loop: Header=BB94_3 Depth=1
	s_wait_alu 0xfffe
	s_and_not1_saveexec_b32 s9, s9
	s_cbranch_execnz .LBB94_69
.LBB94_29:                              ;   in Loop: Header=BB94_3 Depth=1
	s_wait_alu 0xfffe
	s_or_b32 exec_lo, exec_lo, s9
	v_mov_b32_e32 v90, 0
	s_and_saveexec_b32 s9, s2
.LBB94_30:                              ;   in Loop: Header=BB94_3 Depth=1
	v_mov_b32_e32 v90, v94
.LBB94_31:                              ;   in Loop: Header=BB94_3 Depth=1
	s_wait_alu 0xfffe
	s_or_b32 exec_lo, exec_lo, s9
	v_mad_co_u64_u32 v[32:33], null, v64, 36, v[60:61]
	s_mov_b32 s2, 0
	s_mov_b32 s9, exec_lo
	s_clause 0x2
	global_load_b32 v95, v[32:33], off offset:32
	global_load_b128 v[28:31], v[32:33], off offset:16
	global_load_b128 v[32:35], v[32:33], off
	v_cmpx_lt_i16_e32 0x7e, v91
	s_wait_alu 0xfffe
	s_xor_b32 s9, exec_lo, s9
	s_cbranch_execnz .LBB94_70
; %bb.32:                               ;   in Loop: Header=BB94_3 Depth=1
	s_wait_alu 0xfffe
	s_and_not1_saveexec_b32 s9, s9
	s_cbranch_execnz .LBB94_71
.LBB94_33:                              ;   in Loop: Header=BB94_3 Depth=1
	s_wait_alu 0xfffe
	s_or_b32 exec_lo, exec_lo, s9
	v_mov_b32_e32 v96, 0
	s_and_saveexec_b32 s9, s2
.LBB94_34:                              ;   in Loop: Header=BB94_3 Depth=1
	v_mov_b32_e32 v96, v93
.LBB94_35:                              ;   in Loop: Header=BB94_3 Depth=1
	s_wait_alu 0xfffe
	s_or_b32 exec_lo, exec_lo, s9
	s_mov_b32 s2, 0
	s_mov_b32 s9, exec_lo
	v_cmpx_lt_i16_e32 0x7e, v92
	s_wait_alu 0xfffe
	s_xor_b32 s9, exec_lo, s9
	s_cbranch_execnz .LBB94_72
; %bb.36:                               ;   in Loop: Header=BB94_3 Depth=1
	s_wait_alu 0xfffe
	s_and_not1_saveexec_b32 s9, s9
	s_cbranch_execnz .LBB94_73
.LBB94_37:                              ;   in Loop: Header=BB94_3 Depth=1
	s_wait_alu 0xfffe
	s_or_b32 exec_lo, exec_lo, s9
	v_mov_b32_e32 v97, 0
	s_and_saveexec_b32 s9, s2
.LBB94_38:                              ;   in Loop: Header=BB94_3 Depth=1
	v_mov_b32_e32 v97, v94
.LBB94_39:                              ;   in Loop: Header=BB94_3 Depth=1
	s_wait_alu 0xfffe
	s_or_b32 exec_lo, exec_lo, s9
	v_mad_co_u64_u32 v[36:37], null, v79, 36, v[60:61]
	s_mov_b32 s2, 0
	s_mov_b32 s9, exec_lo
	s_clause 0x2
	global_load_b32 v98, v[36:37], off offset:32
	global_load_b128 v[40:43], v[36:37], off offset:16
	global_load_b128 v[36:39], v[36:37], off
	v_cmpx_lt_i16_e32 0x7e, v91
	s_wait_alu 0xfffe
	s_xor_b32 s9, exec_lo, s9
	s_cbranch_execnz .LBB94_74
; %bb.40:                               ;   in Loop: Header=BB94_3 Depth=1
	s_wait_alu 0xfffe
	s_and_not1_saveexec_b32 s9, s9
	s_cbranch_execnz .LBB94_75
.LBB94_41:                              ;   in Loop: Header=BB94_3 Depth=1
	s_wait_alu 0xfffe
	s_or_b32 exec_lo, exec_lo, s9
	v_mov_b32_e32 v99, 0
	s_and_saveexec_b32 s9, s2
.LBB94_42:                              ;   in Loop: Header=BB94_3 Depth=1
	v_mov_b32_e32 v99, v93
.LBB94_43:                              ;   in Loop: Header=BB94_3 Depth=1
	s_wait_alu 0xfffe
	s_or_b32 exec_lo, exec_lo, s9
	s_mov_b32 s2, 0
	s_mov_b32 s9, exec_lo
	v_cmpx_lt_i16_e32 0x7e, v92
	s_wait_alu 0xfffe
	s_xor_b32 s9, exec_lo, s9
	s_cbranch_execnz .LBB94_76
; %bb.44:                               ;   in Loop: Header=BB94_3 Depth=1
	s_wait_alu 0xfffe
	s_and_not1_saveexec_b32 s9, s9
	s_cbranch_execnz .LBB94_77
.LBB94_45:                              ;   in Loop: Header=BB94_3 Depth=1
	s_wait_alu 0xfffe
	s_or_b32 exec_lo, exec_lo, s9
	v_mov_b32_e32 v100, 0
	s_and_saveexec_b32 s9, s2
.LBB94_46:                              ;   in Loop: Header=BB94_3 Depth=1
	v_mov_b32_e32 v100, v94
.LBB94_47:                              ;   in Loop: Header=BB94_3 Depth=1
	s_wait_alu 0xfffe
	s_or_b32 exec_lo, exec_lo, s9
	v_mad_co_u64_u32 v[48:49], null, v65, 36, v[60:61]
	s_mov_b32 s2, 0
	s_mov_b32 s9, exec_lo
	s_clause 0x2
	global_load_b32 v101, v[48:49], off offset:32
	global_load_b128 v[44:47], v[48:49], off offset:16
	global_load_b128 v[48:51], v[48:49], off
	v_cmpx_lt_i16_e32 0x7e, v91
	s_wait_alu 0xfffe
	s_xor_b32 s9, exec_lo, s9
	s_cbranch_execnz .LBB94_78
; %bb.48:                               ;   in Loop: Header=BB94_3 Depth=1
	s_wait_alu 0xfffe
	s_and_not1_saveexec_b32 s9, s9
	s_cbranch_execnz .LBB94_79
.LBB94_49:                              ;   in Loop: Header=BB94_3 Depth=1
	s_wait_alu 0xfffe
	s_or_b32 exec_lo, exec_lo, s9
	v_mov_b32_e32 v102, 0
	s_and_saveexec_b32 s9, s2
.LBB94_50:                              ;   in Loop: Header=BB94_3 Depth=1
	v_mov_b32_e32 v102, v93
.LBB94_51:                              ;   in Loop: Header=BB94_3 Depth=1
	s_wait_alu 0xfffe
	s_or_b32 exec_lo, exec_lo, s9
	s_mov_b32 s2, 0
	s_mov_b32 s9, exec_lo
	v_cmpx_lt_i16_e32 0x7e, v92
	s_wait_alu 0xfffe
	s_xor_b32 s9, exec_lo, s9
	s_cbranch_execnz .LBB94_80
; %bb.52:                               ;   in Loop: Header=BB94_3 Depth=1
	s_wait_alu 0xfffe
	s_and_not1_saveexec_b32 s9, s9
	s_cbranch_execnz .LBB94_81
.LBB94_53:                              ;   in Loop: Header=BB94_3 Depth=1
	s_wait_alu 0xfffe
	s_or_b32 exec_lo, exec_lo, s9
	v_mov_b32_e32 v103, 0
	s_and_saveexec_b32 s9, s2
.LBB94_54:                              ;   in Loop: Header=BB94_3 Depth=1
	v_mov_b32_e32 v103, v94
.LBB94_55:                              ;   in Loop: Header=BB94_3 Depth=1
	s_wait_alu 0xfffe
	s_or_b32 exec_lo, exec_lo, s9
	v_mad_co_u64_u32 v[56:57], null, v66, 36, v[60:61]
	s_mov_b32 s2, 0
	s_mov_b32 s9, exec_lo
	s_clause 0x2
	global_load_b32 v104, v[56:57], off offset:32
	global_load_b128 v[52:55], v[56:57], off offset:16
	global_load_b128 v[56:59], v[56:57], off
	v_cmpx_lt_i16_e32 0x7e, v91
	s_wait_alu 0xfffe
	s_xor_b32 s9, exec_lo, s9
	s_cbranch_execnz .LBB94_82
; %bb.56:                               ;   in Loop: Header=BB94_3 Depth=1
	s_wait_alu 0xfffe
	s_and_not1_saveexec_b32 s9, s9
	s_cbranch_execnz .LBB94_83
.LBB94_57:                              ;   in Loop: Header=BB94_3 Depth=1
	s_wait_alu 0xfffe
	s_or_b32 exec_lo, exec_lo, s9
	v_mov_b32_e32 v91, 0
	s_and_saveexec_b32 s9, s2
.LBB94_58:                              ;   in Loop: Header=BB94_3 Depth=1
	v_mov_b32_e32 v91, v93
.LBB94_59:                              ;   in Loop: Header=BB94_3 Depth=1
	s_wait_alu 0xfffe
	s_or_b32 exec_lo, exec_lo, s9
	s_mov_b32 s2, 0
	s_mov_b32 s9, exec_lo
	v_cmpx_lt_i16_e32 0x7e, v92
	s_wait_alu 0xfffe
	s_xor_b32 s9, exec_lo, s9
	s_cbranch_execnz .LBB94_84
; %bb.60:                               ;   in Loop: Header=BB94_3 Depth=1
	s_wait_alu 0xfffe
	s_and_not1_saveexec_b32 s9, s9
	s_cbranch_execnz .LBB94_85
.LBB94_61:                              ;   in Loop: Header=BB94_3 Depth=1
	s_wait_alu 0xfffe
	s_or_b32 exec_lo, exec_lo, s9
	v_mov_b32_e32 v92, 0
	s_and_saveexec_b32 s9, s2
	s_cbranch_execz .LBB94_2
	s_branch .LBB94_86
.LBB94_62:                              ;   in Loop: Header=BB94_3 Depth=1
	v_cmp_ne_u16_e32 vcc_lo, 0x7f, v91
	s_and_b32 s2, vcc_lo, exec_lo
	s_wait_alu 0xfffe
	s_and_not1_saveexec_b32 s9, s9
	s_cbranch_execz .LBB94_17
.LBB94_63:                              ;   in Loop: Header=BB94_3 Depth=1
	v_cmp_ne_u16_e32 vcc_lo, 0, v91
	s_and_not1_b32 s2, s2, exec_lo
	s_and_b32 s11, vcc_lo, exec_lo
	s_wait_alu 0xfffe
	s_or_b32 s2, s2, s11
	s_or_b32 exec_lo, exec_lo, s9
	v_mov_b32_e32 v86, 0
	s_wait_alu 0xfffe
	s_and_saveexec_b32 s9, s2
	s_cbranch_execnz .LBB94_18
	s_branch .LBB94_19
.LBB94_64:                              ;   in Loop: Header=BB94_3 Depth=1
	v_cmp_ne_u16_e32 vcc_lo, 0x7f, v92
	s_and_b32 s2, vcc_lo, exec_lo
	s_wait_alu 0xfffe
	s_and_not1_saveexec_b32 s9, s9
	s_cbranch_execz .LBB94_21
.LBB94_65:                              ;   in Loop: Header=BB94_3 Depth=1
	v_cmp_ne_u16_e32 vcc_lo, 0, v92
	s_and_not1_b32 s2, s2, exec_lo
	s_and_b32 s11, vcc_lo, exec_lo
	s_wait_alu 0xfffe
	s_or_b32 s2, s2, s11
	s_or_b32 exec_lo, exec_lo, s9
	v_mov_b32_e32 v87, 0
	s_wait_alu 0xfffe
	s_and_saveexec_b32 s9, s2
	s_cbranch_execnz .LBB94_22
	s_branch .LBB94_23
.LBB94_66:                              ;   in Loop: Header=BB94_3 Depth=1
	v_cmp_ne_u16_e32 vcc_lo, 0x7f, v91
	s_and_b32 s2, vcc_lo, exec_lo
	s_wait_alu 0xfffe
	s_and_not1_saveexec_b32 s9, s9
	s_cbranch_execz .LBB94_25
.LBB94_67:                              ;   in Loop: Header=BB94_3 Depth=1
	v_cmp_ne_u16_e32 vcc_lo, 0, v91
	s_and_not1_b32 s2, s2, exec_lo
	s_and_b32 s11, vcc_lo, exec_lo
	s_wait_alu 0xfffe
	s_or_b32 s2, s2, s11
	s_or_b32 exec_lo, exec_lo, s9
	v_mov_b32_e32 v89, 0
	s_wait_alu 0xfffe
	s_and_saveexec_b32 s9, s2
	s_cbranch_execnz .LBB94_26
	s_branch .LBB94_27
.LBB94_68:                              ;   in Loop: Header=BB94_3 Depth=1
	v_cmp_ne_u16_e32 vcc_lo, 0x7f, v92
	s_and_b32 s2, vcc_lo, exec_lo
	s_wait_alu 0xfffe
	s_and_not1_saveexec_b32 s9, s9
	s_cbranch_execz .LBB94_29
.LBB94_69:                              ;   in Loop: Header=BB94_3 Depth=1
	v_cmp_ne_u16_e32 vcc_lo, 0, v92
	s_and_not1_b32 s2, s2, exec_lo
	s_and_b32 s11, vcc_lo, exec_lo
	s_wait_alu 0xfffe
	s_or_b32 s2, s2, s11
	s_or_b32 exec_lo, exec_lo, s9
	v_mov_b32_e32 v90, 0
	s_wait_alu 0xfffe
	s_and_saveexec_b32 s9, s2
	s_cbranch_execnz .LBB94_30
	s_branch .LBB94_31
.LBB94_70:                              ;   in Loop: Header=BB94_3 Depth=1
	v_cmp_ne_u16_e32 vcc_lo, 0x7f, v91
	s_and_b32 s2, vcc_lo, exec_lo
	s_wait_alu 0xfffe
	s_and_not1_saveexec_b32 s9, s9
	s_cbranch_execz .LBB94_33
.LBB94_71:                              ;   in Loop: Header=BB94_3 Depth=1
	v_cmp_ne_u16_e32 vcc_lo, 0, v91
	s_and_not1_b32 s2, s2, exec_lo
	s_and_b32 s11, vcc_lo, exec_lo
	s_wait_alu 0xfffe
	s_or_b32 s2, s2, s11
	s_or_b32 exec_lo, exec_lo, s9
	v_mov_b32_e32 v96, 0
	s_wait_alu 0xfffe
	s_and_saveexec_b32 s9, s2
	s_cbranch_execnz .LBB94_34
	s_branch .LBB94_35
.LBB94_72:                              ;   in Loop: Header=BB94_3 Depth=1
	v_cmp_ne_u16_e32 vcc_lo, 0x7f, v92
	s_and_b32 s2, vcc_lo, exec_lo
	s_wait_alu 0xfffe
	s_and_not1_saveexec_b32 s9, s9
	s_cbranch_execz .LBB94_37
.LBB94_73:                              ;   in Loop: Header=BB94_3 Depth=1
	v_cmp_ne_u16_e32 vcc_lo, 0, v92
	s_and_not1_b32 s2, s2, exec_lo
	s_and_b32 s11, vcc_lo, exec_lo
	s_wait_alu 0xfffe
	s_or_b32 s2, s2, s11
	s_or_b32 exec_lo, exec_lo, s9
	v_mov_b32_e32 v97, 0
	s_wait_alu 0xfffe
	s_and_saveexec_b32 s9, s2
	s_cbranch_execnz .LBB94_38
	s_branch .LBB94_39
.LBB94_74:                              ;   in Loop: Header=BB94_3 Depth=1
	v_cmp_ne_u16_e32 vcc_lo, 0x7f, v91
	s_and_b32 s2, vcc_lo, exec_lo
	s_wait_alu 0xfffe
	s_and_not1_saveexec_b32 s9, s9
	s_cbranch_execz .LBB94_41
.LBB94_75:                              ;   in Loop: Header=BB94_3 Depth=1
	v_cmp_ne_u16_e32 vcc_lo, 0, v91
	s_and_not1_b32 s2, s2, exec_lo
	s_and_b32 s11, vcc_lo, exec_lo
	s_wait_alu 0xfffe
	s_or_b32 s2, s2, s11
	s_or_b32 exec_lo, exec_lo, s9
	v_mov_b32_e32 v99, 0
	s_wait_alu 0xfffe
	s_and_saveexec_b32 s9, s2
	s_cbranch_execnz .LBB94_42
	s_branch .LBB94_43
.LBB94_76:                              ;   in Loop: Header=BB94_3 Depth=1
	v_cmp_ne_u16_e32 vcc_lo, 0x7f, v92
	s_and_b32 s2, vcc_lo, exec_lo
	s_wait_alu 0xfffe
	s_and_not1_saveexec_b32 s9, s9
	s_cbranch_execz .LBB94_45
.LBB94_77:                              ;   in Loop: Header=BB94_3 Depth=1
	v_cmp_ne_u16_e32 vcc_lo, 0, v92
	s_and_not1_b32 s2, s2, exec_lo
	s_and_b32 s11, vcc_lo, exec_lo
	s_wait_alu 0xfffe
	s_or_b32 s2, s2, s11
	s_or_b32 exec_lo, exec_lo, s9
	v_mov_b32_e32 v100, 0
	s_wait_alu 0xfffe
	s_and_saveexec_b32 s9, s2
	s_cbranch_execnz .LBB94_46
	s_branch .LBB94_47
.LBB94_78:                              ;   in Loop: Header=BB94_3 Depth=1
	v_cmp_ne_u16_e32 vcc_lo, 0x7f, v91
	s_and_b32 s2, vcc_lo, exec_lo
	s_wait_alu 0xfffe
	s_and_not1_saveexec_b32 s9, s9
	s_cbranch_execz .LBB94_49
.LBB94_79:                              ;   in Loop: Header=BB94_3 Depth=1
	v_cmp_ne_u16_e32 vcc_lo, 0, v91
	s_and_not1_b32 s2, s2, exec_lo
	s_and_b32 s11, vcc_lo, exec_lo
	s_wait_alu 0xfffe
	s_or_b32 s2, s2, s11
	s_or_b32 exec_lo, exec_lo, s9
	v_mov_b32_e32 v102, 0
	s_wait_alu 0xfffe
	s_and_saveexec_b32 s9, s2
	s_cbranch_execnz .LBB94_50
	s_branch .LBB94_51
.LBB94_80:                              ;   in Loop: Header=BB94_3 Depth=1
	v_cmp_ne_u16_e32 vcc_lo, 0x7f, v92
	s_and_b32 s2, vcc_lo, exec_lo
	s_wait_alu 0xfffe
	s_and_not1_saveexec_b32 s9, s9
	s_cbranch_execz .LBB94_53
.LBB94_81:                              ;   in Loop: Header=BB94_3 Depth=1
	v_cmp_ne_u16_e32 vcc_lo, 0, v92
	s_and_not1_b32 s2, s2, exec_lo
	s_and_b32 s11, vcc_lo, exec_lo
	s_wait_alu 0xfffe
	s_or_b32 s2, s2, s11
	s_or_b32 exec_lo, exec_lo, s9
	v_mov_b32_e32 v103, 0
	s_wait_alu 0xfffe
	s_and_saveexec_b32 s9, s2
	s_cbranch_execnz .LBB94_54
	s_branch .LBB94_55
.LBB94_82:                              ;   in Loop: Header=BB94_3 Depth=1
	v_cmp_ne_u16_e32 vcc_lo, 0x7f, v91
                                        ; implicit-def: $vgpr91
	s_and_b32 s2, vcc_lo, exec_lo
	s_wait_alu 0xfffe
	s_and_not1_saveexec_b32 s9, s9
	s_cbranch_execz .LBB94_57
.LBB94_83:                              ;   in Loop: Header=BB94_3 Depth=1
	v_cmp_ne_u16_e32 vcc_lo, 0, v91
	s_and_not1_b32 s2, s2, exec_lo
	s_and_b32 s11, vcc_lo, exec_lo
	s_wait_alu 0xfffe
	s_or_b32 s2, s2, s11
	s_or_b32 exec_lo, exec_lo, s9
	v_mov_b32_e32 v91, 0
	s_wait_alu 0xfffe
	s_and_saveexec_b32 s9, s2
	s_cbranch_execnz .LBB94_58
	s_branch .LBB94_59
.LBB94_84:                              ;   in Loop: Header=BB94_3 Depth=1
	v_cmp_ne_u16_e32 vcc_lo, 0x7f, v92
                                        ; implicit-def: $vgpr92
	s_and_b32 s2, vcc_lo, exec_lo
	s_wait_alu 0xfffe
	s_and_not1_saveexec_b32 s9, s9
	s_cbranch_execz .LBB94_61
.LBB94_85:                              ;   in Loop: Header=BB94_3 Depth=1
	v_cmp_ne_u16_e32 vcc_lo, 0, v92
	s_and_not1_b32 s2, s2, exec_lo
	s_and_b32 s11, vcc_lo, exec_lo
	s_wait_alu 0xfffe
	s_or_b32 s2, s2, s11
	s_or_b32 exec_lo, exec_lo, s9
	v_mov_b32_e32 v92, 0
	s_wait_alu 0xfffe
	s_and_saveexec_b32 s9, s2
	s_cbranch_execz .LBB94_2
.LBB94_86:                              ;   in Loop: Header=BB94_3 Depth=1
	v_mov_b32_e32 v92, v94
	s_branch .LBB94_2
.LBB94_87:
	s_or_b32 exec_lo, exec_lo, s3
.LBB94_88:
	s_delay_alu instid0(SALU_CYCLE_1)
	s_or_b32 exec_lo, exec_lo, s21
	s_mov_b32 s3, 0
	; wave barrier
	global_inv scope:SCOPE_SE
	s_mov_b32 s2, exec_lo
	v_cmpx_eq_u32_e32 0, v73
	s_cbranch_execz .LBB94_103
; %bb.89:
	v_mbcnt_lo_u32_b32 v4, -1, 0
	s_load_b64 s[0:1], s[0:1], 0x38
	s_mul_i32 s2, s10, s19
	s_mul_i32 s4, s18, s20
	s_wait_alu 0xfffe
	s_add_co_i32 s2, s2, ttmp9
	v_xor_b32_e32 v0, 16, v4
	v_xor_b32_e32 v1, 8, v4
	;; [unrolled: 1-line block ×3, first 2 shown]
	s_wait_alu 0xfffe
	s_add_co_i32 s2, s2, s4
	s_wait_alu 0xfffe
	s_lshl_b64 s[2:3], s[2:3], 2
	v_cmp_gt_i32_e32 vcc_lo, 32, v0
	s_wait_alu 0xfffd
	v_cndmask_b32_e32 v0, v4, v0, vcc_lo
	v_cmp_gt_i32_e32 vcc_lo, 32, v1
	s_wait_kmcnt 0x0
	s_wait_alu 0xfffe
	s_add_nc_u64 s[0:1], s[0:1], s[2:3]
	s_wait_alu 0xfffd
	v_cndmask_b32_e32 v1, v4, v1, vcc_lo
	s_delay_alu instid0(VALU_DEP_1)
	v_lshlrev_b32_e32 v1, 2, v1
	v_lshlrev_b32_e32 v0, 2, v0
	ds_bpermute_b32 v2, v0, v76
	s_wait_dscnt 0x0
	v_add_f32_e32 v3, v76, v2
	v_xor_b32_e32 v2, 4, v4
	ds_bpermute_b32 v5, v1, v3
	v_cmp_gt_i32_e32 vcc_lo, 32, v2
	s_wait_dscnt 0x0
	s_wait_alu 0xfffd
	v_dual_cndmask_b32 v2, v4, v2 :: v_dual_add_f32 v5, v3, v5
	s_delay_alu instid0(VALU_DEP_1)
	v_lshlrev_b32_e32 v2, 2, v2
	v_xor_b32_e32 v3, 2, v4
	ds_bpermute_b32 v6, v2, v5
	v_cmp_gt_i32_e32 vcc_lo, 32, v3
	s_wait_alu 0xfffd
	v_cndmask_b32_e32 v3, v4, v3, vcc_lo
	v_cmp_gt_i32_e32 vcc_lo, 32, v7
	s_wait_alu 0xfffd
	v_cndmask_b32_e32 v4, v4, v7, vcc_lo
	v_cmp_eq_u32_e32 vcc_lo, 0, v69
	s_delay_alu instid0(VALU_DEP_2)
	v_lshlrev_b32_e32 v4, 2, v4
	v_lshlrev_b32_e32 v3, 2, v3
	s_wait_dscnt 0x0
	v_add_f32_e32 v5, v5, v6
	ds_bpermute_b32 v6, v3, v5
	s_wait_dscnt 0x0
	v_add_f32_e32 v5, v5, v6
	ds_bpermute_b32 v6, v4, v5
	s_and_saveexec_b32 s2, vcc_lo
	s_cbranch_execz .LBB94_91
; %bb.90:
	s_wait_dscnt 0x0
	v_dual_add_f32 v5, v5, v6 :: v_dual_mov_b32 v6, 0
	global_store_b32 v6, v5, s[0:1]
.LBB94_91:
	s_wait_alu 0xfffe
	s_or_b32 exec_lo, exec_lo, s2
	ds_bpermute_b32 v5, v0, v74
	s_wait_dscnt 0x0
	v_add_f32_e32 v5, v74, v5
	ds_bpermute_b32 v6, v1, v5
	s_wait_dscnt 0x0
	v_add_f32_e32 v5, v5, v6
	;; [unrolled: 3-line block ×4, first 2 shown]
	ds_bpermute_b32 v6, v4, v5
	s_and_saveexec_b32 s2, vcc_lo
	s_cbranch_execz .LBB94_93
; %bb.92:
	s_mov_b32 s7, 0
	s_wait_dscnt 0x0
	v_dual_add_f32 v5, v5, v6 :: v_dual_mov_b32 v6, 0
	s_wait_alu 0xfffe
	s_lshl_b64 s[4:5], s[6:7], 2
	s_wait_alu 0xfffe
	s_add_nc_u64 s[4:5], s[0:1], s[4:5]
	global_store_b32 v6, v5, s[4:5]
.LBB94_93:
	s_wait_alu 0xfffe
	s_or_b32 exec_lo, exec_lo, s2
	ds_bpermute_b32 v5, v0, v72
	s_wait_dscnt 0x0
	v_add_f32_e32 v5, v72, v5
	ds_bpermute_b32 v6, v1, v5
	s_wait_dscnt 0x0
	v_add_f32_e32 v5, v5, v6
	;; [unrolled: 3-line block ×4, first 2 shown]
	ds_bpermute_b32 v6, v4, v5
	s_and_saveexec_b32 s2, vcc_lo
	s_cbranch_execz .LBB94_95
; %bb.94:
	s_lshl_b32 s4, s6, 1
	s_mov_b32 s5, 0
	s_wait_dscnt 0x0
	v_dual_add_f32 v5, v5, v6 :: v_dual_mov_b32 v6, 0
	s_wait_alu 0xfffe
	s_lshl_b64 s[4:5], s[4:5], 2
	s_wait_alu 0xfffe
	s_add_nc_u64 s[4:5], s[0:1], s[4:5]
	global_store_b32 v6, v5, s[4:5]
.LBB94_95:
	s_wait_alu 0xfffe
	s_or_b32 exec_lo, exec_lo, s2
	ds_bpermute_b32 v5, v0, v71
	s_wait_dscnt 0x0
	v_add_f32_e32 v5, v71, v5
	ds_bpermute_b32 v6, v1, v5
	s_wait_dscnt 0x0
	v_add_f32_e32 v5, v5, v6
	;; [unrolled: 3-line block ×4, first 2 shown]
	ds_bpermute_b32 v6, v4, v5
	s_and_saveexec_b32 s2, vcc_lo
	s_cbranch_execz .LBB94_97
; %bb.96:
	s_mul_i32 s4, s6, 3
	s_mov_b32 s5, 0
	s_wait_dscnt 0x0
	v_dual_add_f32 v5, v5, v6 :: v_dual_mov_b32 v6, 0
	s_wait_alu 0xfffe
	s_lshl_b64 s[4:5], s[4:5], 2
	s_wait_alu 0xfffe
	s_add_nc_u64 s[4:5], s[0:1], s[4:5]
	global_store_b32 v6, v5, s[4:5]
.LBB94_97:
	s_wait_alu 0xfffe
	s_or_b32 exec_lo, exec_lo, s2
	ds_bpermute_b32 v5, v0, v70
	s_wait_dscnt 0x0
	v_add_f32_e32 v5, v70, v5
	ds_bpermute_b32 v6, v1, v5
	s_wait_dscnt 0x0
	v_add_f32_e32 v5, v5, v6
	ds_bpermute_b32 v6, v2, v5
	s_wait_dscnt 0x0
	v_add_f32_e32 v5, v5, v6
	ds_bpermute_b32 v6, v3, v5
	s_wait_dscnt 0x0
	v_add_f32_e32 v5, v5, v6
	ds_bpermute_b32 v6, v4, v5
	s_and_saveexec_b32 s2, vcc_lo
	s_cbranch_execz .LBB94_99
; %bb.98:
	s_lshl_b32 s4, s6, 2
	s_mov_b32 s5, 0
	s_wait_dscnt 0x0
	v_dual_add_f32 v5, v5, v6 :: v_dual_mov_b32 v6, 0
	s_wait_alu 0xfffe
	s_lshl_b64 s[4:5], s[4:5], 2
	s_wait_alu 0xfffe
	s_add_nc_u64 s[4:5], s[0:1], s[4:5]
	global_store_b32 v6, v5, s[4:5]
.LBB94_99:
	s_wait_alu 0xfffe
	s_or_b32 exec_lo, exec_lo, s2
	ds_bpermute_b32 v5, v0, v67
	s_wait_dscnt 0x0
	v_add_f32_e32 v5, v67, v5
	ds_bpermute_b32 v6, v1, v5
	s_wait_dscnt 0x0
	v_add_f32_e32 v5, v5, v6
	;; [unrolled: 3-line block ×4, first 2 shown]
	ds_bpermute_b32 v6, v4, v5
	s_and_saveexec_b32 s2, vcc_lo
	s_cbranch_execz .LBB94_101
; %bb.100:
	s_mul_i32 s4, s6, 5
	s_mov_b32 s5, 0
	s_wait_dscnt 0x0
	v_dual_add_f32 v5, v5, v6 :: v_dual_mov_b32 v6, 0
	s_wait_alu 0xfffe
	s_lshl_b64 s[4:5], s[4:5], 2
	s_wait_alu 0xfffe
	s_add_nc_u64 s[4:5], s[0:1], s[4:5]
	global_store_b32 v6, v5, s[4:5]
.LBB94_101:
	s_wait_alu 0xfffe
	s_or_b32 exec_lo, exec_lo, s2
	ds_bpermute_b32 v0, v0, v68
	s_wait_dscnt 0x0
	v_add_f32_e32 v0, v68, v0
	ds_bpermute_b32 v1, v1, v0
	s_wait_dscnt 0x0
	v_add_f32_e32 v0, v0, v1
	;; [unrolled: 3-line block ×4, first 2 shown]
	ds_bpermute_b32 v1, v4, v0
	s_and_b32 exec_lo, exec_lo, vcc_lo
	s_cbranch_execz .LBB94_103
; %bb.102:
	s_mul_i32 s2, s6, 6
	s_mov_b32 s3, 0
	s_wait_dscnt 0x0
	v_dual_add_f32 v0, v0, v1 :: v_dual_mov_b32 v1, 0
	s_wait_alu 0xfffe
	s_lshl_b64 s[2:3], s[2:3], 2
	s_wait_alu 0xfffe
	s_add_nc_u64 s[0:1], s[0:1], s[2:3]
	global_store_b32 v1, v0, s[0:1]
.LBB94_103:
	s_nop 0
	s_sendmsg sendmsg(MSG_DEALLOC_VGPRS)
	s_endpgm
	.section	.rodata,"a",@progbits
	.p2align	6, 0x0
	.amdhsa_kernel _ZL13mul_mat_vec_qIL9ggml_type40ELi7ELb0ELb0EEvPKvS2_PKi31ggml_cuda_mm_fusion_args_devicePfj15HIP_vector_typeIjLj3EEjjjS8_jjjS8_jjjj
		.amdhsa_group_segment_fixed_size 0
		.amdhsa_private_segment_fixed_size 0
		.amdhsa_kernarg_size 144
		.amdhsa_user_sgpr_count 2
		.amdhsa_user_sgpr_dispatch_ptr 0
		.amdhsa_user_sgpr_queue_ptr 0
		.amdhsa_user_sgpr_kernarg_segment_ptr 1
		.amdhsa_user_sgpr_dispatch_id 0
		.amdhsa_user_sgpr_private_segment_size 0
		.amdhsa_wavefront_size32 1
		.amdhsa_uses_dynamic_stack 0
		.amdhsa_enable_private_segment 0
		.amdhsa_system_sgpr_workgroup_id_x 1
		.amdhsa_system_sgpr_workgroup_id_y 1
		.amdhsa_system_sgpr_workgroup_id_z 1
		.amdhsa_system_sgpr_workgroup_info 0
		.amdhsa_system_vgpr_workitem_id 1
		.amdhsa_next_free_vgpr 118
		.amdhsa_next_free_sgpr 30
		.amdhsa_reserve_vcc 1
		.amdhsa_float_round_mode_32 0
		.amdhsa_float_round_mode_16_64 0
		.amdhsa_float_denorm_mode_32 3
		.amdhsa_float_denorm_mode_16_64 3
		.amdhsa_fp16_overflow 0
		.amdhsa_workgroup_processor_mode 1
		.amdhsa_memory_ordered 1
		.amdhsa_forward_progress 1
		.amdhsa_inst_pref_size 42
		.amdhsa_round_robin_scheduling 0
		.amdhsa_exception_fp_ieee_invalid_op 0
		.amdhsa_exception_fp_denorm_src 0
		.amdhsa_exception_fp_ieee_div_zero 0
		.amdhsa_exception_fp_ieee_overflow 0
		.amdhsa_exception_fp_ieee_underflow 0
		.amdhsa_exception_fp_ieee_inexact 0
		.amdhsa_exception_int_div_zero 0
	.end_amdhsa_kernel
	.section	.text._ZL13mul_mat_vec_qIL9ggml_type40ELi7ELb0ELb0EEvPKvS2_PKi31ggml_cuda_mm_fusion_args_devicePfj15HIP_vector_typeIjLj3EEjjjS8_jjjS8_jjjj,"axG",@progbits,_ZL13mul_mat_vec_qIL9ggml_type40ELi7ELb0ELb0EEvPKvS2_PKi31ggml_cuda_mm_fusion_args_devicePfj15HIP_vector_typeIjLj3EEjjjS8_jjjS8_jjjj,comdat
.Lfunc_end94:
	.size	_ZL13mul_mat_vec_qIL9ggml_type40ELi7ELb0ELb0EEvPKvS2_PKi31ggml_cuda_mm_fusion_args_devicePfj15HIP_vector_typeIjLj3EEjjjS8_jjjS8_jjjj, .Lfunc_end94-_ZL13mul_mat_vec_qIL9ggml_type40ELi7ELb0ELb0EEvPKvS2_PKi31ggml_cuda_mm_fusion_args_devicePfj15HIP_vector_typeIjLj3EEjjjS8_jjjS8_jjjj
                                        ; -- End function
	.set _ZL13mul_mat_vec_qIL9ggml_type40ELi7ELb0ELb0EEvPKvS2_PKi31ggml_cuda_mm_fusion_args_devicePfj15HIP_vector_typeIjLj3EEjjjS8_jjjS8_jjjj.num_vgpr, 118
	.set _ZL13mul_mat_vec_qIL9ggml_type40ELi7ELb0ELb0EEvPKvS2_PKi31ggml_cuda_mm_fusion_args_devicePfj15HIP_vector_typeIjLj3EEjjjS8_jjjS8_jjjj.num_agpr, 0
	.set _ZL13mul_mat_vec_qIL9ggml_type40ELi7ELb0ELb0EEvPKvS2_PKi31ggml_cuda_mm_fusion_args_devicePfj15HIP_vector_typeIjLj3EEjjjS8_jjjS8_jjjj.numbered_sgpr, 30
	.set _ZL13mul_mat_vec_qIL9ggml_type40ELi7ELb0ELb0EEvPKvS2_PKi31ggml_cuda_mm_fusion_args_devicePfj15HIP_vector_typeIjLj3EEjjjS8_jjjS8_jjjj.num_named_barrier, 0
	.set _ZL13mul_mat_vec_qIL9ggml_type40ELi7ELb0ELb0EEvPKvS2_PKi31ggml_cuda_mm_fusion_args_devicePfj15HIP_vector_typeIjLj3EEjjjS8_jjjS8_jjjj.private_seg_size, 0
	.set _ZL13mul_mat_vec_qIL9ggml_type40ELi7ELb0ELb0EEvPKvS2_PKi31ggml_cuda_mm_fusion_args_devicePfj15HIP_vector_typeIjLj3EEjjjS8_jjjS8_jjjj.uses_vcc, 1
	.set _ZL13mul_mat_vec_qIL9ggml_type40ELi7ELb0ELb0EEvPKvS2_PKi31ggml_cuda_mm_fusion_args_devicePfj15HIP_vector_typeIjLj3EEjjjS8_jjjS8_jjjj.uses_flat_scratch, 0
	.set _ZL13mul_mat_vec_qIL9ggml_type40ELi7ELb0ELb0EEvPKvS2_PKi31ggml_cuda_mm_fusion_args_devicePfj15HIP_vector_typeIjLj3EEjjjS8_jjjS8_jjjj.has_dyn_sized_stack, 0
	.set _ZL13mul_mat_vec_qIL9ggml_type40ELi7ELb0ELb0EEvPKvS2_PKi31ggml_cuda_mm_fusion_args_devicePfj15HIP_vector_typeIjLj3EEjjjS8_jjjS8_jjjj.has_recursion, 0
	.set _ZL13mul_mat_vec_qIL9ggml_type40ELi7ELb0ELb0EEvPKvS2_PKi31ggml_cuda_mm_fusion_args_devicePfj15HIP_vector_typeIjLj3EEjjjS8_jjjS8_jjjj.has_indirect_call, 0
	.section	.AMDGPU.csdata,"",@progbits
; Kernel info:
; codeLenInByte = 5312
; TotalNumSgprs: 32
; NumVgprs: 118
; ScratchSize: 0
; MemoryBound: 0
; FloatMode: 240
; IeeeMode: 1
; LDSByteSize: 0 bytes/workgroup (compile time only)
; SGPRBlocks: 0
; VGPRBlocks: 14
; NumSGPRsForWavesPerEU: 32
; NumVGPRsForWavesPerEU: 118
; Occupancy: 12
; WaveLimiterHint : 0
; COMPUTE_PGM_RSRC2:SCRATCH_EN: 0
; COMPUTE_PGM_RSRC2:USER_SGPR: 2
; COMPUTE_PGM_RSRC2:TRAP_HANDLER: 0
; COMPUTE_PGM_RSRC2:TGID_X_EN: 1
; COMPUTE_PGM_RSRC2:TGID_Y_EN: 1
; COMPUTE_PGM_RSRC2:TGID_Z_EN: 1
; COMPUTE_PGM_RSRC2:TIDIG_COMP_CNT: 1
	.section	.text._ZL13mul_mat_vec_qIL9ggml_type40ELi8ELb0ELb0EEvPKvS2_PKi31ggml_cuda_mm_fusion_args_devicePfj15HIP_vector_typeIjLj3EEjjjS8_jjjS8_jjjj,"axG",@progbits,_ZL13mul_mat_vec_qIL9ggml_type40ELi8ELb0ELb0EEvPKvS2_PKi31ggml_cuda_mm_fusion_args_devicePfj15HIP_vector_typeIjLj3EEjjjS8_jjjS8_jjjj,comdat
	.globl	_ZL13mul_mat_vec_qIL9ggml_type40ELi8ELb0ELb0EEvPKvS2_PKi31ggml_cuda_mm_fusion_args_devicePfj15HIP_vector_typeIjLj3EEjjjS8_jjjS8_jjjj ; -- Begin function _ZL13mul_mat_vec_qIL9ggml_type40ELi8ELb0ELb0EEvPKvS2_PKi31ggml_cuda_mm_fusion_args_devicePfj15HIP_vector_typeIjLj3EEjjjS8_jjjS8_jjjj
	.p2align	8
	.type	_ZL13mul_mat_vec_qIL9ggml_type40ELi8ELb0ELb0EEvPKvS2_PKi31ggml_cuda_mm_fusion_args_devicePfj15HIP_vector_typeIjLj3EEjjjS8_jjjS8_jjjj,@function
_ZL13mul_mat_vec_qIL9ggml_type40ELi8ELb0ELb0EEvPKvS2_PKi31ggml_cuda_mm_fusion_args_devicePfj15HIP_vector_typeIjLj3EEjjjS8_jjjS8_jjjj: ; @_ZL13mul_mat_vec_qIL9ggml_type40ELi8ELb0ELb0EEvPKvS2_PKi31ggml_cuda_mm_fusion_args_devicePfj15HIP_vector_typeIjLj3EEjjjS8_jjjS8_jjjj
; %bb.0:
	v_bfe_u32 v79, v0, 10, 10
	s_clause 0x5
	s_load_b32 s2, s[0:1], 0x40
	s_load_b96 s[16:18], s[0:1], 0x80
	s_load_b128 s[4:7], s[0:1], 0x50
	s_load_b32 s23, s[0:1], 0x60
	s_load_b128 s[8:11], s[0:1], 0x68
	s_load_b32 s24, s[0:1], 0x78
	v_dual_mov_b32 v72, 0 :: v_dual_and_b32 v75, 0x3ff, v0
	v_dual_mov_b32 v73, 0 :: v_dual_lshlrev_b32 v0, 5, v79
	v_dual_mov_b32 v76, 0 :: v_dual_mov_b32 v77, 0
	v_mov_b32_e32 v78, 0
	s_delay_alu instid0(VALU_DEP_3)
	v_add_nc_u16 v0, v0, v75
	v_mov_b32_e32 v80, 0
	v_mov_b32_e32 v82, 0
	s_and_b32 s19, ttmp7, 0xffff
	s_lshr_b32 s20, ttmp7, 16
	v_lshrrev_b16 v0, 1, v0
	v_mov_b32_e32 v74, 0
	s_mov_b32 s21, exec_lo
	s_delay_alu instid0(VALU_DEP_2)
	v_and_b32_e32 v81, 0xffff, v0
	s_wait_kmcnt 0x0
	s_lshr_b32 s22, s2, 6
	s_delay_alu instid0(VALU_DEP_1) | instid1(SALU_CYCLE_1)
	v_cmpx_gt_u32_e64 s22, v81
	s_cbranch_execz .LBB95_100
; %bb.1:
	s_mov_b32 s3, 0
	s_mul_i32 s26, s9, s19
	s_mov_b32 s27, s3
	s_load_b128 s[12:15], s[0:1], 0x0
	s_mul_u64 s[26:27], s[26:27], 36
	s_mul_i32 s2, s17, s20
	v_mad_co_u64_u32 v[0:1], null, 0x48, v81, s[26:27]
	v_dual_mov_b32 v72, 0 :: v_dual_and_b32 v3, 1, v75
	s_mul_hi_u32 s7, s7, s19
	s_mul_hi_u32 s9, s11, s20
	s_add_co_i32 s7, s19, s7
	v_dual_mov_b32 v73, 0 :: v_dual_lshlrev_b32 v2, 2, v75
	s_delay_alu instid0(VALU_DEP_3)
	v_mad_co_u64_u32 v[0:1], null, s2, 36, v[0:1]
	s_mul_u64 s[28:29], s[2:3], 36
	s_add_co_i32 s9, s20, s9
	s_lshr_b32 s7, s7, s23
	s_lshr_b32 s11, s9, s24
	s_mul_i32 s7, s7, s8
	v_dual_mov_b32 v77, 0 :: v_dual_and_b32 v2, 4, v2
	v_mad_co_u64_u32 v[0:1], null, v3, 36, v[0:1]
	s_wait_kmcnt 0x0
	s_add_nc_u64 s[8:9], s[14:15], s[28:29]
	s_mul_i32 s4, s4, ttmp9
	s_add_nc_u64 s[8:9], s[8:9], s[26:27]
	v_lshrrev_b32_e32 v83, 1, v2
	v_mad_co_u64_u32 v[68:69], null, v3, 36, s[8:9]
	s_delay_alu instid0(VALU_DEP_3)
	v_add_co_u32 v70, vcc_lo, s14, v0
	v_lshlrev_b32_e32 v84, 1, v81
	v_add_co_ci_u32_e64 v71, null, s15, v1, vcc_lo
	v_dual_mov_b32 v74, 0 :: v_dual_lshlrev_b32 v85, 2, v2
	v_mov_b32_e32 v76, 0
	v_mov_b32_e32 v78, 0
	;; [unrolled: 1-line block ×4, first 2 shown]
	s_mul_i32 s2, s11, s16
	s_add_co_i32 s7, s7, s4
	s_mul_i32 s8, s5, 3
	s_wait_alu 0xfffe
	s_add_co_i32 s4, s2, s7
	s_lshl_b32 s7, s5, 1
	s_lshl_b32 s9, s5, 2
	s_mul_i32 s11, s5, 5
	s_mul_i32 s14, s5, 6
	s_mul_i32 s15, s5, 7
	s_mov_b32 s16, 0xf4f8fafc
	s_mov_b32 s17, 0xc080604
	;; [unrolled: 1-line block ×3, first 2 shown]
	s_branch .LBB95_3
.LBB95_2:                               ;   in Loop: Header=BB95_3 Depth=1
	s_or_b32 exec_lo, exec_lo, s24
	s_wait_loadcnt 0x18
	v_ashrrev_i32_e32 v103, 4, v27
	v_add_co_u32 v70, vcc_lo, 0x480, v70
	s_wait_alu 0xfffd
	v_add_co_ci_u32_e64 v71, null, 0, v71, vcc_lo
	s_delay_alu instid0(VALU_DEP_3)
	v_and_b32_e32 v104, 0x7070707, v103
	v_lshrrev_b32_e32 v103, 1, v103
	s_add_co_i32 s7, s7, 32
	s_add_co_i32 s8, s8, 32
	;; [unrolled: 1-line block ×3, first 2 shown]
	v_perm_b32 v108, s16, 0xfdfeff00, v104
	v_perm_b32 v104, s17, 0x3020100, v104
	v_and_or_b32 v103, v103, s23, 0x3020100
	s_add_co_i32 s11, s11, 32
	s_add_co_i32 s14, s14, 32
	;; [unrolled: 1-line block ×4, first 2 shown]
	v_perm_b32 v103, v108, v104, v103
	v_and_b32_e32 v104, 0x7070707, v27
	v_lshrrev_b32_e32 v27, 1, v27
	v_add_nc_u32_e32 v81, 16, v81
	s_delay_alu instid0(VALU_DEP_3) | instskip(SKIP_1) | instid1(VALU_DEP_4)
	v_perm_b32 v108, s16, 0xfdfeff00, v104
	v_perm_b32 v104, s17, 0x3020100, v104
	v_and_or_b32 v27, v27, s23, 0x3020100
	s_delay_alu instid0(VALU_DEP_4) | instskip(NEXT) | instid1(VALU_DEP_2)
	v_cmp_le_u32_e32 vcc_lo, s22, v81
	v_perm_b32 v27, v108, v104, v27
	v_ashrrev_i32_e32 v104, 4, v26
	s_or_b32 s3, vcc_lo, s3
	s_delay_alu instid0(VALU_DEP_1) | instskip(SKIP_1) | instid1(VALU_DEP_2)
	v_and_b32_e32 v108, 0x7070707, v104
	v_lshrrev_b32_e32 v104, 1, v104
	v_perm_b32 v113, s16, 0xfdfeff00, v108
	v_perm_b32 v108, s17, 0x3020100, v108
	s_delay_alu instid0(VALU_DEP_3) | instskip(NEXT) | instid1(VALU_DEP_1)
	v_and_or_b32 v104, v104, s23, 0x3020100
	v_perm_b32 v104, v113, v108, v104
	v_and_b32_e32 v108, 0x7070707, v26
	v_lshrrev_b32_e32 v26, 1, v26
	s_delay_alu instid0(VALU_DEP_2) | instskip(SKIP_1) | instid1(VALU_DEP_3)
	v_perm_b32 v113, s16, 0xfdfeff00, v108
	v_perm_b32 v108, s17, 0x3020100, v108
	v_and_or_b32 v26, v26, s23, 0x3020100
	s_delay_alu instid0(VALU_DEP_1) | instskip(SKIP_2) | instid1(VALU_DEP_2)
	v_perm_b32 v113, v113, v108, v26
	v_ashrrev_i32_e32 v26, 4, v25
	s_wait_loadcnt 0xa
	v_dot4_i32_iu8 v37, v113, v37, 0 neg_lo:[1,1,0]
	s_delay_alu instid0(VALU_DEP_2)
	v_and_b32_e32 v108, 0x7070707, v26
	v_lshrrev_b32_e32 v26, 1, v26
	v_dot4_i32_iu8 v29, v113, v29, 0 neg_lo:[1,1,0]
	v_dot4_i32_iu8 v17, v113, v17, 0 neg_lo:[1,1,0]
	;; [unrolled: 1-line block ×3, first 2 shown]
	v_perm_b32 v114, s16, 0xfdfeff00, v108
	v_perm_b32 v108, s17, 0x3020100, v108
	v_and_or_b32 v26, v26, s23, 0x3020100
	v_dot4_i32_iu8 v29, v104, v31, v29 neg_lo:[1,1,0]
	v_dot4_i32_iu8 v37, v27, v38, v37 neg_lo:[1,1,0]
	s_wait_loadcnt 0x9
	v_cvt_f32_f16_e32 v38, v40
	v_dot4_i32_iu8 v17, v104, v19, v17 neg_lo:[1,1,0]
	v_perm_b32 v26, v114, v108, v26
	v_and_b32_e32 v108, 0x7070707, v25
	v_lshrrev_b32_e32 v25, 1, v25
	v_dot4_i32_iu8 v29, v27, v30, v29 neg_lo:[1,1,0]
	v_cvt_f32_f16_e32 v30, v32
	v_dot4_i32_iu8 v17, v27, v18, v17 neg_lo:[1,1,0]
	v_perm_b32 v114, s16, 0xfdfeff00, v108
	v_perm_b32 v108, s17, 0x3020100, v108
	v_and_or_b32 v25, v25, s23, 0x3020100
	v_cvt_f32_f16_e32 v18, v20
	s_wait_loadcnt 0x4
	v_dot4_i32_iu8 v53, v113, v53, 0 neg_lo:[1,1,0]
	v_dot4_i32_iu8 v1, v113, v1, 0 neg_lo:[1,1,0]
	;; [unrolled: 1-line block ×3, first 2 shown]
	v_perm_b32 v25, v114, v108, v25
	v_ashrrev_i32_e32 v108, 4, v24
	v_dot4_i32_iu8 v53, v104, v55, v53 neg_lo:[1,1,0]
	v_dot4_i32_iu8 v1, v104, v3, v1 neg_lo:[1,1,0]
	;; [unrolled: 1-line block ×4, first 2 shown]
	v_and_b32_e32 v114, 0x7070707, v108
	v_lshrrev_b32_e32 v108, 1, v108
	v_dot4_i32_iu8 v53, v27, v54, v53 neg_lo:[1,1,0]
	s_wait_loadcnt 0x3
	v_cvt_f32_f16_e32 v54, v56
	v_dot4_i32_iu8 v45, v113, v45, 0 neg_lo:[1,1,0]
	v_perm_b32 v115, s16, 0xfdfeff00, v114
	v_perm_b32 v114, s17, 0x3020100, v114
	v_and_or_b32 v108, v108, s23, 0x3020100
	v_dot4_i32_iu8 v53, v103, v110, v53 neg_lo:[1,1,0]
	v_cvt_f32_i32_e32 v37, v37
	v_dot4_i32_iu8 v45, v104, v47, v45 neg_lo:[1,1,0]
	v_dot4_i32_iu8 v9, v27, v10, v9 neg_lo:[1,1,0]
	v_perm_b32 v108, v115, v114, v108
	v_and_b32_e32 v114, 0x7070707, v24
	v_lshrrev_b32_e32 v24, 1, v24
	v_cvt_f32_i32_e32 v53, v53
	v_cvt_f32_f16_e32 v10, v12
	v_dot4_i32_iu8 v1, v27, v2, v1 neg_lo:[1,1,0]
	v_perm_b32 v115, s16, 0xfdfeff00, v114
	v_perm_b32 v114, s17, 0x3020100, v114
	v_and_or_b32 v24, v24, s23, 0x3020100
	v_cvt_f32_f16_e32 v2, v4
	v_dot4_i32_iu8 v1, v103, v87, v1 neg_lo:[1,1,0]
	v_dot4_i32_iu8 v45, v27, v46, v45 neg_lo:[1,1,0]
	v_cvt_f32_f16_e32 v46, v48
	v_perm_b32 v24, v115, v114, v24
	v_dot4_i32_iu8 v29, v103, v96, v29 neg_lo:[1,1,0]
	v_cvt_f32_i32_e32 v1, v1
	v_dot4_i32_iu8 v45, v103, v106, v45 neg_lo:[1,1,0]
	v_dot4_i32_iu8 v17, v103, v93, v17 neg_lo:[1,1,0]
	;; [unrolled: 1-line block ×19, first 2 shown]
	v_mul_f32_e32 v55, v109, v54
	v_mul_f32_e32 v39, v98, v38
	;; [unrolled: 1-line block ×3, first 2 shown]
	v_cvt_f32_i32_e32 v52, v52
	v_cvt_f32_i32_e32 v36, v36
	v_mul_f32_e32 v38, v101, v38
	v_dot4_i32_iu8 v0, v26, v0, v3 neg_lo:[1,1,0]
	v_dot4_i32_iu8 v47, v108, v51, v47 neg_lo:[1,1,0]
	v_fma_f32 v52, v55, v52, 0
	v_fma_f32 v36, v39, v36, 0
	v_dot4_i32_iu8 v31, v108, v35, v31 neg_lo:[1,1,0]
	v_dot4_i32_iu8 v19, v108, v23, v19 neg_lo:[1,1,0]
	;; [unrolled: 1-line block ×3, first 2 shown]
	v_dual_fmac_f32 v52, v54, v53 :: v_dual_mul_f32 v11, v89, v10
	s_wait_loadcnt 0x0
	v_dot4_i32_iu8 v54, v24, v65, 0 neg_lo:[1,1,0]
	v_fmac_f32_e32 v36, v38, v37
	v_cvt_f32_i32_e32 v0, v0
	v_add_f32_e32 v73, v73, v52
	v_dot4_i32_iu8 v52, v113, v61, 0 neg_lo:[1,1,0]
	v_dot4_i32_iu8 v54, v108, v67, v54 neg_lo:[1,1,0]
	v_dual_add_f32 v76, v76, v36 :: v_dual_mul_f32 v3, v86, v2
	v_dot4_i32_iu8 v47, v25, v50, v47 neg_lo:[1,1,0]
	s_delay_alu instid0(VALU_DEP_4) | instskip(NEXT) | instid1(VALU_DEP_4)
	v_dot4_i32_iu8 v52, v104, v63, v52 neg_lo:[1,1,0]
	v_dot4_i32_iu8 v54, v25, v66, v54 neg_lo:[1,1,0]
	;; [unrolled: 1-line block ×4, first 2 shown]
	v_fma_f32 v0, v3, v0, 0
	v_mul_f32_e32 v2, v88, v2
	v_dot4_i32_iu8 v52, v27, v62, v52 neg_lo:[1,1,0]
	v_cvt_f32_f16_e32 v53, v64
	v_dot4_i32_iu8 v54, v26, v60, v54 neg_lo:[1,1,0]
	v_dot4_i32_iu8 v44, v26, v44, v47 neg_lo:[1,1,0]
	;; [unrolled: 1-line block ×4, first 2 shown]
	v_fmac_f32_e32 v0, v2, v1
	v_dot4_i32_iu8 v52, v103, v111, v52 neg_lo:[1,1,0]
	v_cvt_f32_i32_e32 v54, v54
	v_cvt_f32_i32_e32 v44, v44
	v_mul_f32_e32 v47, v105, v46
	v_cvt_f32_i32_e32 v28, v28
	v_mul_f32_e32 v31, v95, v30
	;; [unrolled: 2-line block ×3, first 2 shown]
	v_dot4_i32_iu8 v9, v103, v90, v9 neg_lo:[1,1,0]
	v_cvt_f32_i32_e32 v8, v8
	v_add_f32_e32 v82, v82, v0
	v_mul_f32_e32 v0, v99, v53
	v_cvt_f32_i32_e32 v52, v52
	v_cvt_f32_i32_e32 v45, v45
	v_fma_f32 v44, v47, v44, 0
	v_mul_f32_e32 v46, v107, v46
	v_cvt_f32_i32_e32 v29, v29
	v_fma_f32 v28, v31, v28, 0
	v_mul_f32_e32 v30, v97, v30
	;; [unrolled: 3-line block ×4, first 2 shown]
	v_fma_f32 v0, v0, v54, 0
	v_mul_f32_e32 v1, v102, v53
	v_fmac_f32_e32 v44, v46, v45
	v_fmac_f32_e32 v28, v30, v29
	;; [unrolled: 1-line block ×5, first 2 shown]
	v_add_f32_e32 v74, v74, v44
	v_add_f32_e32 v77, v77, v28
	;; [unrolled: 1-line block ×5, first 2 shown]
	s_wait_alu 0xfffe
	s_and_not1_b32 exec_lo, exec_lo, s3
	s_cbranch_execz .LBB95_99
.LBB95_3:                               ; =>This Inner Loop Header: Depth=1
	v_add_nc_u32_e32 v0, s4, v81
	s_mov_b32 s24, 0
	s_mov_b32 s25, exec_lo
	s_delay_alu instid0(VALU_DEP_1) | instskip(NEXT) | instid1(VALU_DEP_1)
	v_mad_co_i64_i32 v[0:1], null, v0, 36, s[12:13]
	v_add_co_u32 v2, vcc_lo, v0, v83
	s_wait_alu 0xfffd
	s_delay_alu instid0(VALU_DEP_2)
	v_add_co_ci_u32_e64 v3, null, 0, v1, vcc_lo
	v_add_co_u32 v0, vcc_lo, v0, v85
	s_wait_alu 0xfffd
	v_add_co_ci_u32_e64 v1, null, 0, v1, vcc_lo
	s_clause 0x1
	global_load_u16 v8, v[2:3], off
	global_load_b128 v[24:27], v[0:1], off offset:4
	s_clause 0x2
	global_load_b32 v87, v[70:71], off offset:32
	global_load_b128 v[0:3], v[70:71], off offset:16
	global_load_b128 v[4:7], v[70:71], off
	s_wait_loadcnt 0x4
	v_bfe_u32 v9, v8, 3, 4
	v_and_b32_e32 v99, 0xff, v8
	s_delay_alu instid0(VALU_DEP_2) | instskip(NEXT) | instid1(VALU_DEP_2)
	v_cmp_eq_u32_e32 vcc_lo, 0, v9
	v_cmpx_lt_i16_e32 0x7e, v99
	s_xor_b32 s25, exec_lo, s25
; %bb.4:                                ;   in Loop: Header=BB95_3 Depth=1
	v_cmp_ne_u16_e64 s2, 0x7f, v99
	s_and_b32 s24, s2, exec_lo
; %bb.5:                                ;   in Loop: Header=BB95_3 Depth=1
	s_and_not1_saveexec_b32 s25, s25
; %bb.6:                                ;   in Loop: Header=BB95_3 Depth=1
	v_cmp_ne_u16_e64 s2, 0, v99
	s_and_not1_b32 s24, s24, exec_lo
	s_and_b32 s2, s2, exec_lo
	s_wait_alu 0xfffe
	s_or_b32 s24, s24, s2
; %bb.7:                                ;   in Loop: Header=BB95_3 Depth=1
	s_or_b32 exec_lo, exec_lo, s25
	v_and_b32_e32 v10, 7, v8
	v_mov_b32_e32 v86, 0
	s_delay_alu instid0(VALU_DEP_2) | instskip(NEXT) | instid1(VALU_DEP_1)
	v_cvt_f32_ubyte0_e32 v10, v10
	v_fma_f32 v11, 0x3e000000, v10, 1.0
	s_wait_alu 0xfffd
	s_delay_alu instid0(VALU_DEP_1) | instskip(NEXT) | instid1(VALU_DEP_1)
	v_dual_cndmask_b32 v10, v11, v10 :: v_dual_add_nc_u32 v9, -7, v9
	v_cndmask_b32_e64 v9, v9, -9, vcc_lo
	s_delay_alu instid0(VALU_DEP_1) | instskip(NEXT) | instid1(VALU_DEP_1)
	v_ldexp_f32 v9, v10, v9
	v_mul_f32_e32 v103, 0.5, v9
	s_and_saveexec_b32 s2, s24
; %bb.8:                                ;   in Loop: Header=BB95_3 Depth=1
	s_delay_alu instid0(VALU_DEP_1)
	v_mov_b32_e32 v86, v103
; %bb.9:                                ;   in Loop: Header=BB95_3 Depth=1
	s_wait_alu 0xfffe
	s_or_b32 exec_lo, exec_lo, s2
	v_lshrrev_b16 v102, 8, v8
	s_mov_b32 s24, 0
	s_mov_b32 s25, exec_lo
	s_delay_alu instid0(VALU_DEP_1) | instskip(NEXT) | instid1(VALU_DEP_1)
	v_and_b32_e32 v9, 0xffff, v102
	v_bfe_u32 v8, v9, 3, 4
	s_delay_alu instid0(VALU_DEP_1)
	v_cmp_eq_u32_e32 vcc_lo, 0, v8
	v_cmpx_lt_i16_e32 0x7e, v102
	s_xor_b32 s25, exec_lo, s25
; %bb.10:                               ;   in Loop: Header=BB95_3 Depth=1
	v_cmp_ne_u16_e64 s2, 0x7f, v102
	s_and_b32 s24, s2, exec_lo
; %bb.11:                               ;   in Loop: Header=BB95_3 Depth=1
	s_and_not1_saveexec_b32 s25, s25
; %bb.12:                               ;   in Loop: Header=BB95_3 Depth=1
	v_cmp_ne_u16_e64 s2, 0, v102
	s_and_not1_b32 s24, s24, exec_lo
	s_and_b32 s2, s2, exec_lo
	s_wait_alu 0xfffe
	s_or_b32 s24, s24, s2
; %bb.13:                               ;   in Loop: Header=BB95_3 Depth=1
	s_or_b32 exec_lo, exec_lo, s25
	v_dual_mov_b32 v88, 0 :: v_dual_and_b32 v9, 7, v9
	s_delay_alu instid0(VALU_DEP_1) | instskip(NEXT) | instid1(VALU_DEP_1)
	v_cvt_f32_ubyte0_e32 v9, v9
	v_fma_f32 v10, 0x3e000000, v9, 1.0
	s_wait_alu 0xfffd
	s_delay_alu instid0(VALU_DEP_1) | instskip(NEXT) | instid1(VALU_DEP_1)
	v_dual_cndmask_b32 v9, v10, v9 :: v_dual_add_nc_u32 v8, -7, v8
	v_cndmask_b32_e64 v8, v8, -9, vcc_lo
	s_delay_alu instid0(VALU_DEP_1) | instskip(NEXT) | instid1(VALU_DEP_1)
	v_ldexp_f32 v8, v9, v8
	v_mul_f32_e32 v104, 0.5, v8
	s_and_saveexec_b32 s2, s24
; %bb.14:                               ;   in Loop: Header=BB95_3 Depth=1
	s_delay_alu instid0(VALU_DEP_1)
	v_mov_b32_e32 v88, v104
; %bb.15:                               ;   in Loop: Header=BB95_3 Depth=1
	s_wait_alu 0xfffe
	s_or_b32 exec_lo, exec_lo, s2
	v_add_nc_u32_e32 v8, s5, v84
	s_mov_b32 s2, 0
	s_mov_b32 s24, exec_lo
	s_delay_alu instid0(VALU_DEP_1)
	v_mad_co_u64_u32 v[12:13], null, v8, 36, v[68:69]
	s_clause 0x2
	global_load_b32 v90, v[12:13], off offset:32
	global_load_b128 v[8:11], v[12:13], off offset:16
	global_load_b128 v[12:15], v[12:13], off
	v_cmpx_lt_i16_e32 0x7e, v99
	s_xor_b32 s24, exec_lo, s24
	s_cbranch_execnz .LBB95_70
; %bb.16:                               ;   in Loop: Header=BB95_3 Depth=1
	s_and_not1_saveexec_b32 s24, s24
	s_cbranch_execnz .LBB95_71
.LBB95_17:                              ;   in Loop: Header=BB95_3 Depth=1
	s_or_b32 exec_lo, exec_lo, s24
	v_mov_b32_e32 v89, 0
	s_wait_alu 0xfffe
	s_and_saveexec_b32 s24, s2
.LBB95_18:                              ;   in Loop: Header=BB95_3 Depth=1
	v_mov_b32_e32 v89, v103
.LBB95_19:                              ;   in Loop: Header=BB95_3 Depth=1
	s_or_b32 exec_lo, exec_lo, s24
	s_mov_b32 s2, 0
	s_mov_b32 s24, exec_lo
	v_cmpx_lt_i16_e32 0x7e, v102
	s_xor_b32 s24, exec_lo, s24
	s_cbranch_execnz .LBB95_72
; %bb.20:                               ;   in Loop: Header=BB95_3 Depth=1
	s_and_not1_saveexec_b32 s24, s24
	s_cbranch_execnz .LBB95_73
.LBB95_21:                              ;   in Loop: Header=BB95_3 Depth=1
	s_or_b32 exec_lo, exec_lo, s24
	v_mov_b32_e32 v91, 0
	s_wait_alu 0xfffe
	s_and_saveexec_b32 s24, s2
.LBB95_22:                              ;   in Loop: Header=BB95_3 Depth=1
	v_mov_b32_e32 v91, v104
.LBB95_23:                              ;   in Loop: Header=BB95_3 Depth=1
	s_or_b32 exec_lo, exec_lo, s24
	v_add_nc_u32_e32 v16, s7, v84
	s_mov_b32 s2, 0
	s_mov_b32 s24, exec_lo
	s_delay_alu instid0(VALU_DEP_1)
	v_mad_co_u64_u32 v[20:21], null, v16, 36, v[68:69]
	s_clause 0x2
	global_load_b32 v93, v[20:21], off offset:32
	global_load_b128 v[16:19], v[20:21], off offset:16
	global_load_b128 v[20:23], v[20:21], off
	v_cmpx_lt_i16_e32 0x7e, v99
	s_xor_b32 s24, exec_lo, s24
	s_cbranch_execnz .LBB95_74
; %bb.24:                               ;   in Loop: Header=BB95_3 Depth=1
	s_and_not1_saveexec_b32 s24, s24
	s_cbranch_execnz .LBB95_75
.LBB95_25:                              ;   in Loop: Header=BB95_3 Depth=1
	s_or_b32 exec_lo, exec_lo, s24
	v_mov_b32_e32 v92, 0
	s_wait_alu 0xfffe
	s_and_saveexec_b32 s24, s2
.LBB95_26:                              ;   in Loop: Header=BB95_3 Depth=1
	v_mov_b32_e32 v92, v103
.LBB95_27:                              ;   in Loop: Header=BB95_3 Depth=1
	s_or_b32 exec_lo, exec_lo, s24
	s_mov_b32 s2, 0
	s_mov_b32 s24, exec_lo
	v_cmpx_lt_i16_e32 0x7e, v102
	s_xor_b32 s24, exec_lo, s24
	s_cbranch_execnz .LBB95_76
; %bb.28:                               ;   in Loop: Header=BB95_3 Depth=1
	s_and_not1_saveexec_b32 s24, s24
	s_cbranch_execnz .LBB95_77
.LBB95_29:                              ;   in Loop: Header=BB95_3 Depth=1
	s_or_b32 exec_lo, exec_lo, s24
	v_mov_b32_e32 v94, 0
	s_wait_alu 0xfffe
	s_and_saveexec_b32 s24, s2
.LBB95_30:                              ;   in Loop: Header=BB95_3 Depth=1
	v_mov_b32_e32 v94, v104
.LBB95_31:                              ;   in Loop: Header=BB95_3 Depth=1
	s_or_b32 exec_lo, exec_lo, s24
	v_add_nc_u32_e32 v28, s8, v84
	s_mov_b32 s2, 0
	s_mov_b32 s24, exec_lo
	s_delay_alu instid0(VALU_DEP_1)
	v_mad_co_u64_u32 v[32:33], null, v28, 36, v[68:69]
	s_clause 0x2
	global_load_b32 v96, v[32:33], off offset:32
	global_load_b128 v[28:31], v[32:33], off offset:16
	global_load_b128 v[32:35], v[32:33], off
	v_cmpx_lt_i16_e32 0x7e, v99
	s_xor_b32 s24, exec_lo, s24
	s_cbranch_execnz .LBB95_78
; %bb.32:                               ;   in Loop: Header=BB95_3 Depth=1
	s_and_not1_saveexec_b32 s24, s24
	s_cbranch_execnz .LBB95_79
.LBB95_33:                              ;   in Loop: Header=BB95_3 Depth=1
	s_or_b32 exec_lo, exec_lo, s24
	v_mov_b32_e32 v95, 0
	s_wait_alu 0xfffe
	s_and_saveexec_b32 s24, s2
.LBB95_34:                              ;   in Loop: Header=BB95_3 Depth=1
	v_mov_b32_e32 v95, v103
.LBB95_35:                              ;   in Loop: Header=BB95_3 Depth=1
	s_or_b32 exec_lo, exec_lo, s24
	s_mov_b32 s2, 0
	s_mov_b32 s24, exec_lo
	v_cmpx_lt_i16_e32 0x7e, v102
	s_xor_b32 s24, exec_lo, s24
	s_cbranch_execnz .LBB95_80
; %bb.36:                               ;   in Loop: Header=BB95_3 Depth=1
	s_and_not1_saveexec_b32 s24, s24
	s_cbranch_execnz .LBB95_81
.LBB95_37:                              ;   in Loop: Header=BB95_3 Depth=1
	s_or_b32 exec_lo, exec_lo, s24
	v_mov_b32_e32 v97, 0
	s_wait_alu 0xfffe
	s_and_saveexec_b32 s24, s2
.LBB95_38:                              ;   in Loop: Header=BB95_3 Depth=1
	v_mov_b32_e32 v97, v104
.LBB95_39:                              ;   in Loop: Header=BB95_3 Depth=1
	s_or_b32 exec_lo, exec_lo, s24
	v_add_nc_u32_e32 v36, s9, v84
	s_mov_b32 s2, 0
	s_mov_b32 s24, exec_lo
	s_delay_alu instid0(VALU_DEP_1)
	v_mad_co_u64_u32 v[40:41], null, v36, 36, v[68:69]
	s_clause 0x2
	global_load_b32 v100, v[40:41], off offset:32
	global_load_b128 v[36:39], v[40:41], off offset:16
	global_load_b128 v[40:43], v[40:41], off
	v_cmpx_lt_i16_e32 0x7e, v99
	s_xor_b32 s24, exec_lo, s24
	s_cbranch_execnz .LBB95_82
; %bb.40:                               ;   in Loop: Header=BB95_3 Depth=1
	s_and_not1_saveexec_b32 s24, s24
	s_cbranch_execnz .LBB95_83
.LBB95_41:                              ;   in Loop: Header=BB95_3 Depth=1
	s_or_b32 exec_lo, exec_lo, s24
	v_mov_b32_e32 v98, 0
	s_wait_alu 0xfffe
	s_and_saveexec_b32 s24, s2
.LBB95_42:                              ;   in Loop: Header=BB95_3 Depth=1
	v_mov_b32_e32 v98, v103
.LBB95_43:                              ;   in Loop: Header=BB95_3 Depth=1
	s_or_b32 exec_lo, exec_lo, s24
	s_mov_b32 s2, 0
	s_mov_b32 s24, exec_lo
	v_cmpx_lt_i16_e32 0x7e, v102
	s_xor_b32 s24, exec_lo, s24
	s_cbranch_execnz .LBB95_84
; %bb.44:                               ;   in Loop: Header=BB95_3 Depth=1
	s_and_not1_saveexec_b32 s24, s24
	s_cbranch_execnz .LBB95_85
.LBB95_45:                              ;   in Loop: Header=BB95_3 Depth=1
	s_or_b32 exec_lo, exec_lo, s24
	v_mov_b32_e32 v101, 0
	s_wait_alu 0xfffe
	s_and_saveexec_b32 s24, s2
.LBB95_46:                              ;   in Loop: Header=BB95_3 Depth=1
	v_mov_b32_e32 v101, v104
.LBB95_47:                              ;   in Loop: Header=BB95_3 Depth=1
	s_or_b32 exec_lo, exec_lo, s24
	v_add_nc_u32_e32 v44, s11, v84
	s_mov_b32 s2, 0
	s_mov_b32 s24, exec_lo
	s_delay_alu instid0(VALU_DEP_1)
	v_mad_co_u64_u32 v[48:49], null, v44, 36, v[68:69]
	s_clause 0x2
	global_load_b32 v106, v[48:49], off offset:32
	global_load_b128 v[44:47], v[48:49], off offset:16
	global_load_b128 v[48:51], v[48:49], off
	v_cmpx_lt_i16_e32 0x7e, v99
	s_xor_b32 s24, exec_lo, s24
	s_cbranch_execnz .LBB95_86
; %bb.48:                               ;   in Loop: Header=BB95_3 Depth=1
	s_and_not1_saveexec_b32 s24, s24
	s_cbranch_execnz .LBB95_87
.LBB95_49:                              ;   in Loop: Header=BB95_3 Depth=1
	s_or_b32 exec_lo, exec_lo, s24
	v_mov_b32_e32 v105, 0
	s_wait_alu 0xfffe
	s_and_saveexec_b32 s24, s2
.LBB95_50:                              ;   in Loop: Header=BB95_3 Depth=1
	v_mov_b32_e32 v105, v103
.LBB95_51:                              ;   in Loop: Header=BB95_3 Depth=1
	s_or_b32 exec_lo, exec_lo, s24
	s_mov_b32 s2, 0
	s_mov_b32 s24, exec_lo
	v_cmpx_lt_i16_e32 0x7e, v102
	s_xor_b32 s24, exec_lo, s24
	s_cbranch_execnz .LBB95_88
; %bb.52:                               ;   in Loop: Header=BB95_3 Depth=1
	s_and_not1_saveexec_b32 s24, s24
	s_cbranch_execnz .LBB95_89
.LBB95_53:                              ;   in Loop: Header=BB95_3 Depth=1
	s_or_b32 exec_lo, exec_lo, s24
	v_mov_b32_e32 v107, 0
	s_wait_alu 0xfffe
	s_and_saveexec_b32 s24, s2
.LBB95_54:                              ;   in Loop: Header=BB95_3 Depth=1
	v_mov_b32_e32 v107, v104
.LBB95_55:                              ;   in Loop: Header=BB95_3 Depth=1
	s_or_b32 exec_lo, exec_lo, s24
	v_add_nc_u32_e32 v52, s14, v84
	s_mov_b32 s2, 0
	s_mov_b32 s24, exec_lo
	s_delay_alu instid0(VALU_DEP_1)
	v_mad_co_u64_u32 v[56:57], null, v52, 36, v[68:69]
	s_clause 0x2
	global_load_b32 v110, v[56:57], off offset:32
	global_load_b128 v[52:55], v[56:57], off offset:16
	global_load_b128 v[56:59], v[56:57], off
	v_cmpx_lt_i16_e32 0x7e, v99
	s_xor_b32 s24, exec_lo, s24
	s_cbranch_execnz .LBB95_90
; %bb.56:                               ;   in Loop: Header=BB95_3 Depth=1
	s_and_not1_saveexec_b32 s24, s24
	s_cbranch_execnz .LBB95_91
.LBB95_57:                              ;   in Loop: Header=BB95_3 Depth=1
	s_or_b32 exec_lo, exec_lo, s24
	v_mov_b32_e32 v109, 0
	s_wait_alu 0xfffe
	s_and_saveexec_b32 s24, s2
.LBB95_58:                              ;   in Loop: Header=BB95_3 Depth=1
	v_mov_b32_e32 v109, v103
.LBB95_59:                              ;   in Loop: Header=BB95_3 Depth=1
	s_or_b32 exec_lo, exec_lo, s24
	s_mov_b32 s2, 0
	s_mov_b32 s24, exec_lo
	v_cmpx_lt_i16_e32 0x7e, v102
	s_xor_b32 s24, exec_lo, s24
	s_cbranch_execnz .LBB95_92
; %bb.60:                               ;   in Loop: Header=BB95_3 Depth=1
	s_and_not1_saveexec_b32 s24, s24
	s_cbranch_execnz .LBB95_93
.LBB95_61:                              ;   in Loop: Header=BB95_3 Depth=1
	s_or_b32 exec_lo, exec_lo, s24
	v_mov_b32_e32 v112, 0
	s_wait_alu 0xfffe
	s_and_saveexec_b32 s24, s2
.LBB95_62:                              ;   in Loop: Header=BB95_3 Depth=1
	v_mov_b32_e32 v112, v104
.LBB95_63:                              ;   in Loop: Header=BB95_3 Depth=1
	s_or_b32 exec_lo, exec_lo, s24
	v_add_nc_u32_e32 v60, s15, v84
	s_mov_b32 s2, 0
	s_mov_b32 s24, exec_lo
	s_delay_alu instid0(VALU_DEP_1)
	v_mad_co_u64_u32 v[64:65], null, v60, 36, v[68:69]
	s_clause 0x2
	global_load_b32 v111, v[64:65], off offset:32
	global_load_b128 v[60:63], v[64:65], off offset:16
	global_load_b128 v[64:67], v[64:65], off
	v_cmpx_lt_i16_e32 0x7e, v99
	s_xor_b32 s24, exec_lo, s24
	s_cbranch_execnz .LBB95_94
; %bb.64:                               ;   in Loop: Header=BB95_3 Depth=1
	s_and_not1_saveexec_b32 s24, s24
	s_cbranch_execnz .LBB95_95
.LBB95_65:                              ;   in Loop: Header=BB95_3 Depth=1
	s_or_b32 exec_lo, exec_lo, s24
	v_mov_b32_e32 v99, 0
	s_wait_alu 0xfffe
	s_and_saveexec_b32 s24, s2
.LBB95_66:                              ;   in Loop: Header=BB95_3 Depth=1
	v_mov_b32_e32 v99, v103
.LBB95_67:                              ;   in Loop: Header=BB95_3 Depth=1
	s_or_b32 exec_lo, exec_lo, s24
	s_mov_b32 s2, 0
	s_mov_b32 s24, exec_lo
	v_cmpx_lt_i16_e32 0x7e, v102
	s_xor_b32 s24, exec_lo, s24
	s_cbranch_execnz .LBB95_96
; %bb.68:                               ;   in Loop: Header=BB95_3 Depth=1
	s_and_not1_saveexec_b32 s24, s24
	s_cbranch_execnz .LBB95_97
.LBB95_69:                              ;   in Loop: Header=BB95_3 Depth=1
	s_or_b32 exec_lo, exec_lo, s24
	v_mov_b32_e32 v102, 0
	s_wait_alu 0xfffe
	s_and_saveexec_b32 s24, s2
	s_cbranch_execz .LBB95_2
	s_branch .LBB95_98
.LBB95_70:                              ;   in Loop: Header=BB95_3 Depth=1
	v_cmp_ne_u16_e32 vcc_lo, 0x7f, v99
	s_and_b32 s2, vcc_lo, exec_lo
	s_and_not1_saveexec_b32 s24, s24
	s_cbranch_execz .LBB95_17
.LBB95_71:                              ;   in Loop: Header=BB95_3 Depth=1
	v_cmp_ne_u16_e32 vcc_lo, 0, v99
	s_wait_alu 0xfffe
	s_and_not1_b32 s2, s2, exec_lo
	s_and_b32 s25, vcc_lo, exec_lo
	s_wait_alu 0xfffe
	s_or_b32 s2, s2, s25
	s_or_b32 exec_lo, exec_lo, s24
	v_mov_b32_e32 v89, 0
	s_wait_alu 0xfffe
	s_and_saveexec_b32 s24, s2
	s_cbranch_execnz .LBB95_18
	s_branch .LBB95_19
.LBB95_72:                              ;   in Loop: Header=BB95_3 Depth=1
	v_cmp_ne_u16_e32 vcc_lo, 0x7f, v102
	s_and_b32 s2, vcc_lo, exec_lo
	s_and_not1_saveexec_b32 s24, s24
	s_cbranch_execz .LBB95_21
.LBB95_73:                              ;   in Loop: Header=BB95_3 Depth=1
	v_cmp_ne_u16_e32 vcc_lo, 0, v102
	s_wait_alu 0xfffe
	s_and_not1_b32 s2, s2, exec_lo
	s_and_b32 s25, vcc_lo, exec_lo
	s_wait_alu 0xfffe
	s_or_b32 s2, s2, s25
	s_or_b32 exec_lo, exec_lo, s24
	v_mov_b32_e32 v91, 0
	s_wait_alu 0xfffe
	s_and_saveexec_b32 s24, s2
	s_cbranch_execnz .LBB95_22
	s_branch .LBB95_23
.LBB95_74:                              ;   in Loop: Header=BB95_3 Depth=1
	v_cmp_ne_u16_e32 vcc_lo, 0x7f, v99
	s_and_b32 s2, vcc_lo, exec_lo
	s_and_not1_saveexec_b32 s24, s24
	s_cbranch_execz .LBB95_25
.LBB95_75:                              ;   in Loop: Header=BB95_3 Depth=1
	v_cmp_ne_u16_e32 vcc_lo, 0, v99
	s_wait_alu 0xfffe
	s_and_not1_b32 s2, s2, exec_lo
	s_and_b32 s25, vcc_lo, exec_lo
	s_wait_alu 0xfffe
	s_or_b32 s2, s2, s25
	s_or_b32 exec_lo, exec_lo, s24
	v_mov_b32_e32 v92, 0
	s_wait_alu 0xfffe
	s_and_saveexec_b32 s24, s2
	s_cbranch_execnz .LBB95_26
	s_branch .LBB95_27
.LBB95_76:                              ;   in Loop: Header=BB95_3 Depth=1
	v_cmp_ne_u16_e32 vcc_lo, 0x7f, v102
	s_and_b32 s2, vcc_lo, exec_lo
	s_and_not1_saveexec_b32 s24, s24
	s_cbranch_execz .LBB95_29
.LBB95_77:                              ;   in Loop: Header=BB95_3 Depth=1
	v_cmp_ne_u16_e32 vcc_lo, 0, v102
	s_wait_alu 0xfffe
	s_and_not1_b32 s2, s2, exec_lo
	s_and_b32 s25, vcc_lo, exec_lo
	s_wait_alu 0xfffe
	s_or_b32 s2, s2, s25
	s_or_b32 exec_lo, exec_lo, s24
	v_mov_b32_e32 v94, 0
	s_wait_alu 0xfffe
	s_and_saveexec_b32 s24, s2
	s_cbranch_execnz .LBB95_30
	s_branch .LBB95_31
.LBB95_78:                              ;   in Loop: Header=BB95_3 Depth=1
	v_cmp_ne_u16_e32 vcc_lo, 0x7f, v99
	s_and_b32 s2, vcc_lo, exec_lo
	s_and_not1_saveexec_b32 s24, s24
	s_cbranch_execz .LBB95_33
.LBB95_79:                              ;   in Loop: Header=BB95_3 Depth=1
	v_cmp_ne_u16_e32 vcc_lo, 0, v99
	s_wait_alu 0xfffe
	s_and_not1_b32 s2, s2, exec_lo
	s_and_b32 s25, vcc_lo, exec_lo
	s_wait_alu 0xfffe
	s_or_b32 s2, s2, s25
	s_or_b32 exec_lo, exec_lo, s24
	v_mov_b32_e32 v95, 0
	s_wait_alu 0xfffe
	s_and_saveexec_b32 s24, s2
	s_cbranch_execnz .LBB95_34
	s_branch .LBB95_35
.LBB95_80:                              ;   in Loop: Header=BB95_3 Depth=1
	v_cmp_ne_u16_e32 vcc_lo, 0x7f, v102
	s_and_b32 s2, vcc_lo, exec_lo
	s_and_not1_saveexec_b32 s24, s24
	s_cbranch_execz .LBB95_37
.LBB95_81:                              ;   in Loop: Header=BB95_3 Depth=1
	v_cmp_ne_u16_e32 vcc_lo, 0, v102
	s_wait_alu 0xfffe
	s_and_not1_b32 s2, s2, exec_lo
	s_and_b32 s25, vcc_lo, exec_lo
	s_wait_alu 0xfffe
	s_or_b32 s2, s2, s25
	s_or_b32 exec_lo, exec_lo, s24
	v_mov_b32_e32 v97, 0
	s_wait_alu 0xfffe
	s_and_saveexec_b32 s24, s2
	s_cbranch_execnz .LBB95_38
	s_branch .LBB95_39
.LBB95_82:                              ;   in Loop: Header=BB95_3 Depth=1
	v_cmp_ne_u16_e32 vcc_lo, 0x7f, v99
	s_and_b32 s2, vcc_lo, exec_lo
	s_and_not1_saveexec_b32 s24, s24
	s_cbranch_execz .LBB95_41
.LBB95_83:                              ;   in Loop: Header=BB95_3 Depth=1
	v_cmp_ne_u16_e32 vcc_lo, 0, v99
	s_wait_alu 0xfffe
	s_and_not1_b32 s2, s2, exec_lo
	s_and_b32 s25, vcc_lo, exec_lo
	s_wait_alu 0xfffe
	s_or_b32 s2, s2, s25
	s_or_b32 exec_lo, exec_lo, s24
	v_mov_b32_e32 v98, 0
	s_wait_alu 0xfffe
	s_and_saveexec_b32 s24, s2
	s_cbranch_execnz .LBB95_42
	s_branch .LBB95_43
.LBB95_84:                              ;   in Loop: Header=BB95_3 Depth=1
	v_cmp_ne_u16_e32 vcc_lo, 0x7f, v102
	s_and_b32 s2, vcc_lo, exec_lo
	s_and_not1_saveexec_b32 s24, s24
	s_cbranch_execz .LBB95_45
.LBB95_85:                              ;   in Loop: Header=BB95_3 Depth=1
	v_cmp_ne_u16_e32 vcc_lo, 0, v102
	s_wait_alu 0xfffe
	s_and_not1_b32 s2, s2, exec_lo
	s_and_b32 s25, vcc_lo, exec_lo
	s_wait_alu 0xfffe
	s_or_b32 s2, s2, s25
	s_or_b32 exec_lo, exec_lo, s24
	v_mov_b32_e32 v101, 0
	s_wait_alu 0xfffe
	s_and_saveexec_b32 s24, s2
	s_cbranch_execnz .LBB95_46
	s_branch .LBB95_47
.LBB95_86:                              ;   in Loop: Header=BB95_3 Depth=1
	v_cmp_ne_u16_e32 vcc_lo, 0x7f, v99
	s_and_b32 s2, vcc_lo, exec_lo
	s_and_not1_saveexec_b32 s24, s24
	s_cbranch_execz .LBB95_49
.LBB95_87:                              ;   in Loop: Header=BB95_3 Depth=1
	v_cmp_ne_u16_e32 vcc_lo, 0, v99
	s_wait_alu 0xfffe
	s_and_not1_b32 s2, s2, exec_lo
	s_and_b32 s25, vcc_lo, exec_lo
	s_wait_alu 0xfffe
	s_or_b32 s2, s2, s25
	s_or_b32 exec_lo, exec_lo, s24
	v_mov_b32_e32 v105, 0
	s_wait_alu 0xfffe
	s_and_saveexec_b32 s24, s2
	s_cbranch_execnz .LBB95_50
	s_branch .LBB95_51
.LBB95_88:                              ;   in Loop: Header=BB95_3 Depth=1
	v_cmp_ne_u16_e32 vcc_lo, 0x7f, v102
	s_and_b32 s2, vcc_lo, exec_lo
	s_and_not1_saveexec_b32 s24, s24
	s_cbranch_execz .LBB95_53
.LBB95_89:                              ;   in Loop: Header=BB95_3 Depth=1
	v_cmp_ne_u16_e32 vcc_lo, 0, v102
	s_wait_alu 0xfffe
	s_and_not1_b32 s2, s2, exec_lo
	s_and_b32 s25, vcc_lo, exec_lo
	s_wait_alu 0xfffe
	s_or_b32 s2, s2, s25
	s_or_b32 exec_lo, exec_lo, s24
	v_mov_b32_e32 v107, 0
	s_wait_alu 0xfffe
	s_and_saveexec_b32 s24, s2
	s_cbranch_execnz .LBB95_54
	s_branch .LBB95_55
.LBB95_90:                              ;   in Loop: Header=BB95_3 Depth=1
	v_cmp_ne_u16_e32 vcc_lo, 0x7f, v99
	s_and_b32 s2, vcc_lo, exec_lo
	s_and_not1_saveexec_b32 s24, s24
	s_cbranch_execz .LBB95_57
.LBB95_91:                              ;   in Loop: Header=BB95_3 Depth=1
	v_cmp_ne_u16_e32 vcc_lo, 0, v99
	s_wait_alu 0xfffe
	s_and_not1_b32 s2, s2, exec_lo
	s_and_b32 s25, vcc_lo, exec_lo
	s_wait_alu 0xfffe
	s_or_b32 s2, s2, s25
	s_or_b32 exec_lo, exec_lo, s24
	v_mov_b32_e32 v109, 0
	s_wait_alu 0xfffe
	s_and_saveexec_b32 s24, s2
	s_cbranch_execnz .LBB95_58
	s_branch .LBB95_59
.LBB95_92:                              ;   in Loop: Header=BB95_3 Depth=1
	v_cmp_ne_u16_e32 vcc_lo, 0x7f, v102
	s_and_b32 s2, vcc_lo, exec_lo
	s_and_not1_saveexec_b32 s24, s24
	s_cbranch_execz .LBB95_61
.LBB95_93:                              ;   in Loop: Header=BB95_3 Depth=1
	v_cmp_ne_u16_e32 vcc_lo, 0, v102
	s_wait_alu 0xfffe
	s_and_not1_b32 s2, s2, exec_lo
	s_and_b32 s25, vcc_lo, exec_lo
	s_wait_alu 0xfffe
	s_or_b32 s2, s2, s25
	s_or_b32 exec_lo, exec_lo, s24
	v_mov_b32_e32 v112, 0
	s_wait_alu 0xfffe
	s_and_saveexec_b32 s24, s2
	s_cbranch_execnz .LBB95_62
	s_branch .LBB95_63
.LBB95_94:                              ;   in Loop: Header=BB95_3 Depth=1
	v_cmp_ne_u16_e32 vcc_lo, 0x7f, v99
                                        ; implicit-def: $vgpr99
	s_and_b32 s2, vcc_lo, exec_lo
	s_and_not1_saveexec_b32 s24, s24
	s_cbranch_execz .LBB95_65
.LBB95_95:                              ;   in Loop: Header=BB95_3 Depth=1
	v_cmp_ne_u16_e32 vcc_lo, 0, v99
	s_wait_alu 0xfffe
	s_and_not1_b32 s2, s2, exec_lo
	s_and_b32 s25, vcc_lo, exec_lo
	s_wait_alu 0xfffe
	s_or_b32 s2, s2, s25
	s_or_b32 exec_lo, exec_lo, s24
	v_mov_b32_e32 v99, 0
	s_wait_alu 0xfffe
	s_and_saveexec_b32 s24, s2
	s_cbranch_execnz .LBB95_66
	s_branch .LBB95_67
.LBB95_96:                              ;   in Loop: Header=BB95_3 Depth=1
	v_cmp_ne_u16_e32 vcc_lo, 0x7f, v102
                                        ; implicit-def: $vgpr102
	s_and_b32 s2, vcc_lo, exec_lo
	s_and_not1_saveexec_b32 s24, s24
	s_cbranch_execz .LBB95_69
.LBB95_97:                              ;   in Loop: Header=BB95_3 Depth=1
	v_cmp_ne_u16_e32 vcc_lo, 0, v102
	s_wait_alu 0xfffe
	s_and_not1_b32 s2, s2, exec_lo
	s_and_b32 s25, vcc_lo, exec_lo
	s_wait_alu 0xfffe
	s_or_b32 s2, s2, s25
	s_or_b32 exec_lo, exec_lo, s24
	v_mov_b32_e32 v102, 0
	s_wait_alu 0xfffe
	s_and_saveexec_b32 s24, s2
	s_cbranch_execz .LBB95_2
.LBB95_98:                              ;   in Loop: Header=BB95_3 Depth=1
	v_mov_b32_e32 v102, v104
	s_branch .LBB95_2
.LBB95_99:
	s_or_b32 exec_lo, exec_lo, s3
.LBB95_100:
	s_delay_alu instid0(SALU_CYCLE_1)
	s_or_b32 exec_lo, exec_lo, s21
	s_mov_b32 s3, 0
	; wave barrier
	global_inv scope:SCOPE_SE
	s_mov_b32 s2, exec_lo
	v_cmpx_eq_u32_e32 0, v79
	s_cbranch_execz .LBB95_117
; %bb.101:
	v_mbcnt_lo_u32_b32 v4, -1, 0
	s_load_b64 s[0:1], s[0:1], 0x38
	s_mul_i32 s2, s10, s19
	s_mul_i32 s4, s18, s20
	s_wait_alu 0xfffe
	s_add_co_i32 s2, s2, ttmp9
	v_xor_b32_e32 v0, 16, v4
	v_xor_b32_e32 v1, 8, v4
	v_xor_b32_e32 v7, 1, v4
	s_wait_alu 0xfffe
	s_add_co_i32 s2, s2, s4
	s_wait_alu 0xfffe
	s_lshl_b64 s[2:3], s[2:3], 2
	v_cmp_gt_i32_e32 vcc_lo, 32, v0
	s_wait_alu 0xfffd
	v_cndmask_b32_e32 v0, v4, v0, vcc_lo
	v_cmp_gt_i32_e32 vcc_lo, 32, v1
	s_wait_kmcnt 0x0
	s_wait_alu 0xfffe
	s_add_nc_u64 s[0:1], s[0:1], s[2:3]
	s_wait_alu 0xfffd
	v_cndmask_b32_e32 v1, v4, v1, vcc_lo
	s_delay_alu instid0(VALU_DEP_1)
	v_lshlrev_b32_e32 v1, 2, v1
	v_lshlrev_b32_e32 v0, 2, v0
	ds_bpermute_b32 v2, v0, v82
	s_wait_dscnt 0x0
	v_add_f32_e32 v3, v82, v2
	v_xor_b32_e32 v2, 4, v4
	ds_bpermute_b32 v5, v1, v3
	v_cmp_gt_i32_e32 vcc_lo, 32, v2
	s_wait_dscnt 0x0
	s_wait_alu 0xfffd
	v_dual_cndmask_b32 v2, v4, v2 :: v_dual_add_f32 v5, v3, v5
	s_delay_alu instid0(VALU_DEP_1)
	v_lshlrev_b32_e32 v2, 2, v2
	v_xor_b32_e32 v3, 2, v4
	ds_bpermute_b32 v6, v2, v5
	v_cmp_gt_i32_e32 vcc_lo, 32, v3
	s_wait_alu 0xfffd
	v_cndmask_b32_e32 v3, v4, v3, vcc_lo
	v_cmp_gt_i32_e32 vcc_lo, 32, v7
	s_wait_alu 0xfffd
	v_cndmask_b32_e32 v4, v4, v7, vcc_lo
	v_cmp_eq_u32_e32 vcc_lo, 0, v75
	s_delay_alu instid0(VALU_DEP_2)
	v_lshlrev_b32_e32 v4, 2, v4
	v_lshlrev_b32_e32 v3, 2, v3
	s_wait_dscnt 0x0
	v_add_f32_e32 v5, v5, v6
	ds_bpermute_b32 v6, v3, v5
	s_wait_dscnt 0x0
	v_add_f32_e32 v5, v5, v6
	ds_bpermute_b32 v6, v4, v5
	s_and_saveexec_b32 s2, vcc_lo
	s_cbranch_execz .LBB95_103
; %bb.102:
	s_wait_dscnt 0x0
	v_dual_add_f32 v5, v5, v6 :: v_dual_mov_b32 v6, 0
	global_store_b32 v6, v5, s[0:1]
.LBB95_103:
	s_wait_alu 0xfffe
	s_or_b32 exec_lo, exec_lo, s2
	ds_bpermute_b32 v5, v0, v80
	s_wait_dscnt 0x0
	v_add_f32_e32 v5, v80, v5
	ds_bpermute_b32 v6, v1, v5
	s_wait_dscnt 0x0
	v_add_f32_e32 v5, v5, v6
	;; [unrolled: 3-line block ×4, first 2 shown]
	ds_bpermute_b32 v6, v4, v5
	s_and_saveexec_b32 s2, vcc_lo
	s_cbranch_execz .LBB95_105
; %bb.104:
	s_mov_b32 s7, 0
	s_wait_dscnt 0x0
	v_dual_add_f32 v5, v5, v6 :: v_dual_mov_b32 v6, 0
	s_wait_alu 0xfffe
	s_lshl_b64 s[4:5], s[6:7], 2
	s_wait_alu 0xfffe
	s_add_nc_u64 s[4:5], s[0:1], s[4:5]
	global_store_b32 v6, v5, s[4:5]
.LBB95_105:
	s_wait_alu 0xfffe
	s_or_b32 exec_lo, exec_lo, s2
	ds_bpermute_b32 v5, v0, v78
	s_wait_dscnt 0x0
	v_add_f32_e32 v5, v78, v5
	ds_bpermute_b32 v6, v1, v5
	s_wait_dscnt 0x0
	v_add_f32_e32 v5, v5, v6
	;; [unrolled: 3-line block ×4, first 2 shown]
	ds_bpermute_b32 v6, v4, v5
	s_and_saveexec_b32 s2, vcc_lo
	s_cbranch_execz .LBB95_107
; %bb.106:
	s_lshl_b32 s4, s6, 1
	s_mov_b32 s5, 0
	s_wait_dscnt 0x0
	v_dual_add_f32 v5, v5, v6 :: v_dual_mov_b32 v6, 0
	s_wait_alu 0xfffe
	s_lshl_b64 s[4:5], s[4:5], 2
	s_wait_alu 0xfffe
	s_add_nc_u64 s[4:5], s[0:1], s[4:5]
	global_store_b32 v6, v5, s[4:5]
.LBB95_107:
	s_wait_alu 0xfffe
	s_or_b32 exec_lo, exec_lo, s2
	ds_bpermute_b32 v5, v0, v77
	s_wait_dscnt 0x0
	v_add_f32_e32 v5, v77, v5
	ds_bpermute_b32 v6, v1, v5
	s_wait_dscnt 0x0
	v_add_f32_e32 v5, v5, v6
	;; [unrolled: 3-line block ×4, first 2 shown]
	ds_bpermute_b32 v6, v4, v5
	s_and_saveexec_b32 s2, vcc_lo
	s_cbranch_execz .LBB95_109
; %bb.108:
	s_mul_i32 s4, s6, 3
	s_mov_b32 s5, 0
	s_wait_dscnt 0x0
	v_dual_add_f32 v5, v5, v6 :: v_dual_mov_b32 v6, 0
	s_wait_alu 0xfffe
	s_lshl_b64 s[4:5], s[4:5], 2
	s_wait_alu 0xfffe
	s_add_nc_u64 s[4:5], s[0:1], s[4:5]
	global_store_b32 v6, v5, s[4:5]
.LBB95_109:
	s_wait_alu 0xfffe
	s_or_b32 exec_lo, exec_lo, s2
	ds_bpermute_b32 v5, v0, v76
	s_wait_dscnt 0x0
	v_add_f32_e32 v5, v76, v5
	ds_bpermute_b32 v6, v1, v5
	s_wait_dscnt 0x0
	v_add_f32_e32 v5, v5, v6
	ds_bpermute_b32 v6, v2, v5
	s_wait_dscnt 0x0
	v_add_f32_e32 v5, v5, v6
	ds_bpermute_b32 v6, v3, v5
	s_wait_dscnt 0x0
	v_add_f32_e32 v5, v5, v6
	ds_bpermute_b32 v6, v4, v5
	s_and_saveexec_b32 s2, vcc_lo
	s_cbranch_execz .LBB95_111
; %bb.110:
	s_lshl_b32 s4, s6, 2
	s_mov_b32 s5, 0
	s_wait_dscnt 0x0
	v_dual_add_f32 v5, v5, v6 :: v_dual_mov_b32 v6, 0
	s_wait_alu 0xfffe
	s_lshl_b64 s[4:5], s[4:5], 2
	s_wait_alu 0xfffe
	s_add_nc_u64 s[4:5], s[0:1], s[4:5]
	global_store_b32 v6, v5, s[4:5]
.LBB95_111:
	s_wait_alu 0xfffe
	s_or_b32 exec_lo, exec_lo, s2
	ds_bpermute_b32 v5, v0, v74
	s_wait_dscnt 0x0
	v_add_f32_e32 v5, v74, v5
	ds_bpermute_b32 v6, v1, v5
	s_wait_dscnt 0x0
	v_add_f32_e32 v5, v5, v6
	;; [unrolled: 3-line block ×4, first 2 shown]
	ds_bpermute_b32 v6, v4, v5
	s_and_saveexec_b32 s2, vcc_lo
	s_cbranch_execz .LBB95_113
; %bb.112:
	s_mul_i32 s4, s6, 5
	s_mov_b32 s5, 0
	s_wait_dscnt 0x0
	v_dual_add_f32 v5, v5, v6 :: v_dual_mov_b32 v6, 0
	s_wait_alu 0xfffe
	s_lshl_b64 s[4:5], s[4:5], 2
	s_wait_alu 0xfffe
	s_add_nc_u64 s[4:5], s[0:1], s[4:5]
	global_store_b32 v6, v5, s[4:5]
.LBB95_113:
	s_wait_alu 0xfffe
	s_or_b32 exec_lo, exec_lo, s2
	ds_bpermute_b32 v5, v0, v73
	s_wait_dscnt 0x0
	v_add_f32_e32 v5, v73, v5
	ds_bpermute_b32 v6, v1, v5
	s_wait_dscnt 0x0
	v_add_f32_e32 v5, v5, v6
	;; [unrolled: 3-line block ×4, first 2 shown]
	ds_bpermute_b32 v6, v4, v5
	s_and_saveexec_b32 s2, vcc_lo
	s_cbranch_execz .LBB95_115
; %bb.114:
	s_mul_i32 s4, s6, 6
	s_mov_b32 s5, 0
	s_wait_dscnt 0x0
	v_dual_add_f32 v5, v5, v6 :: v_dual_mov_b32 v6, 0
	s_wait_alu 0xfffe
	s_lshl_b64 s[4:5], s[4:5], 2
	s_wait_alu 0xfffe
	s_add_nc_u64 s[4:5], s[0:1], s[4:5]
	global_store_b32 v6, v5, s[4:5]
.LBB95_115:
	s_wait_alu 0xfffe
	s_or_b32 exec_lo, exec_lo, s2
	ds_bpermute_b32 v0, v0, v72
	s_wait_dscnt 0x0
	v_add_f32_e32 v0, v72, v0
	ds_bpermute_b32 v1, v1, v0
	s_wait_dscnt 0x0
	v_add_f32_e32 v0, v0, v1
	ds_bpermute_b32 v1, v2, v0
	s_wait_dscnt 0x0
	v_add_f32_e32 v0, v0, v1
	ds_bpermute_b32 v1, v3, v0
	s_wait_dscnt 0x0
	v_add_f32_e32 v0, v0, v1
	ds_bpermute_b32 v1, v4, v0
	s_and_b32 exec_lo, exec_lo, vcc_lo
	s_cbranch_execz .LBB95_117
; %bb.116:
	s_mul_i32 s2, s6, 7
	s_mov_b32 s3, 0
	s_wait_dscnt 0x0
	v_dual_add_f32 v0, v0, v1 :: v_dual_mov_b32 v1, 0
	s_wait_alu 0xfffe
	s_lshl_b64 s[2:3], s[2:3], 2
	s_wait_alu 0xfffe
	s_add_nc_u64 s[0:1], s[0:1], s[2:3]
	global_store_b32 v1, v0, s[0:1]
.LBB95_117:
	s_nop 0
	s_sendmsg sendmsg(MSG_DEALLOC_VGPRS)
	s_endpgm
	.section	.rodata,"a",@progbits
	.p2align	6, 0x0
	.amdhsa_kernel _ZL13mul_mat_vec_qIL9ggml_type40ELi8ELb0ELb0EEvPKvS2_PKi31ggml_cuda_mm_fusion_args_devicePfj15HIP_vector_typeIjLj3EEjjjS8_jjjS8_jjjj
		.amdhsa_group_segment_fixed_size 0
		.amdhsa_private_segment_fixed_size 0
		.amdhsa_kernarg_size 144
		.amdhsa_user_sgpr_count 2
		.amdhsa_user_sgpr_dispatch_ptr 0
		.amdhsa_user_sgpr_queue_ptr 0
		.amdhsa_user_sgpr_kernarg_segment_ptr 1
		.amdhsa_user_sgpr_dispatch_id 0
		.amdhsa_user_sgpr_private_segment_size 0
		.amdhsa_wavefront_size32 1
		.amdhsa_uses_dynamic_stack 0
		.amdhsa_enable_private_segment 0
		.amdhsa_system_sgpr_workgroup_id_x 1
		.amdhsa_system_sgpr_workgroup_id_y 1
		.amdhsa_system_sgpr_workgroup_id_z 1
		.amdhsa_system_sgpr_workgroup_info 0
		.amdhsa_system_vgpr_workitem_id 1
		.amdhsa_next_free_vgpr 116
		.amdhsa_next_free_sgpr 30
		.amdhsa_reserve_vcc 1
		.amdhsa_float_round_mode_32 0
		.amdhsa_float_round_mode_16_64 0
		.amdhsa_float_denorm_mode_32 3
		.amdhsa_float_denorm_mode_16_64 3
		.amdhsa_fp16_overflow 0
		.amdhsa_workgroup_processor_mode 1
		.amdhsa_memory_ordered 1
		.amdhsa_forward_progress 1
		.amdhsa_inst_pref_size 45
		.amdhsa_round_robin_scheduling 0
		.amdhsa_exception_fp_ieee_invalid_op 0
		.amdhsa_exception_fp_denorm_src 0
		.amdhsa_exception_fp_ieee_div_zero 0
		.amdhsa_exception_fp_ieee_overflow 0
		.amdhsa_exception_fp_ieee_underflow 0
		.amdhsa_exception_fp_ieee_inexact 0
		.amdhsa_exception_int_div_zero 0
	.end_amdhsa_kernel
	.section	.text._ZL13mul_mat_vec_qIL9ggml_type40ELi8ELb0ELb0EEvPKvS2_PKi31ggml_cuda_mm_fusion_args_devicePfj15HIP_vector_typeIjLj3EEjjjS8_jjjS8_jjjj,"axG",@progbits,_ZL13mul_mat_vec_qIL9ggml_type40ELi8ELb0ELb0EEvPKvS2_PKi31ggml_cuda_mm_fusion_args_devicePfj15HIP_vector_typeIjLj3EEjjjS8_jjjS8_jjjj,comdat
.Lfunc_end95:
	.size	_ZL13mul_mat_vec_qIL9ggml_type40ELi8ELb0ELb0EEvPKvS2_PKi31ggml_cuda_mm_fusion_args_devicePfj15HIP_vector_typeIjLj3EEjjjS8_jjjS8_jjjj, .Lfunc_end95-_ZL13mul_mat_vec_qIL9ggml_type40ELi8ELb0ELb0EEvPKvS2_PKi31ggml_cuda_mm_fusion_args_devicePfj15HIP_vector_typeIjLj3EEjjjS8_jjjS8_jjjj
                                        ; -- End function
	.set _ZL13mul_mat_vec_qIL9ggml_type40ELi8ELb0ELb0EEvPKvS2_PKi31ggml_cuda_mm_fusion_args_devicePfj15HIP_vector_typeIjLj3EEjjjS8_jjjS8_jjjj.num_vgpr, 116
	.set _ZL13mul_mat_vec_qIL9ggml_type40ELi8ELb0ELb0EEvPKvS2_PKi31ggml_cuda_mm_fusion_args_devicePfj15HIP_vector_typeIjLj3EEjjjS8_jjjS8_jjjj.num_agpr, 0
	.set _ZL13mul_mat_vec_qIL9ggml_type40ELi8ELb0ELb0EEvPKvS2_PKi31ggml_cuda_mm_fusion_args_devicePfj15HIP_vector_typeIjLj3EEjjjS8_jjjS8_jjjj.numbered_sgpr, 30
	.set _ZL13mul_mat_vec_qIL9ggml_type40ELi8ELb0ELb0EEvPKvS2_PKi31ggml_cuda_mm_fusion_args_devicePfj15HIP_vector_typeIjLj3EEjjjS8_jjjS8_jjjj.num_named_barrier, 0
	.set _ZL13mul_mat_vec_qIL9ggml_type40ELi8ELb0ELb0EEvPKvS2_PKi31ggml_cuda_mm_fusion_args_devicePfj15HIP_vector_typeIjLj3EEjjjS8_jjjS8_jjjj.private_seg_size, 0
	.set _ZL13mul_mat_vec_qIL9ggml_type40ELi8ELb0ELb0EEvPKvS2_PKi31ggml_cuda_mm_fusion_args_devicePfj15HIP_vector_typeIjLj3EEjjjS8_jjjS8_jjjj.uses_vcc, 1
	.set _ZL13mul_mat_vec_qIL9ggml_type40ELi8ELb0ELb0EEvPKvS2_PKi31ggml_cuda_mm_fusion_args_devicePfj15HIP_vector_typeIjLj3EEjjjS8_jjjS8_jjjj.uses_flat_scratch, 0
	.set _ZL13mul_mat_vec_qIL9ggml_type40ELi8ELb0ELb0EEvPKvS2_PKi31ggml_cuda_mm_fusion_args_devicePfj15HIP_vector_typeIjLj3EEjjjS8_jjjS8_jjjj.has_dyn_sized_stack, 0
	.set _ZL13mul_mat_vec_qIL9ggml_type40ELi8ELb0ELb0EEvPKvS2_PKi31ggml_cuda_mm_fusion_args_devicePfj15HIP_vector_typeIjLj3EEjjjS8_jjjS8_jjjj.has_recursion, 0
	.set _ZL13mul_mat_vec_qIL9ggml_type40ELi8ELb0ELb0EEvPKvS2_PKi31ggml_cuda_mm_fusion_args_devicePfj15HIP_vector_typeIjLj3EEjjjS8_jjjS8_jjjj.has_indirect_call, 0
	.section	.AMDGPU.csdata,"",@progbits
; Kernel info:
; codeLenInByte = 5756
; TotalNumSgprs: 32
; NumVgprs: 116
; ScratchSize: 0
; MemoryBound: 0
; FloatMode: 240
; IeeeMode: 1
; LDSByteSize: 0 bytes/workgroup (compile time only)
; SGPRBlocks: 0
; VGPRBlocks: 14
; NumSGPRsForWavesPerEU: 32
; NumVGPRsForWavesPerEU: 116
; Occupancy: 12
; WaveLimiterHint : 0
; COMPUTE_PGM_RSRC2:SCRATCH_EN: 0
; COMPUTE_PGM_RSRC2:USER_SGPR: 2
; COMPUTE_PGM_RSRC2:TRAP_HANDLER: 0
; COMPUTE_PGM_RSRC2:TGID_X_EN: 1
; COMPUTE_PGM_RSRC2:TGID_Y_EN: 1
; COMPUTE_PGM_RSRC2:TGID_Z_EN: 1
; COMPUTE_PGM_RSRC2:TIDIG_COMP_CNT: 1
	.section	.text._ZL17mul_mat_vec_q_moeIL9ggml_type10ELi2EEvPKvS2_PKiPfj15HIP_vector_typeIjLj3EEjjjjjjjjj,"axG",@progbits,_ZL17mul_mat_vec_q_moeIL9ggml_type10ELi2EEvPKvS2_PKiPfj15HIP_vector_typeIjLj3EEjjjjjjjjj,comdat
	.globl	_ZL17mul_mat_vec_q_moeIL9ggml_type10ELi2EEvPKvS2_PKiPfj15HIP_vector_typeIjLj3EEjjjjjjjjj ; -- Begin function _ZL17mul_mat_vec_q_moeIL9ggml_type10ELi2EEvPKvS2_PKiPfj15HIP_vector_typeIjLj3EEjjjjjjjjj
	.p2align	8
	.type	_ZL17mul_mat_vec_q_moeIL9ggml_type10ELi2EEvPKvS2_PKiPfj15HIP_vector_typeIjLj3EEjjjjjjjjj,@function
_ZL17mul_mat_vec_q_moeIL9ggml_type10ELi2EEvPKvS2_PKiPfj15HIP_vector_typeIjLj3EEjjjjjjjjj: ; @_ZL17mul_mat_vec_q_moeIL9ggml_type10ELi2EEvPKvS2_PKiPfj15HIP_vector_typeIjLj3EEjjjjjjjjj
; %bb.0:
	s_load_b256 s[4:11], s[0:1], 0x30
	v_bfe_u32 v6, v0, 10, 10
	s_mov_b32 s2, exec_lo
	s_wait_kmcnt 0x0
	s_delay_alu instid0(VALU_DEP_1)
	v_cmpx_gt_u32_e64 s11, v6
	s_cbranch_execz .LBB96_7
; %bb.1:
	s_clause 0x2
	s_load_b32 s2, s[0:1], 0x20
	s_load_b32 s20, s[0:1], 0x50
	s_load_b256 s[12:19], s[0:1], 0x0
	v_bfe_u32 v8, v0, 4, 6
	v_dual_mov_b32 v0, 0 :: v_dual_and_b32 v7, 0x3ff, v0
	v_mov_b32_e32 v1, 0
	s_mov_b32 s11, exec_lo
	s_wait_kmcnt 0x0
	s_lshr_b32 s3, s2, 8
	s_lshl_b32 s2, ttmp9, 1
	v_cmpx_gt_u32_e64 s3, v8
	s_cbranch_execz .LBB96_5
; %bb.2:
	s_mov_b32 s22, ttmp7
	v_and_b32_e32 v5, 7, v7
	v_mad_co_u64_u32 v[0:1], null, s20, v6, s[22:23]
	v_mov_b32_e32 v1, 0
	s_load_b96 s[20:22], s[0:1], 0x24
	v_lshrrev_b32_e32 v9, 4, v7
	v_mul_lo_u32 v4, s6, v6
	v_bfe_u32 v10, v7, 2, 1
	s_mov_b32 s1, 0
	v_lshlrev_b64_e32 v[2:3], 2, v[0:1]
	s_add_co_i32 s6, s2, 1
	s_delay_alu instid0(VALU_DEP_1) | instskip(NEXT) | instid1(VALU_DEP_1)
	v_add_co_u32 v2, vcc_lo, s16, v2
	v_add_co_ci_u32_e64 v3, null, s17, v3, vcc_lo
	global_load_b32 v0, v[2:3], off
	v_bfe_u32 v2, v7, 3, 1
	s_wait_kmcnt 0x0
	s_mul_hi_u32 s0, s20, ttmp7
	s_delay_alu instid0(SALU_CYCLE_1) | instskip(NEXT) | instid1(VALU_DEP_1)
	s_add_co_i32 s0, ttmp7, s0
	v_mul_hi_u32_u24_e32 v3, 0x90, v2
	v_mul_u32_u24_e32 v2, 0x90, v2
	s_lshr_b32 s0, s0, s21
	s_delay_alu instid0(SALU_CYCLE_1) | instskip(NEXT) | instid1(VALU_DEP_1)
	s_mul_i32 s0, s0, s22
	v_mad_co_u64_u32 v[2:3], null, 0x120, v9, v[2:3]
	s_sub_co_i32 s0, ttmp7, s0
	v_and_or_b32 v9, v7, 8, v10
	s_mul_i32 s0, s0, s9
	v_lshlrev_b32_e32 v10, 2, v5
	v_and_b32_e32 v13, 15, v7
	v_mad_co_u64_u32 v[11:12], null, v4, 36, v[2:3]
	s_wait_loadcnt 0x0
	v_mul_lo_u32 v0, v0, s8
	s_mul_u64 s[8:9], s[0:1], 36
	s_wait_alu 0xfffe
	s_add_nc_u64 s[8:9], s[14:15], s[8:9]
	s_delay_alu instid0(VALU_DEP_1)
	v_mad_co_u64_u32 v[2:3], null, s2, s5, v[0:1]
	v_mad_co_u64_u32 v[3:4], null, s5, s6, v[0:1]
	s_wait_alu 0xfffe
	v_add_co_u32 v4, vcc_lo, s8, v11
	s_wait_alu 0xfffd
	v_add_co_ci_u32_e64 v5, null, s9, v12, vcc_lo
	v_dual_mov_b32 v0, v1 :: v_dual_lshlrev_b32 v11, 2, v13
.LBB96_3:                               ; =>This Inner Loop Header: Depth=1
	v_add_nc_u32_e32 v14, v2, v8
	v_add_co_u32 v12, vcc_lo, v4, v10
	s_wait_alu 0xfffd
	v_add_co_ci_u32_e64 v13, null, 0, v5, vcc_lo
	v_add_nc_u32_e32 v16, v3, v8
	v_mad_co_i64_i32 v[14:15], null, 0x54, v14, s[12:13]
	s_clause 0x6
	global_load_b32 v24, v[4:5], off
	global_load_b32 v25, v[4:5], off offset:36
	global_load_b32 v26, v[4:5], off offset:72
	;; [unrolled: 1-line block ×6, first 2 shown]
	v_mad_co_i64_i32 v[12:13], null, 0x54, v16, s[12:13]
	v_add_nc_u32_e32 v8, 2, v8
	v_add_co_u32 v16, vcc_lo, v14, v11
	s_wait_alu 0xfffd
	v_add_co_ci_u32_e64 v17, null, 0, v15, vcc_lo
	v_add_co_u32 v18, vcc_lo, v14, v9
	s_wait_alu 0xfffd
	v_add_co_ci_u32_e64 v19, null, 0, v15, vcc_lo
	;; [unrolled: 3-line block ×4, first 2 shown]
	s_clause 0xb
	global_load_b32 v16, v[16:17], off offset:16
	global_load_u8 v17, v[18:19], off
	global_load_u8 v31, v[18:19], off offset:2
	global_load_u8 v32, v[18:19], off offset:4
	global_load_u8 v33, v[22:23], off
	global_load_u8 v34, v[22:23], off offset:2
	global_load_u8 v35, v[22:23], off offset:4
	global_load_u8 v22, v[22:23], off offset:6
	global_load_u8 v18, v[18:19], off offset:6
	global_load_b32 v19, v[20:21], off offset:16
	global_load_b32 v12, v[12:13], off offset:80
	;; [unrolled: 1-line block ×4, first 2 shown]
	v_add_co_u32 v4, vcc_lo, 0x240, v4
	v_cmp_le_u32_e64 s0, s3, v8
	s_wait_alu 0xfffd
	v_add_co_ci_u32_e64 v5, null, 0, v5, vcc_lo
	s_or_b32 s1, s0, s1
	s_wait_loadcnt 0xc
	v_lshrrev_b32_e32 v21, 2, v16
	s_wait_loadcnt 0xb
	v_and_b32_e32 v20, 15, v17
	v_lshrrev_b32_e32 v17, 4, v17
	s_wait_loadcnt 0xa
	v_and_b32_e32 v23, 15, v31
	v_lshrrev_b32_e32 v31, 4, v31
	s_wait_loadcnt 0x9
	v_and_b32_e32 v37, 15, v32
	v_lshrrev_b32_e32 v32, 4, v32
	v_mul_lo_u32 v17, 0x1010101, v17
	s_wait_loadcnt 0x4
	v_and_b32_e32 v38, 15, v18
	v_mul_lo_u32 v31, 0x1010101, v31
	v_lshrrev_b32_e32 v18, 4, v18
	v_mul_lo_u32 v32, 0x1010101, v32
	s_wait_loadcnt 0x1
	v_lshrrev_b32_e32 v39, 16, v13
	v_and_b32_e32 v41, 15, v33
	v_lshrrev_b32_e32 v33, 4, v33
	v_dot4_i32_iu8 v17, v17, v27, 0 neg_lo:[1,1,0]
	v_mul_lo_u32 v18, 0x1010101, v18
	v_dot4_i32_iu8 v31, v31, v28, 0 neg_lo:[1,1,0]
	v_lshrrev_b32_e32 v36, 4, v16
	v_dot4_i32_iu8 v32, v32, v29, 0 neg_lo:[1,1,0]
	v_cvt_f32_i32_e32 v17, v17
	v_and_b32_e32 v40, 0x3030303, v19
	v_cvt_f32_i32_e32 v31, v31
	v_lshrrev_b32_e32 v42, 2, v19
	v_dot4_i32_iu8 v18, v18, v30, 0 neg_lo:[1,1,0]
	v_fma_mix_f32 v17, v24, v17, 0 op_sel_hi:[1,0,0]
	v_cvt_f32_i32_e32 v32, v32
	v_and_b32_e32 v43, 15, v34
	v_lshrrev_b32_e32 v34, 4, v34
	v_cvt_f32_i32_e32 v18, v18
	v_fma_mix_f32 v17, v25, v31, v17 op_sel_hi:[1,0,0]
	v_cvt_f32_f16_e32 v39, v39
	v_mul_lo_u32 v33, 0x1010101, v33
	v_lshrrev_b32_e32 v44, 4, v19
	v_and_b32_e32 v45, 15, v35
	v_fma_mix_f32 v17, v26, v32, v17 op_sel_hi:[1,0,0]
	v_lshrrev_b32_e32 v35, 4, v35
	v_and_b32_e32 v21, 0x3030303, v21
	v_and_b32_e32 v36, 0x3030303, v36
	v_dot4_i32_iu8 v40, v40, v27, 0 neg_lo:[1,1,0]
	s_wait_loadcnt 0x0
	v_fma_mix_f32 v17, v14, v18, v17 op_sel_hi:[1,0,0]
	v_and_b32_e32 v15, 0x3030303, v16
	v_and_b32_e32 v42, 0x3030303, v42
	v_mul_lo_u32 v34, 0x1010101, v34
	v_and_b32_e32 v46, 15, v22
	v_lshrrev_b32_e32 v22, 4, v22
	v_dot4_i32_iu8 v15, v15, v27, 0 neg_lo:[1,1,0]
	v_dot4_i32_iu8 v27, v33, v27, 0 neg_lo:[1,1,0]
	v_lshrrev_b32_e32 v16, 6, v16
	v_lshrrev_b32_e32 v19, 6, v19
	v_and_b32_e32 v44, 0x3030303, v44
	v_mul_lo_u32 v35, 0x1010101, v35
	v_mul_lo_u32 v15, v20, v15
	v_dot4_i32_iu8 v20, v21, v28, 0 neg_lo:[1,1,0]
	v_dot4_i32_iu8 v21, v36, v29, 0 neg_lo:[1,1,0]
	v_mul_lo_u32 v36, v41, v40
	v_dot4_i32_iu8 v40, v42, v28, 0 neg_lo:[1,1,0]
	v_mul_lo_u32 v22, 0x1010101, v22
	v_dot4_i32_iu8 v28, v34, v28, 0 neg_lo:[1,1,0]
	v_cvt_f32_i32_e32 v27, v27
	v_and_b32_e32 v16, 0x3030303, v16
	v_and_b32_e32 v19, 0x3030303, v19
	v_dot4_i32_iu8 v41, v44, v29, 0 neg_lo:[1,1,0]
	v_mul_lo_u32 v20, v23, v20
	v_mul_lo_u32 v23, v43, v40
	v_dot4_i32_iu8 v29, v35, v29, 0 neg_lo:[1,1,0]
	v_cvt_f32_i32_e32 v15, v15
	v_cvt_f32_i32_e32 v33, v36
	;; [unrolled: 1-line block ×3, first 2 shown]
	v_fma_mix_f32 v27, v24, v27, 0 op_sel_hi:[1,0,0]
	v_dot4_i32_iu8 v16, v16, v30, 0 neg_lo:[1,1,0]
	v_dot4_i32_iu8 v19, v19, v30, 0 neg_lo:[1,1,0]
	;; [unrolled: 1-line block ×3, first 2 shown]
	v_mul_lo_u32 v21, v37, v21
	v_mul_lo_u32 v30, v45, v41
	v_cvt_f32_i32_e32 v29, v29
	v_fma_mix_f32 v15, v24, v15, 0 op_sel_hi:[1,0,0]
	v_cvt_f32_i32_e32 v20, v20
	v_fma_mix_f32 v24, v24, v33, 0 op_sel_hi:[1,0,0]
	;; [unrolled: 2-line block ×3, first 2 shown]
	v_mul_lo_u32 v16, v38, v16
	v_mul_lo_u32 v19, v46, v19
	v_lshrrev_b32_e32 v47, 16, v12
	v_cvt_f32_i32_e32 v22, v22
	v_cvt_f32_i32_e32 v21, v21
	;; [unrolled: 1-line block ×3, first 2 shown]
	v_fma_mix_f32 v15, v25, v20, v15 op_sel_hi:[1,0,0]
	v_fma_mix_f32 v20, v25, v23, v24 op_sel_hi:[1,0,0]
	;; [unrolled: 1-line block ×3, first 2 shown]
	v_cvt_f32_f16_e32 v47, v47
	v_cvt_f32_i32_e32 v16, v16
	v_cvt_f32_i32_e32 v19, v19
	v_fma_mix_f32 v15, v26, v21, v15 op_sel_hi:[1,0,0]
	v_fma_mix_f32 v20, v26, v28, v20 op_sel_hi:[1,0,0]
	;; [unrolled: 1-line block ×3, first 2 shown]
	s_delay_alu instid0(VALU_DEP_3) | instskip(NEXT) | instid1(VALU_DEP_3)
	v_fma_mix_f32 v15, v14, v16, v15 op_sel_hi:[1,0,0]
	v_fma_mix_f32 v14, v14, v19, v20 op_sel_hi:[1,0,0]
	v_mul_f32_e32 v16, v17, v39
	s_delay_alu instid0(VALU_DEP_4) | instskip(NEXT) | instid1(VALU_DEP_2)
	v_mul_f32_e32 v17, v18, v47
	v_fma_mix_f32 v13, v15, v13, -v16 op_sel_hi:[0,1,0]
	s_delay_alu instid0(VALU_DEP_2) | instskip(NEXT) | instid1(VALU_DEP_1)
	v_fma_mix_f32 v12, v14, v12, -v17 op_sel_hi:[0,1,0]
	v_dual_add_f32 v1, v1, v13 :: v_dual_add_f32 v0, v0, v12
	s_and_not1_b32 exec_lo, exec_lo, s1
	s_cbranch_execnz .LBB96_3
; %bb.4:
	s_or_b32 exec_lo, exec_lo, s1
.LBB96_5:
	s_wait_alu 0xfffe
	s_or_b32 exec_lo, exec_lo, s11
	v_mbcnt_lo_u32_b32 v2, -1, 0
	s_delay_alu instid0(VALU_DEP_1) | instskip(SKIP_1) | instid1(VALU_DEP_2)
	v_xor_b32_e32 v3, 16, v2
	v_xor_b32_e32 v5, 8, v2
	v_cmp_gt_i32_e32 vcc_lo, 32, v3
	s_wait_alu 0xfffd
	v_cndmask_b32_e32 v3, v2, v3, vcc_lo
	s_delay_alu instid0(VALU_DEP_3) | instskip(NEXT) | instid1(VALU_DEP_2)
	v_cmp_gt_i32_e32 vcc_lo, 32, v5
	v_lshlrev_b32_e32 v3, 2, v3
	ds_bpermute_b32 v4, v3, v1
	ds_bpermute_b32 v3, v3, v0
	s_wait_alu 0xfffd
	v_cndmask_b32_e32 v5, v2, v5, vcc_lo
	s_wait_dscnt 0x0
	v_dual_add_f32 v1, v1, v4 :: v_dual_add_f32 v0, v0, v3
	s_delay_alu instid0(VALU_DEP_2) | instskip(SKIP_3) | instid1(VALU_DEP_1)
	v_lshlrev_b32_e32 v5, 2, v5
	ds_bpermute_b32 v3, v5, v1
	ds_bpermute_b32 v4, v5, v0
	v_xor_b32_e32 v5, 4, v2
	v_cmp_gt_i32_e32 vcc_lo, 32, v5
	s_wait_alu 0xfffd
	v_cndmask_b32_e32 v5, v2, v5, vcc_lo
	s_delay_alu instid0(VALU_DEP_1)
	v_lshlrev_b32_e32 v5, 2, v5
	s_wait_dscnt 0x0
	v_dual_add_f32 v1, v1, v3 :: v_dual_add_f32 v0, v0, v4
	ds_bpermute_b32 v3, v5, v1
	ds_bpermute_b32 v4, v5, v0
	v_xor_b32_e32 v5, 2, v2
	s_delay_alu instid0(VALU_DEP_1) | instskip(SKIP_2) | instid1(VALU_DEP_1)
	v_cmp_gt_i32_e32 vcc_lo, 32, v5
	s_wait_alu 0xfffd
	v_cndmask_b32_e32 v5, v2, v5, vcc_lo
	v_lshlrev_b32_e32 v5, 2, v5
	s_wait_dscnt 0x1
	v_add_f32_e32 v1, v1, v3
	s_wait_dscnt 0x0
	v_add_f32_e32 v3, v0, v4
	ds_bpermute_b32 v0, v5, v1
	ds_bpermute_b32 v4, v5, v3
	v_xor_b32_e32 v5, 1, v2
	s_delay_alu instid0(VALU_DEP_1) | instskip(SKIP_4) | instid1(VALU_DEP_2)
	v_cmp_gt_i32_e32 vcc_lo, 32, v5
	s_wait_alu 0xfffd
	v_cndmask_b32_e32 v2, v2, v5, vcc_lo
	v_cmp_gt_u32_e32 vcc_lo, 2, v7
	s_wait_dscnt 0x1
	v_dual_add_f32 v0, v1, v0 :: v_dual_lshlrev_b32 v5, 2, v2
	s_wait_dscnt 0x0
	v_dual_add_f32 v1, v3, v4 :: v_dual_add_nc_u32 v4, s2, v7
	ds_bpermute_b32 v2, v5, v0
	ds_bpermute_b32 v3, v5, v1
	v_cmp_gt_u32_e64 s0, s4, v4
	s_and_b32 s0, vcc_lo, s0
	s_delay_alu instid0(SALU_CYCLE_1)
	s_and_b32 exec_lo, exec_lo, s0
	s_cbranch_execz .LBB96_7
; %bb.6:
	v_mul_lo_u32 v4, s7, v6
	v_or_b32_e32 v6, s2, v7
	s_mul_i32 s0, s10, ttmp7
	s_wait_dscnt 0x1
	v_dual_mov_b32 v5, 0 :: v_dual_add_f32 v2, v0, v2
	s_wait_dscnt 0x0
	v_add_f32_e32 v3, v1, v3
	v_cmp_eq_u32_e32 vcc_lo, 1, v7
	v_add3_u32 v4, v6, v4, s0
	s_wait_alu 0xfffd
	s_delay_alu instid0(VALU_DEP_3) | instskip(NEXT) | instid1(VALU_DEP_2)
	v_cndmask_b32_e32 v2, v2, v3, vcc_lo
	v_lshlrev_b64_e32 v[0:1], 2, v[4:5]
	s_delay_alu instid0(VALU_DEP_1) | instskip(SKIP_1) | instid1(VALU_DEP_2)
	v_add_co_u32 v0, vcc_lo, s18, v0
	s_wait_alu 0xfffd
	v_add_co_ci_u32_e64 v1, null, s19, v1, vcc_lo
	global_store_b32 v[0:1], v2, off
.LBB96_7:
	s_endpgm
	.section	.rodata,"a",@progbits
	.p2align	6, 0x0
	.amdhsa_kernel _ZL17mul_mat_vec_q_moeIL9ggml_type10ELi2EEvPKvS2_PKiPfj15HIP_vector_typeIjLj3EEjjjjjjjjj
		.amdhsa_group_segment_fixed_size 0
		.amdhsa_private_segment_fixed_size 0
		.amdhsa_kernarg_size 84
		.amdhsa_user_sgpr_count 2
		.amdhsa_user_sgpr_dispatch_ptr 0
		.amdhsa_user_sgpr_queue_ptr 0
		.amdhsa_user_sgpr_kernarg_segment_ptr 1
		.amdhsa_user_sgpr_dispatch_id 0
		.amdhsa_user_sgpr_private_segment_size 0
		.amdhsa_wavefront_size32 1
		.amdhsa_uses_dynamic_stack 0
		.amdhsa_enable_private_segment 0
		.amdhsa_system_sgpr_workgroup_id_x 1
		.amdhsa_system_sgpr_workgroup_id_y 1
		.amdhsa_system_sgpr_workgroup_id_z 0
		.amdhsa_system_sgpr_workgroup_info 0
		.amdhsa_system_vgpr_workitem_id 1
		.amdhsa_next_free_vgpr 48
		.amdhsa_next_free_sgpr 24
		.amdhsa_reserve_vcc 1
		.amdhsa_float_round_mode_32 0
		.amdhsa_float_round_mode_16_64 0
		.amdhsa_float_denorm_mode_32 3
		.amdhsa_float_denorm_mode_16_64 3
		.amdhsa_fp16_overflow 0
		.amdhsa_workgroup_processor_mode 1
		.amdhsa_memory_ordered 1
		.amdhsa_forward_progress 1
		.amdhsa_inst_pref_size 16
		.amdhsa_round_robin_scheduling 0
		.amdhsa_exception_fp_ieee_invalid_op 0
		.amdhsa_exception_fp_denorm_src 0
		.amdhsa_exception_fp_ieee_div_zero 0
		.amdhsa_exception_fp_ieee_overflow 0
		.amdhsa_exception_fp_ieee_underflow 0
		.amdhsa_exception_fp_ieee_inexact 0
		.amdhsa_exception_int_div_zero 0
	.end_amdhsa_kernel
	.section	.text._ZL17mul_mat_vec_q_moeIL9ggml_type10ELi2EEvPKvS2_PKiPfj15HIP_vector_typeIjLj3EEjjjjjjjjj,"axG",@progbits,_ZL17mul_mat_vec_q_moeIL9ggml_type10ELi2EEvPKvS2_PKiPfj15HIP_vector_typeIjLj3EEjjjjjjjjj,comdat
.Lfunc_end96:
	.size	_ZL17mul_mat_vec_q_moeIL9ggml_type10ELi2EEvPKvS2_PKiPfj15HIP_vector_typeIjLj3EEjjjjjjjjj, .Lfunc_end96-_ZL17mul_mat_vec_q_moeIL9ggml_type10ELi2EEvPKvS2_PKiPfj15HIP_vector_typeIjLj3EEjjjjjjjjj
                                        ; -- End function
	.set _ZL17mul_mat_vec_q_moeIL9ggml_type10ELi2EEvPKvS2_PKiPfj15HIP_vector_typeIjLj3EEjjjjjjjjj.num_vgpr, 48
	.set _ZL17mul_mat_vec_q_moeIL9ggml_type10ELi2EEvPKvS2_PKiPfj15HIP_vector_typeIjLj3EEjjjjjjjjj.num_agpr, 0
	.set _ZL17mul_mat_vec_q_moeIL9ggml_type10ELi2EEvPKvS2_PKiPfj15HIP_vector_typeIjLj3EEjjjjjjjjj.numbered_sgpr, 24
	.set _ZL17mul_mat_vec_q_moeIL9ggml_type10ELi2EEvPKvS2_PKiPfj15HIP_vector_typeIjLj3EEjjjjjjjjj.num_named_barrier, 0
	.set _ZL17mul_mat_vec_q_moeIL9ggml_type10ELi2EEvPKvS2_PKiPfj15HIP_vector_typeIjLj3EEjjjjjjjjj.private_seg_size, 0
	.set _ZL17mul_mat_vec_q_moeIL9ggml_type10ELi2EEvPKvS2_PKiPfj15HIP_vector_typeIjLj3EEjjjjjjjjj.uses_vcc, 1
	.set _ZL17mul_mat_vec_q_moeIL9ggml_type10ELi2EEvPKvS2_PKiPfj15HIP_vector_typeIjLj3EEjjjjjjjjj.uses_flat_scratch, 0
	.set _ZL17mul_mat_vec_q_moeIL9ggml_type10ELi2EEvPKvS2_PKiPfj15HIP_vector_typeIjLj3EEjjjjjjjjj.has_dyn_sized_stack, 0
	.set _ZL17mul_mat_vec_q_moeIL9ggml_type10ELi2EEvPKvS2_PKiPfj15HIP_vector_typeIjLj3EEjjjjjjjjj.has_recursion, 0
	.set _ZL17mul_mat_vec_q_moeIL9ggml_type10ELi2EEvPKvS2_PKiPfj15HIP_vector_typeIjLj3EEjjjjjjjjj.has_indirect_call, 0
	.section	.AMDGPU.csdata,"",@progbits
; Kernel info:
; codeLenInByte = 1948
; TotalNumSgprs: 26
; NumVgprs: 48
; ScratchSize: 0
; MemoryBound: 0
; FloatMode: 240
; IeeeMode: 1
; LDSByteSize: 0 bytes/workgroup (compile time only)
; SGPRBlocks: 0
; VGPRBlocks: 5
; NumSGPRsForWavesPerEU: 26
; NumVGPRsForWavesPerEU: 48
; Occupancy: 16
; WaveLimiterHint : 1
; COMPUTE_PGM_RSRC2:SCRATCH_EN: 0
; COMPUTE_PGM_RSRC2:USER_SGPR: 2
; COMPUTE_PGM_RSRC2:TRAP_HANDLER: 0
; COMPUTE_PGM_RSRC2:TGID_X_EN: 1
; COMPUTE_PGM_RSRC2:TGID_Y_EN: 1
; COMPUTE_PGM_RSRC2:TGID_Z_EN: 0
; COMPUTE_PGM_RSRC2:TIDIG_COMP_CNT: 1
	.section	.text._ZL13mul_mat_vec_qIL9ggml_type10ELi1ELb1ELb1EEvPKvS2_PKi31ggml_cuda_mm_fusion_args_devicePfj15HIP_vector_typeIjLj3EEjjjS8_jjjS8_jjjj,"axG",@progbits,_ZL13mul_mat_vec_qIL9ggml_type10ELi1ELb1ELb1EEvPKvS2_PKi31ggml_cuda_mm_fusion_args_devicePfj15HIP_vector_typeIjLj3EEjjjS8_jjjS8_jjjj,comdat
	.globl	_ZL13mul_mat_vec_qIL9ggml_type10ELi1ELb1ELb1EEvPKvS2_PKi31ggml_cuda_mm_fusion_args_devicePfj15HIP_vector_typeIjLj3EEjjjS8_jjjS8_jjjj ; -- Begin function _ZL13mul_mat_vec_qIL9ggml_type10ELi1ELb1ELb1EEvPKvS2_PKi31ggml_cuda_mm_fusion_args_devicePfj15HIP_vector_typeIjLj3EEjjjS8_jjjS8_jjjj
	.p2align	8
	.type	_ZL13mul_mat_vec_qIL9ggml_type10ELi1ELb1ELb1EEvPKvS2_PKi31ggml_cuda_mm_fusion_args_devicePfj15HIP_vector_typeIjLj3EEjjjS8_jjjS8_jjjj,@function
_ZL13mul_mat_vec_qIL9ggml_type10ELi1ELb1ELb1EEvPKvS2_PKi31ggml_cuda_mm_fusion_args_devicePfj15HIP_vector_typeIjLj3EEjjjS8_jjjS8_jjjj: ; @_ZL13mul_mat_vec_qIL9ggml_type10ELi1ELb1ELb1EEvPKvS2_PKi31ggml_cuda_mm_fusion_args_devicePfj15HIP_vector_typeIjLj3EEjjjS8_jjjS8_jjjj
; %bb.0:
	s_clause 0x3
	s_load_b256 s[8:15], s[0:1], 0x0
	s_load_b128 s[16:19], s[0:1], 0x20
	s_load_b128 s[20:23], s[0:1], 0x40
	;; [unrolled: 1-line block ×3, first 2 shown]
	s_and_b32 s27, ttmp7, 0xffff
	s_wait_kmcnt 0x0
	s_cmp_lg_u64 s[12:13], 0
	s_cselect_b32 s2, -1, 0
	s_cmp_eq_u64 s[12:13], 0
	s_cbranch_scc1 .LBB97_42
; %bb.1:
	s_lshl_b32 s3, s27, 2
	s_load_b32 s28, s[12:13], s3 offset:0x0
	s_clause 0x1
	s_load_b32 s30, s[0:1], 0x50
	s_load_b32 s29, s[0:1], 0x78
	s_cbranch_execnz .LBB97_3
.LBB97_2:
	s_load_b64 s[12:13], s[0:1], 0x5c
	s_wait_kmcnt 0x0
	s_mul_hi_u32 s3, s12, s27
	s_delay_alu instid0(SALU_CYCLE_1) | instskip(NEXT) | instid1(SALU_CYCLE_1)
	s_add_co_i32 s3, s27, s3
	s_lshr_b32 s28, s3, s13
.LBB97_3:
	s_and_not1_b32 vcc_lo, exec_lo, s2
	s_mov_b32 s3, s27
	s_mov_b32 s31, s27
	s_cbranch_vccnz .LBB97_5
; %bb.4:
	s_mul_hi_u32 s2, s21, s27
	s_wait_kmcnt 0x0
	s_mov_b32 s3, s28
	s_add_co_i32 s2, s27, s2
	s_delay_alu instid0(SALU_CYCLE_1) | instskip(NEXT) | instid1(SALU_CYCLE_1)
	s_lshr_b32 s2, s2, s22
	s_mul_i32 s2, s2, s23
	s_delay_alu instid0(SALU_CYCLE_1)
	s_sub_co_i32 s31, s27, s2
.LBB97_5:
	s_load_b96 s[24:26], s[0:1], 0x80
	v_bfe_u32 v8, v0, 10, 10
	v_dual_mov_b32 v4, 0 :: v_dual_and_b32 v3, 0x3ff, v0
	s_lshr_b32 s21, ttmp7, 16
	s_cmp_lg_u64 s[14:15], 0
	s_delay_alu instid0(VALU_DEP_1) | instskip(SKIP_4) | instid1(VALU_DEP_1)
	v_dual_mov_b32 v5, 0 :: v_dual_lshlrev_b32 v2, 2, v3
	v_or_b32_e32 v0, v3, v8
	s_cselect_b32 s2, -1, 0
	s_mov_b32 s23, 0
	s_mul_i32 s12, s3, s6
	v_cmp_eq_u32_e32 vcc_lo, 0, v0
	s_and_b32 s13, s2, vcc_lo
	s_delay_alu instid0(SALU_CYCLE_1)
	s_and_saveexec_b32 s3, s13
	s_cbranch_execz .LBB97_7
; %bb.6:
	s_wait_kmcnt 0x0
	s_mul_i32 s22, s26, s21
	s_mov_b32 s13, s23
	s_lshl_b64 s[36:37], s[22:23], 2
	s_mov_b32 s34, ttmp9
	s_add_nc_u64 s[14:15], s[14:15], s[36:37]
	s_lshl_b64 s[22:23], s[12:13], 2
	s_ashr_i32 s35, ttmp9, 31
	s_add_nc_u64 s[14:15], s[14:15], s[22:23]
	s_lshl_b64 s[22:23], s[34:35], 2
	s_delay_alu instid0(SALU_CYCLE_1)
	s_add_nc_u64 s[14:15], s[14:15], s[22:23]
	global_load_b32 v5, v2, s[14:15]
.LBB97_7:
	s_or_b32 exec_lo, exec_lo, s3
	s_cmp_lg_u64 s[16:17], 0
	s_cselect_b32 s14, -1, 0
	s_cmp_lg_u64 s[18:19], 0
	s_cselect_b32 s3, -1, 0
	s_delay_alu instid0(SALU_CYCLE_1) | instskip(NEXT) | instid1(SALU_CYCLE_1)
	s_and_b32 s13, s3, s14
	s_and_b32 s13, s13, vcc_lo
	s_delay_alu instid0(SALU_CYCLE_1)
	s_and_saveexec_b32 s15, s13
	s_cbranch_execz .LBB97_9
; %bb.8:
	s_wait_kmcnt 0x0
	s_mul_i32 s34, s26, s21
	s_mov_b32 s35, 0
	s_mov_b32 s22, ttmp9
	s_lshl_b64 s[36:37], s[34:35], 2
	s_mov_b32 s13, s35
	s_add_nc_u64 s[18:19], s[18:19], s[36:37]
	s_lshl_b64 s[12:13], s[12:13], 2
	s_ashr_i32 s23, ttmp9, 31
	s_add_nc_u64 s[12:13], s[18:19], s[12:13]
	s_lshl_b64 s[18:19], s[22:23], 2
	s_delay_alu instid0(SALU_CYCLE_1)
	s_add_nc_u64 s[12:13], s[12:13], s[18:19]
	global_load_b32 v4, v2, s[12:13]
.LBB97_9:
	s_or_b32 exec_lo, exec_lo, s15
	v_lshl_add_u32 v0, v8, 5, v3
	v_mov_b32_e32 v9, 0
	v_cndmask_b32_e64 v6, 0, 1, s14
	v_mov_b32_e32 v7, 0
	s_lshr_b32 s15, s20, 8
	v_lshrrev_b32_e32 v10, 4, v0
	s_mov_b32 s18, exec_lo
	s_wait_alu 0xfffe
	s_delay_alu instid0(VALU_DEP_1)
	v_cmpx_gt_u32_e64 s15, v10
	s_cbranch_execz .LBB97_15
; %bb.10:
	v_bfe_u32 v7, v3, 3, 1
	v_lshrrev_b32_e32 v9, 4, v0
	s_mul_hi_u32 s7, s7, s21
	s_wait_kmcnt 0x0
	s_mul_i32 s19, s28, s4
	s_add_co_i32 s7, s21, s7
	v_mul_hi_u32_u24_e32 v1, 0x90, v7
	v_mul_u32_u24_e32 v0, 0x90, v7
	s_lshr_b32 s4, s7, s29
	s_mul_i32 s12, s25, s21
	s_mov_b32 s13, 0
	s_mul_i32 s7, s4, s24
	v_mad_co_u64_u32 v[0:1], null, 0x120, v9, v[0:1]
	s_mul_i32 s4, s31, s5
	s_mov_b32 s5, s13
	s_mul_u64 s[22:23], s[12:13], 36
	s_mul_u64 s[4:5], s[4:5], 36
	s_add_nc_u64 s[10:11], s[10:11], s[22:23]
	v_and_b32_e32 v13, 15, v3
	v_and_b32_e32 v7, 7, v3
	v_bfe_u32 v11, v3, 2, 1
	s_add_nc_u64 s[4:5], s[10:11], s[4:5]
	s_mul_i32 s30, s30, ttmp9
	v_add_co_u32 v0, vcc_lo, s4, v0
	v_dual_mov_b32 v9, 0 :: v_dual_lshlrev_b32 v12, 2, v7
	v_and_or_b32 v11, v3, 8, v11
	v_add_co_ci_u32_e64 v1, null, s5, v1, vcc_lo
	v_lshlrev_b32_e32 v13, 2, v13
	v_mov_b32_e32 v7, 0
	s_add_co_i32 s7, s7, s30
	s_delay_alu instid0(SALU_CYCLE_1)
	s_add_co_i32 s5, s19, s7
	s_branch .LBB97_12
.LBB97_11:                              ;   in Loop: Header=BB97_12 Depth=1
	s_wait_loadcnt 0x3
	v_bfe_u32 v29, v27, 4, 4
	v_and_b32_e32 v28, 0x3030303, v25
	v_lshrrev_b32_e32 v30, 2, v25
	v_lshrrev_b32_e32 v32, 4, v25
	;; [unrolled: 1-line block ×3, first 2 shown]
	v_mul_lo_u32 v29, 0x1010101, v29
	v_dot4_i32_iu8 v28, v28, v22, 0 neg_lo:[1,1,0]
	v_add_nc_u32_e32 v10, 16, v10
	v_add_co_u32 v0, s4, 0x1200, v0
	s_wait_alu 0xf1ff
	v_add_co_ci_u32_e64 v1, null, 0, v1, s4
	s_delay_alu instid0(VALU_DEP_3) | instskip(SKIP_4) | instid1(VALU_DEP_3)
	v_cmp_le_u32_e32 vcc_lo, s15, v10
	v_dot4_i32_iu8 v22, v29, v22, 0 neg_lo:[1,1,0]
	v_and_b32_e32 v29, 0x3030303, v30
	v_and_b32_e32 v30, 0x3030303, v32
	s_or_b32 s13, vcc_lo, s13
	v_cvt_f32_i32_e32 v22, v22
	s_delay_alu instid0(VALU_DEP_3) | instskip(NEXT) | instid1(VALU_DEP_3)
	v_dot4_i32_iu8 v29, v29, v19, 0 neg_lo:[1,1,0]
	v_dot4_i32_iu8 v30, v30, v16, 0 neg_lo:[1,1,0]
	s_delay_alu instid0(VALU_DEP_3) | instskip(SKIP_3) | instid1(VALU_DEP_1)
	v_fma_f32 v22, v24, v22, 0
	s_wait_loadcnt 0x2
	v_and_b32_e32 v31, 15, v26
	v_bfe_u32 v26, v26, 4, 4
	v_mul_lo_u32 v26, 0x1010101, v26
	s_delay_alu instid0(VALU_DEP_1) | instskip(NEXT) | instid1(VALU_DEP_1)
	v_dot4_i32_iu8 v19, v26, v19, 0 neg_lo:[1,1,0]
	v_cvt_f32_i32_e32 v19, v19
	s_delay_alu instid0(VALU_DEP_1) | instskip(SKIP_1) | instid1(VALU_DEP_1)
	v_fmac_f32_e32 v22, v20, v19
	v_and_b32_e32 v27, 15, v27
	v_mul_lo_u32 v27, v27, v28
	s_wait_loadcnt 0x1
	v_bfe_u32 v28, v23, 4, 4
	s_delay_alu instid0(VALU_DEP_1) | instskip(NEXT) | instid1(VALU_DEP_3)
	v_mul_lo_u32 v28, 0x1010101, v28
	v_cvt_f32_i32_e32 v27, v27
	s_delay_alu instid0(VALU_DEP_1) | instskip(SKIP_1) | instid1(VALU_DEP_4)
	v_fma_f32 v26, v24, v27, 0
	v_mul_lo_u32 v27, v31, v29
	v_dot4_i32_iu8 v16, v28, v16, 0 neg_lo:[1,1,0]
	s_wait_loadcnt 0x0
	v_bfe_u32 v24, v21, 4, 4
	s_delay_alu instid0(VALU_DEP_2) | instskip(NEXT) | instid1(VALU_DEP_2)
	v_cvt_f32_i32_e32 v16, v16
	v_mul_lo_u32 v24, 0x1010101, v24
	v_cvt_f32_i32_e32 v27, v27
	s_delay_alu instid0(VALU_DEP_3) | instskip(NEXT) | instid1(VALU_DEP_2)
	v_dual_fmac_f32 v22, v18, v16 :: v_dual_and_b32 v25, 0x3030303, v25
	v_fmac_f32_e32 v26, v20, v27
	v_and_b32_e32 v23, 15, v23
	v_lshrrev_b32_e32 v16, 16, v14
	s_delay_alu instid0(VALU_DEP_4) | instskip(SKIP_1) | instid1(VALU_DEP_4)
	v_dot4_i32_iu8 v25, v25, v15, 0 neg_lo:[1,1,0]
	v_dot4_i32_iu8 v15, v24, v15, 0 neg_lo:[1,1,0]
	v_mul_lo_u32 v23, v23, v30
	s_delay_alu instid0(VALU_DEP_2) | instskip(NEXT) | instid1(VALU_DEP_2)
	v_cvt_f32_i32_e32 v15, v15
	v_cvt_f32_i32_e32 v20, v23
	s_delay_alu instid0(VALU_DEP_2) | instskip(SKIP_1) | instid1(VALU_DEP_3)
	v_fmac_f32_e32 v22, v17, v15
	v_cvt_f32_f16_e32 v15, v16
	v_dual_fmac_f32 v26, v18, v20 :: v_dual_and_b32 v21, 15, v21
	s_delay_alu instid0(VALU_DEP_2) | instskip(NEXT) | instid1(VALU_DEP_2)
	v_mul_f32_e32 v15, v22, v15
	v_mul_lo_u32 v19, v21, v25
	s_delay_alu instid0(VALU_DEP_1) | instskip(NEXT) | instid1(VALU_DEP_1)
	v_cvt_f32_i32_e32 v18, v19
	v_fmac_f32_e32 v26, v17, v18
	s_delay_alu instid0(VALU_DEP_1) | instskip(NEXT) | instid1(VALU_DEP_1)
	v_fma_mix_f32 v14, v26, v14, -v15 op_sel_hi:[0,1,0]
	v_add_f32_e32 v9, v9, v14
	s_and_not1_b32 exec_lo, exec_lo, s13
	s_cbranch_execz .LBB97_14
.LBB97_12:                              ; =>This Inner Loop Header: Depth=1
	s_wait_alu 0xfffe
	v_add_nc_u32_e32 v28, s5, v10
	v_add_co_u32 v14, vcc_lo, v0, v12
	s_wait_alu 0xfffd
	v_add_co_ci_u32_e64 v15, null, 0, v1, vcc_lo
	s_delay_alu instid0(VALU_DEP_3)
	v_mad_co_i64_i32 v[17:18], null, 0x54, v28, s[8:9]
	s_clause 0x3
	global_load_b32 v22, v[14:15], off offset:4
	global_load_b32 v19, v[14:15], off offset:40
	;; [unrolled: 1-line block ×4, first 2 shown]
	v_add_co_u32 v20, vcc_lo, v17, v13
	s_wait_alu 0xfffd
	v_add_co_ci_u32_e64 v21, null, 0, v18, vcc_lo
	v_add_co_u32 v29, vcc_lo, v17, v11
	s_wait_alu 0xfffd
	v_add_co_ci_u32_e64 v30, null, 0, v18, vcc_lo
	s_clause 0x3
	global_load_b32 v24, v[0:1], off
	global_load_b32 v31, v[0:1], off offset:36
	global_load_b32 v32, v[0:1], off offset:72
	;; [unrolled: 1-line block ×3, first 2 shown]
	s_clause 0x5
	global_load_b32 v25, v[20:21], off offset:16
	global_load_b32 v14, v[17:18], off offset:80
	global_load_u8 v27, v[29:30], off
	global_load_u8 v26, v[29:30], off offset:2
	global_load_u8 v23, v[29:30], off offset:4
	;; [unrolled: 1-line block ×3, first 2 shown]
	s_and_not1_b32 vcc_lo, exec_lo, s14
	s_wait_loadcnt 0x9
	v_cvt_f32_f16_e32 v24, v24
	s_wait_loadcnt 0x8
	v_cvt_f32_f16_e32 v20, v31
	;; [unrolled: 2-line block ×4, first 2 shown]
	s_wait_alu 0xfffe
	s_cbranch_vccnz .LBB97_11
; %bb.13:                               ;   in Loop: Header=BB97_12 Depth=1
	v_mad_co_i64_i32 v[28:29], null, 0x54, v28, s[16:17]
	s_delay_alu instid0(VALU_DEP_1) | instskip(SKIP_1) | instid1(VALU_DEP_2)
	v_add_co_u32 v30, vcc_lo, v28, v13
	s_wait_alu 0xfffd
	v_add_co_ci_u32_e64 v31, null, 0, v29, vcc_lo
	v_add_co_u32 v32, vcc_lo, v28, v11
	s_wait_alu 0xfffd
	v_add_co_ci_u32_e64 v33, null, 0, v29, vcc_lo
	s_clause 0x5
	global_load_b32 v30, v[30:31], off offset:16
	global_load_u8 v31, v[32:33], off
	global_load_u8 v34, v[32:33], off offset:2
	global_load_u8 v35, v[32:33], off offset:4
	;; [unrolled: 1-line block ×3, first 2 shown]
	global_load_b32 v28, v[28:29], off offset:80
	s_wait_loadcnt 0x5
	v_lshrrev_b32_e32 v38, 4, v30
	s_wait_loadcnt 0x4
	v_and_b32_e32 v33, 15, v31
	v_lshrrev_b32_e32 v31, 4, v31
	s_wait_loadcnt 0x3
	v_and_b32_e32 v37, 15, v34
	;; [unrolled: 3-line block ×3, first 2 shown]
	v_lshrrev_b32_e32 v35, 4, v35
	v_mul_lo_u32 v31, 0x1010101, v31
	v_lshrrev_b32_e32 v36, 2, v30
	v_mul_lo_u32 v34, 0x1010101, v34
	s_delay_alu instid0(VALU_DEP_4) | instskip(NEXT) | instid1(VALU_DEP_4)
	v_mul_lo_u32 v35, 0x1010101, v35
	v_dot4_i32_iu8 v31, v31, v22, 0 neg_lo:[1,1,0]
	s_delay_alu instid0(VALU_DEP_3) | instskip(NEXT) | instid1(VALU_DEP_3)
	v_dot4_i32_iu8 v34, v34, v19, 0 neg_lo:[1,1,0]
	v_dot4_i32_iu8 v35, v35, v16, 0 neg_lo:[1,1,0]
	s_delay_alu instid0(VALU_DEP_3) | instskip(NEXT) | instid1(VALU_DEP_3)
	v_cvt_f32_i32_e32 v31, v31
	v_cvt_f32_i32_e32 v34, v34
	s_delay_alu instid0(VALU_DEP_3) | instskip(NEXT) | instid1(VALU_DEP_3)
	v_cvt_f32_i32_e32 v35, v35
	v_fma_f32 v31, v24, v31, 0
	s_wait_loadcnt 0x1
	v_and_b32_e32 v40, 15, v32
	v_lshrrev_b32_e32 v32, 4, v32
	s_delay_alu instid0(VALU_DEP_3) | instskip(SKIP_1) | instid1(VALU_DEP_3)
	v_fmac_f32_e32 v31, v20, v34
	v_and_b32_e32 v38, 0x3030303, v38
	v_mul_lo_u32 v32, 0x1010101, v32
	s_delay_alu instid0(VALU_DEP_3) | instskip(NEXT) | instid1(VALU_DEP_2)
	v_fmac_f32_e32 v31, v18, v35
	v_dot4_i32_iu8 v32, v32, v15, 0 neg_lo:[1,1,0]
	s_delay_alu instid0(VALU_DEP_1) | instskip(NEXT) | instid1(VALU_DEP_1)
	v_cvt_f32_i32_e32 v32, v32
	v_fmac_f32_e32 v31, v17, v32
	v_and_b32_e32 v29, 0x3030303, v30
	v_lshrrev_b32_e32 v30, 6, v30
	s_delay_alu instid0(VALU_DEP_2) | instskip(NEXT) | instid1(VALU_DEP_2)
	v_dot4_i32_iu8 v29, v29, v22, 0 neg_lo:[1,1,0]
	v_and_b32_e32 v30, 0x3030303, v30
	s_delay_alu instid0(VALU_DEP_2) | instskip(NEXT) | instid1(VALU_DEP_2)
	v_mul_lo_u32 v29, v33, v29
	v_dot4_i32_iu8 v30, v30, v15, 0 neg_lo:[1,1,0]
	s_delay_alu instid0(VALU_DEP_1) | instskip(NEXT) | instid1(VALU_DEP_3)
	v_mul_lo_u32 v30, v40, v30
	v_cvt_f32_i32_e32 v29, v29
	s_delay_alu instid0(VALU_DEP_1) | instskip(SKIP_1) | instid1(VALU_DEP_4)
	v_fma_f32 v29, v24, v29, 0
	v_and_b32_e32 v36, 0x3030303, v36
	v_cvt_f32_i32_e32 v30, v30
	s_delay_alu instid0(VALU_DEP_2) | instskip(SKIP_1) | instid1(VALU_DEP_2)
	v_dot4_i32_iu8 v33, v36, v19, 0 neg_lo:[1,1,0]
	v_dot4_i32_iu8 v36, v38, v16, 0 neg_lo:[1,1,0]
	v_mul_lo_u32 v33, v37, v33
	s_delay_alu instid0(VALU_DEP_2) | instskip(NEXT) | instid1(VALU_DEP_2)
	v_mul_lo_u32 v36, v39, v36
	v_cvt_f32_i32_e32 v33, v33
	s_delay_alu instid0(VALU_DEP_2) | instskip(NEXT) | instid1(VALU_DEP_2)
	v_cvt_f32_i32_e32 v34, v36
	v_fmac_f32_e32 v29, v20, v33
	s_wait_loadcnt 0x0
	v_lshrrev_b32_e32 v33, 16, v28
	s_delay_alu instid0(VALU_DEP_2) | instskip(NEXT) | instid1(VALU_DEP_2)
	v_fmac_f32_e32 v29, v18, v34
	v_cvt_f32_f16_e32 v32, v33
	s_delay_alu instid0(VALU_DEP_1) | instskip(NEXT) | instid1(VALU_DEP_1)
	v_dual_fmac_f32 v29, v17, v30 :: v_dual_mul_f32 v30, v31, v32
	v_fma_mix_f32 v28, v29, v28, -v30 op_sel_hi:[0,1,0]
	s_delay_alu instid0(VALU_DEP_1)
	v_add_f32_e32 v7, v7, v28
	s_branch .LBB97_11
.LBB97_14:
	s_or_b32 exec_lo, exec_lo, s13
.LBB97_15:
	s_delay_alu instid0(SALU_CYCLE_1)
	s_or_b32 exec_lo, exec_lo, s18
	s_load_b32 s5, s[0:1], 0x30
	v_cmp_eq_u32_e64 s4, 0, v8
	s_mov_b32 s7, exec_lo
	v_cmpx_ne_u32_e32 0, v8
	s_cbranch_execz .LBB97_19
; %bb.16:
	v_add_nc_u32_e32 v0, -1, v8
	s_and_b32 vcc_lo, exec_lo, s14
	s_delay_alu instid0(VALU_DEP_1)
	v_lshlrev_b32_e32 v0, 7, v0
	s_wait_alu 0xfffe
	s_cbranch_vccz .LBB97_18
; %bb.17:
	s_delay_alu instid0(VALU_DEP_1)
	v_lshl_add_u32 v1, v3, 2, v0
	ds_store_b32 v1, v7 offset:896
.LBB97_18:
	s_delay_alu instid0(VALU_DEP_1)
	v_lshl_add_u32 v0, v3, 2, v0
	ds_store_b32 v0, v9
.LBB97_19:
	s_or_b32 exec_lo, exec_lo, s7
	s_wait_loadcnt_dscnt 0x0
	s_barrier_signal -1
	s_barrier_wait -1
	global_inv scope:SCOPE_SE
	s_and_saveexec_b32 s7, s4
	s_cbranch_execz .LBB97_61
; %bb.20:
	ds_load_b32 v0, v2
	v_cmp_ne_u32_e32 vcc_lo, 1, v6
	v_add_nc_u32_e32 v1, 0x380, v2
	s_cbranch_vccnz .LBB97_22
; %bb.21:
	ds_load_b32 v8, v1
	s_wait_dscnt 0x0
	v_add_f32_e32 v7, v7, v8
.LBB97_22:
	ds_load_b32 v8, v2 offset:128
	v_cmp_ne_u32_e32 vcc_lo, 1, v6
	s_cbranch_vccnz .LBB97_24
; %bb.23:
	ds_load_b32 v10, v1 offset:128
	s_wait_dscnt 0x0
	v_add_f32_e32 v7, v7, v10
.LBB97_24:
	ds_load_b32 v10, v2 offset:256
	v_cmp_ne_u32_e32 vcc_lo, 1, v6
	s_cbranch_vccnz .LBB97_26
; %bb.25:
	ds_load_b32 v11, v1 offset:256
	s_wait_dscnt 0x0
	v_add_f32_e32 v7, v7, v11
.LBB97_26:
	;; [unrolled: 8-line block ×6, first 2 shown]
	s_wait_dscnt 0x6
	v_add_f32_e32 v0, v9, v0
	v_mbcnt_lo_u32_b32 v1, -1, 0
	s_delay_alu instid0(VALU_DEP_1) | instskip(SKIP_1) | instid1(VALU_DEP_3)
	v_xor_b32_e32 v9, 8, v1
	s_wait_dscnt 0x5
	v_add_f32_e32 v0, v0, v8
	v_xor_b32_e32 v8, 16, v1
	s_delay_alu instid0(VALU_DEP_1)
	v_cmp_gt_i32_e32 vcc_lo, 32, v8
	s_wait_alu 0xfffd
	v_cndmask_b32_e32 v8, v1, v8, vcc_lo
	v_cmp_gt_i32_e32 vcc_lo, 32, v9
	s_wait_dscnt 0x4
	s_wait_alu 0xfffd
	v_dual_cndmask_b32 v9, v1, v9 :: v_dual_add_f32 v0, v0, v10
	s_wait_dscnt 0x3
	s_delay_alu instid0(VALU_DEP_1) | instskip(SKIP_1) | instid1(VALU_DEP_1)
	v_dual_add_f32 v0, v0, v11 :: v_dual_lshlrev_b32 v9, 2, v9
	s_wait_dscnt 0x2
	v_add_f32_e32 v0, v0, v12
	s_wait_dscnt 0x1
	s_delay_alu instid0(VALU_DEP_1) | instskip(SKIP_1) | instid1(VALU_DEP_1)
	v_add_f32_e32 v0, v0, v13
	s_wait_dscnt 0x0
	v_add_f32_e32 v10, v0, v14
	v_lshlrev_b32_e32 v0, 2, v8
	ds_bpermute_b32 v8, v0, v10
	s_wait_dscnt 0x0
	v_add_f32_e32 v8, v10, v8
	v_xor_b32_e32 v10, 4, v1
	ds_bpermute_b32 v11, v9, v8
	v_cmp_gt_i32_e32 vcc_lo, 32, v10
	s_wait_alu 0xfffd
	v_cndmask_b32_e32 v10, v1, v10, vcc_lo
	s_delay_alu instid0(VALU_DEP_1)
	v_lshlrev_b32_e32 v10, 2, v10
	s_wait_dscnt 0x0
	v_add_f32_e32 v8, v8, v11
	v_xor_b32_e32 v11, 2, v1
	ds_bpermute_b32 v12, v10, v8
	v_cmp_gt_i32_e32 vcc_lo, 32, v11
	s_wait_alu 0xfffd
	v_cndmask_b32_e32 v11, v1, v11, vcc_lo
	s_wait_dscnt 0x0
	s_delay_alu instid0(VALU_DEP_1)
	v_dual_add_f32 v8, v8, v12 :: v_dual_lshlrev_b32 v11, 2, v11
	v_xor_b32_e32 v12, 1, v1
	ds_bpermute_b32 v13, v11, v8
	v_cmp_gt_i32_e32 vcc_lo, 32, v12
	s_wait_alu 0xfffd
	v_cndmask_b32_e32 v1, v1, v12, vcc_lo
	v_cmp_ne_u32_e32 vcc_lo, 1, v6
	s_delay_alu instid0(VALU_DEP_2)
	v_lshlrev_b32_e32 v12, 2, v1
	s_wait_dscnt 0x0
	v_add_f32_e32 v1, v8, v13
	ds_bpermute_b32 v8, v12, v1
	s_cbranch_vccnz .LBB97_36
; %bb.35:
	ds_bpermute_b32 v0, v0, v7
	s_wait_dscnt 0x0
	v_add_f32_e32 v0, v7, v0
	ds_bpermute_b32 v7, v9, v0
	s_wait_dscnt 0x0
	v_add_f32_e32 v0, v0, v7
	;; [unrolled: 3-line block ×5, first 2 shown]
.LBB97_36:
	v_cmp_eq_u32_e32 vcc_lo, 0, v3
	s_and_b32 exec_lo, exec_lo, vcc_lo
	s_cbranch_execz .LBB97_61
; %bb.37:
	s_wait_dscnt 0x0
	v_add_f32_e32 v0, v1, v8
	v_cmp_ne_u32_e32 vcc_lo, 1, v6
	s_delay_alu instid0(VALU_DEP_2) | instskip(NEXT) | instid1(VALU_DEP_1)
	v_add_f32_e32 v1, v5, v0
	v_cndmask_b32_e64 v0, v0, v1, s2
	s_cbranch_vccnz .LBB97_60
; %bb.38:
	v_add_f32_e32 v1, v4, v7
	s_wait_kmcnt 0x0
	s_cmp_lt_i32 s5, 2
	s_mov_b32 s2, 0
	s_delay_alu instid0(VALU_DEP_1)
	v_cndmask_b32_e64 v1, v7, v1, s3
	s_cbranch_scc1 .LBB97_43
; %bb.39:
	s_cmp_gt_i32 s5, 2
	s_cbranch_scc0 .LBB97_44
; %bb.40:
	s_cmp_eq_u32 s5, 3
	s_cbranch_scc0 .LBB97_45
; %bb.41:
	v_max_num_f32_e32 v3, v1, v1
	s_mov_b32 s3, 0xc0e00000
	s_delay_alu instid0(VALU_DEP_1) | instskip(NEXT) | instid1(VALU_DEP_1)
	v_min_num_f32_e32 v3, 0x40e00000, v3
	v_mul_f32_e32 v4, 0xbfd9db23, v3
	s_delay_alu instid0(VALU_DEP_1) | instskip(NEXT) | instid1(VALU_DEP_1)
	v_mul_f32_e32 v5, 0x3fb8aa3b, v4
	v_fma_f32 v6, 0x3fb8aa3b, v4, -v5
	v_rndne_f32_e32 v7, v5
	s_delay_alu instid0(VALU_DEP_1) | instskip(NEXT) | instid1(VALU_DEP_1)
	v_dual_fmamk_f32 v6, v4, 0x32a5705f, v6 :: v_dual_sub_f32 v5, v5, v7
	v_add_f32_e32 v5, v5, v6
	v_cvt_i32_f32_e32 v6, v7
	v_cmp_ngt_f32_e32 vcc_lo, 0xc2ce8ed0, v4
	s_delay_alu instid0(VALU_DEP_3) | instskip(NEXT) | instid1(TRANS32_DEP_1)
	v_exp_f32_e32 v5, v5
	v_ldexp_f32 v5, v5, v6
	s_wait_alu 0xfffd
	s_delay_alu instid0(VALU_DEP_1) | instskip(SKIP_2) | instid1(VALU_DEP_2)
	v_cndmask_b32_e32 v5, 0, v5, vcc_lo
	v_cmp_nlt_f32_e32 vcc_lo, 0x42b17218, v4
	s_wait_alu 0xfffd
	v_cndmask_b32_e32 v4, 0x7f800000, v5, vcc_lo
	s_delay_alu instid0(VALU_DEP_1) | instskip(NEXT) | instid1(VALU_DEP_1)
	v_add_f32_e32 v4, 1.0, v4
	v_div_scale_f32 v5, null, v4, v4, v3
	v_div_scale_f32 v8, vcc_lo, v3, v4, v3
	s_delay_alu instid0(VALU_DEP_2) | instskip(NEXT) | instid1(TRANS32_DEP_1)
	v_rcp_f32_e32 v6, v5
	v_fma_f32 v7, -v5, v6, 1.0
	s_delay_alu instid0(VALU_DEP_1) | instskip(NEXT) | instid1(VALU_DEP_1)
	v_fmac_f32_e32 v6, v7, v6
	v_mul_f32_e32 v7, v8, v6
	s_delay_alu instid0(VALU_DEP_1) | instskip(NEXT) | instid1(VALU_DEP_1)
	v_fma_f32 v9, -v5, v7, v8
	v_fmac_f32_e32 v7, v9, v6
	s_delay_alu instid0(VALU_DEP_1) | instskip(SKIP_2) | instid1(VALU_DEP_2)
	v_fma_f32 v5, -v5, v7, v8
	v_max_num_f32_e32 v8, v0, v0
	s_wait_alu 0xfffd
	v_div_fmas_f32 v5, v5, v6, v7
	s_wait_alu 0xfffe
	s_delay_alu instid0(VALU_DEP_2) | instskip(SKIP_1) | instid1(VALU_DEP_2)
	v_minmax_num_f32 v6, v8, 0x40e00000, s3
	s_mov_b32 s3, 0
	v_div_fixup_f32 v3, v5, v4, v3
	s_delay_alu instid0(VALU_DEP_2) | instskip(NEXT) | instid1(VALU_DEP_1)
	v_add_f32_e32 v4, 1.0, v6
	v_mul_f32_e32 v3, v4, v3
	s_branch .LBB97_46
.LBB97_42:
                                        ; implicit-def: $sgpr28
	s_clause 0x1
	s_load_b32 s30, s[0:1], 0x50
	s_load_b32 s29, s[0:1], 0x78
	s_branch .LBB97_2
.LBB97_43:
	s_mov_b32 s3, 0
                                        ; implicit-def: $vgpr3
	s_cbranch_execnz .LBB97_50
	s_branch .LBB97_51
.LBB97_44:
	s_mov_b32 s4, -1
	s_mov_b32 s3, 0
                                        ; implicit-def: $vgpr3
	s_branch .LBB97_47
.LBB97_45:
	s_mov_b32 s3, -1
                                        ; implicit-def: $vgpr3
.LBB97_46:
	s_mov_b32 s4, 0
.LBB97_47:
	s_wait_alu 0xfffe
	s_and_b32 vcc_lo, exec_lo, s4
	s_wait_alu 0xfffe
	s_cbranch_vccz .LBB97_49
; %bb.48:
	v_mul_f32_e32 v3, 0xbfb8aa3b, v1
	v_cmp_nlt_f32_e32 vcc_lo, 0x42ce8ed0, v1
	s_delay_alu instid0(VALU_DEP_2) | instskip(SKIP_1) | instid1(VALU_DEP_2)
	v_rndne_f32_e32 v4, v3
	v_fma_f32 v5, 0xbfb8aa3b, v1, -v3
	v_sub_f32_e32 v3, v3, v4
	s_delay_alu instid0(VALU_DEP_2) | instskip(SKIP_1) | instid1(VALU_DEP_2)
	v_fmamk_f32 v5, v1, 0xb2a5705f, v5
	v_cvt_i32_f32_e32 v4, v4
	v_add_f32_e32 v3, v3, v5
	s_delay_alu instid0(VALU_DEP_1) | instskip(NEXT) | instid1(TRANS32_DEP_1)
	v_exp_f32_e32 v3, v3
	v_ldexp_f32 v3, v3, v4
	s_wait_alu 0xfffd
	s_delay_alu instid0(VALU_DEP_1) | instskip(SKIP_2) | instid1(VALU_DEP_2)
	v_cndmask_b32_e32 v3, 0, v3, vcc_lo
	v_cmp_ngt_f32_e32 vcc_lo, 0xc2b17218, v1
	s_wait_alu 0xfffd
	v_cndmask_b32_e32 v3, 0x7f800000, v3, vcc_lo
	s_delay_alu instid0(VALU_DEP_1) | instskip(NEXT) | instid1(VALU_DEP_1)
	v_add_f32_e32 v3, 1.0, v3
	v_div_scale_f32 v4, null, v3, v3, v1
	s_delay_alu instid0(VALU_DEP_1) | instskip(NEXT) | instid1(TRANS32_DEP_1)
	v_rcp_f32_e32 v5, v4
	v_fma_f32 v6, -v4, v5, 1.0
	s_delay_alu instid0(VALU_DEP_1) | instskip(SKIP_1) | instid1(VALU_DEP_1)
	v_fmac_f32_e32 v5, v6, v5
	v_div_scale_f32 v6, vcc_lo, v1, v3, v1
	v_mul_f32_e32 v7, v6, v5
	s_delay_alu instid0(VALU_DEP_1) | instskip(NEXT) | instid1(VALU_DEP_1)
	v_fma_f32 v8, -v4, v7, v6
	v_fmac_f32_e32 v7, v8, v5
	s_delay_alu instid0(VALU_DEP_1) | instskip(SKIP_1) | instid1(VALU_DEP_1)
	v_fma_f32 v4, -v4, v7, v6
	s_wait_alu 0xfffd
	v_div_fmas_f32 v4, v4, v5, v7
	s_delay_alu instid0(VALU_DEP_1) | instskip(NEXT) | instid1(VALU_DEP_1)
	v_div_fixup_f32 v3, v4, v3, v1
	v_mul_f32_e32 v3, v0, v3
.LBB97_49:
	s_branch .LBB97_51
.LBB97_50:
	s_cmp_lg_u32 s5, 1
	s_mov_b32 s2, -1
	s_cselect_b32 s3, -1, 0
.LBB97_51:
	s_wait_alu 0xfffe
	s_and_not1_b32 vcc_lo, exec_lo, s3
	s_wait_alu 0xfffe
	s_cbranch_vccz .LBB97_53
; %bb.52:
	s_and_not1_b32 vcc_lo, exec_lo, s2
	s_wait_alu 0xfffe
	s_cbranch_vccz .LBB97_54
	s_branch .LBB97_59
.LBB97_53:
	v_mul_f32_e32 v3, v1, v0
	s_cbranch_execnz .LBB97_59
.LBB97_54:
	v_mul_f32_e32 v3, 0x3d372713, v1
	v_mul_f32_e32 v4, 0x3f4c422a, v1
	s_delay_alu instid0(VALU_DEP_2) | instskip(NEXT) | instid1(VALU_DEP_1)
	v_fma_f32 v3, v1, v3, 1.0
	v_mul_f32_e32 v3, v4, v3
                                        ; implicit-def: $vgpr4
	s_delay_alu instid0(VALU_DEP_1)
	v_cmp_ngt_f32_e64 s2, 0x3f200000, |v3|
	s_and_saveexec_b32 s3, s2
	s_wait_alu 0xfffe
	s_xor_b32 s2, exec_lo, s3
	s_cbranch_execz .LBB97_56
; %bb.55:
	v_add_f32_e64 v4, |v3|, |v3|
	s_delay_alu instid0(VALU_DEP_1) | instskip(SKIP_1) | instid1(VALU_DEP_2)
	v_mul_f32_e32 v5, 0x3fb8aa3b, v4
	v_cmp_ngt_f32_e32 vcc_lo, 0xc2ce8ed0, v4
	v_rndne_f32_e32 v6, v5
	v_fma_f32 v7, 0x3fb8aa3b, v4, -v5
	s_delay_alu instid0(VALU_DEP_2) | instskip(NEXT) | instid1(VALU_DEP_2)
	v_sub_f32_e32 v5, v5, v6
	v_fmamk_f32 v7, v4, 0x32a5705f, v7
	v_cvt_i32_f32_e32 v6, v6
	s_delay_alu instid0(VALU_DEP_2) | instskip(NEXT) | instid1(VALU_DEP_1)
	v_add_f32_e32 v5, v5, v7
	v_exp_f32_e32 v5, v5
	s_delay_alu instid0(TRANS32_DEP_1) | instskip(SKIP_1) | instid1(VALU_DEP_1)
	v_ldexp_f32 v5, v5, v6
	s_wait_alu 0xfffd
	v_cndmask_b32_e32 v5, 0, v5, vcc_lo
	v_cmp_nlt_f32_e32 vcc_lo, 0x42b17218, v4
	s_wait_alu 0xfffd
	s_delay_alu instid0(VALU_DEP_2) | instskip(NEXT) | instid1(VALU_DEP_1)
	v_cndmask_b32_e32 v4, 0x7f800000, v5, vcc_lo
	v_add_f32_e32 v4, 1.0, v4
	s_delay_alu instid0(VALU_DEP_1) | instskip(NEXT) | instid1(TRANS32_DEP_1)
	v_rcp_f32_e32 v4, v4
	v_fma_f32 v4, v4, -2.0, 1.0
.LBB97_56:
	s_wait_alu 0xfffe
	s_and_not1_saveexec_b32 s2, s2
	s_cbranch_execz .LBB97_58
; %bb.57:
	v_mul_f32_e32 v4, v3, v3
	s_mov_b32 s3, 0xbbbac73d
	s_wait_alu 0xfffe
	s_delay_alu instid0(VALU_DEP_1) | instskip(NEXT) | instid1(VALU_DEP_1)
	v_fmaak_f32 v5, s3, v4, 0x3ca908c9
	v_fmaak_f32 v5, v4, v5, 0xbd5c1c4e
	s_delay_alu instid0(VALU_DEP_1) | instskip(NEXT) | instid1(VALU_DEP_1)
	v_fmaak_f32 v5, v4, v5, 0x3e088382
	v_fmaak_f32 v5, v4, v5, 0xbeaaaa99
	s_delay_alu instid0(VALU_DEP_1) | instskip(NEXT) | instid1(VALU_DEP_1)
	v_mul_f32_e64 v5, |v3|, v5
	v_fma_f32 v4, v4, v5, |v3|
.LBB97_58:
	s_wait_alu 0xfffe
	s_or_b32 exec_lo, exec_lo, s2
	s_delay_alu instid0(VALU_DEP_1) | instskip(SKIP_1) | instid1(VALU_DEP_2)
	v_bfi_b32 v3, 0x7fffffff, v4, v3
	v_mul_f32_e32 v1, 0.5, v1
	v_add_f32_e32 v3, 1.0, v3
	s_delay_alu instid0(VALU_DEP_1) | instskip(NEXT) | instid1(VALU_DEP_1)
	v_mul_f32_e32 v1, v1, v3
	v_mul_f32_e32 v3, v0, v1
.LBB97_59:
	s_delay_alu instid0(VALU_DEP_1)
	v_mov_b32_e32 v0, v3
.LBB97_60:
	s_load_b64 s[0:1], s[0:1], 0x38
	s_mul_i32 s2, s6, s27
	s_wait_kmcnt 0x0
	s_mul_i32 s3, s26, s21
	s_wait_alu 0xfffe
	s_add_co_i32 s2, s2, ttmp9
	s_wait_alu 0xfffe
	s_add_co_i32 s2, s2, s3
	s_mov_b32 s3, 0
	s_wait_alu 0xfffe
	s_lshl_b64 s[2:3], s[2:3], 2
	s_wait_alu 0xfffe
	s_add_nc_u64 s[0:1], s[0:1], s[2:3]
	global_store_b32 v2, v0, s[0:1]
.LBB97_61:
	s_endpgm
	.section	.rodata,"a",@progbits
	.p2align	6, 0x0
	.amdhsa_kernel _ZL13mul_mat_vec_qIL9ggml_type10ELi1ELb1ELb1EEvPKvS2_PKi31ggml_cuda_mm_fusion_args_devicePfj15HIP_vector_typeIjLj3EEjjjS8_jjjS8_jjjj
		.amdhsa_group_segment_fixed_size 1792
		.amdhsa_private_segment_fixed_size 0
		.amdhsa_kernarg_size 144
		.amdhsa_user_sgpr_count 2
		.amdhsa_user_sgpr_dispatch_ptr 0
		.amdhsa_user_sgpr_queue_ptr 0
		.amdhsa_user_sgpr_kernarg_segment_ptr 1
		.amdhsa_user_sgpr_dispatch_id 0
		.amdhsa_user_sgpr_private_segment_size 0
		.amdhsa_wavefront_size32 1
		.amdhsa_uses_dynamic_stack 0
		.amdhsa_enable_private_segment 0
		.amdhsa_system_sgpr_workgroup_id_x 1
		.amdhsa_system_sgpr_workgroup_id_y 1
		.amdhsa_system_sgpr_workgroup_id_z 1
		.amdhsa_system_sgpr_workgroup_info 0
		.amdhsa_system_vgpr_workitem_id 1
		.amdhsa_next_free_vgpr 41
		.amdhsa_next_free_sgpr 38
		.amdhsa_reserve_vcc 1
		.amdhsa_float_round_mode_32 0
		.amdhsa_float_round_mode_16_64 0
		.amdhsa_float_denorm_mode_32 3
		.amdhsa_float_denorm_mode_16_64 3
		.amdhsa_fp16_overflow 0
		.amdhsa_workgroup_processor_mode 1
		.amdhsa_memory_ordered 1
		.amdhsa_forward_progress 1
		.amdhsa_inst_pref_size 30
		.amdhsa_round_robin_scheduling 0
		.amdhsa_exception_fp_ieee_invalid_op 0
		.amdhsa_exception_fp_denorm_src 0
		.amdhsa_exception_fp_ieee_div_zero 0
		.amdhsa_exception_fp_ieee_overflow 0
		.amdhsa_exception_fp_ieee_underflow 0
		.amdhsa_exception_fp_ieee_inexact 0
		.amdhsa_exception_int_div_zero 0
	.end_amdhsa_kernel
	.section	.text._ZL13mul_mat_vec_qIL9ggml_type10ELi1ELb1ELb1EEvPKvS2_PKi31ggml_cuda_mm_fusion_args_devicePfj15HIP_vector_typeIjLj3EEjjjS8_jjjS8_jjjj,"axG",@progbits,_ZL13mul_mat_vec_qIL9ggml_type10ELi1ELb1ELb1EEvPKvS2_PKi31ggml_cuda_mm_fusion_args_devicePfj15HIP_vector_typeIjLj3EEjjjS8_jjjS8_jjjj,comdat
.Lfunc_end97:
	.size	_ZL13mul_mat_vec_qIL9ggml_type10ELi1ELb1ELb1EEvPKvS2_PKi31ggml_cuda_mm_fusion_args_devicePfj15HIP_vector_typeIjLj3EEjjjS8_jjjS8_jjjj, .Lfunc_end97-_ZL13mul_mat_vec_qIL9ggml_type10ELi1ELb1ELb1EEvPKvS2_PKi31ggml_cuda_mm_fusion_args_devicePfj15HIP_vector_typeIjLj3EEjjjS8_jjjS8_jjjj
                                        ; -- End function
	.set _ZL13mul_mat_vec_qIL9ggml_type10ELi1ELb1ELb1EEvPKvS2_PKi31ggml_cuda_mm_fusion_args_devicePfj15HIP_vector_typeIjLj3EEjjjS8_jjjS8_jjjj.num_vgpr, 41
	.set _ZL13mul_mat_vec_qIL9ggml_type10ELi1ELb1ELb1EEvPKvS2_PKi31ggml_cuda_mm_fusion_args_devicePfj15HIP_vector_typeIjLj3EEjjjS8_jjjS8_jjjj.num_agpr, 0
	.set _ZL13mul_mat_vec_qIL9ggml_type10ELi1ELb1ELb1EEvPKvS2_PKi31ggml_cuda_mm_fusion_args_devicePfj15HIP_vector_typeIjLj3EEjjjS8_jjjS8_jjjj.numbered_sgpr, 38
	.set _ZL13mul_mat_vec_qIL9ggml_type10ELi1ELb1ELb1EEvPKvS2_PKi31ggml_cuda_mm_fusion_args_devicePfj15HIP_vector_typeIjLj3EEjjjS8_jjjS8_jjjj.num_named_barrier, 0
	.set _ZL13mul_mat_vec_qIL9ggml_type10ELi1ELb1ELb1EEvPKvS2_PKi31ggml_cuda_mm_fusion_args_devicePfj15HIP_vector_typeIjLj3EEjjjS8_jjjS8_jjjj.private_seg_size, 0
	.set _ZL13mul_mat_vec_qIL9ggml_type10ELi1ELb1ELb1EEvPKvS2_PKi31ggml_cuda_mm_fusion_args_devicePfj15HIP_vector_typeIjLj3EEjjjS8_jjjS8_jjjj.uses_vcc, 1
	.set _ZL13mul_mat_vec_qIL9ggml_type10ELi1ELb1ELb1EEvPKvS2_PKi31ggml_cuda_mm_fusion_args_devicePfj15HIP_vector_typeIjLj3EEjjjS8_jjjS8_jjjj.uses_flat_scratch, 0
	.set _ZL13mul_mat_vec_qIL9ggml_type10ELi1ELb1ELb1EEvPKvS2_PKi31ggml_cuda_mm_fusion_args_devicePfj15HIP_vector_typeIjLj3EEjjjS8_jjjS8_jjjj.has_dyn_sized_stack, 0
	.set _ZL13mul_mat_vec_qIL9ggml_type10ELi1ELb1ELb1EEvPKvS2_PKi31ggml_cuda_mm_fusion_args_devicePfj15HIP_vector_typeIjLj3EEjjjS8_jjjS8_jjjj.has_recursion, 0
	.set _ZL13mul_mat_vec_qIL9ggml_type10ELi1ELb1ELb1EEvPKvS2_PKi31ggml_cuda_mm_fusion_args_devicePfj15HIP_vector_typeIjLj3EEjjjS8_jjjS8_jjjj.has_indirect_call, 0
	.section	.AMDGPU.csdata,"",@progbits
; Kernel info:
; codeLenInByte = 3828
; TotalNumSgprs: 40
; NumVgprs: 41
; ScratchSize: 0
; MemoryBound: 0
; FloatMode: 240
; IeeeMode: 1
; LDSByteSize: 1792 bytes/workgroup (compile time only)
; SGPRBlocks: 0
; VGPRBlocks: 5
; NumSGPRsForWavesPerEU: 40
; NumVGPRsForWavesPerEU: 41
; Occupancy: 16
; WaveLimiterHint : 0
; COMPUTE_PGM_RSRC2:SCRATCH_EN: 0
; COMPUTE_PGM_RSRC2:USER_SGPR: 2
; COMPUTE_PGM_RSRC2:TRAP_HANDLER: 0
; COMPUTE_PGM_RSRC2:TGID_X_EN: 1
; COMPUTE_PGM_RSRC2:TGID_Y_EN: 1
; COMPUTE_PGM_RSRC2:TGID_Z_EN: 1
; COMPUTE_PGM_RSRC2:TIDIG_COMP_CNT: 1
	.section	.text._ZL13mul_mat_vec_qIL9ggml_type10ELi1ELb0ELb1EEvPKvS2_PKi31ggml_cuda_mm_fusion_args_devicePfj15HIP_vector_typeIjLj3EEjjjS8_jjjS8_jjjj,"axG",@progbits,_ZL13mul_mat_vec_qIL9ggml_type10ELi1ELb0ELb1EEvPKvS2_PKi31ggml_cuda_mm_fusion_args_devicePfj15HIP_vector_typeIjLj3EEjjjS8_jjjS8_jjjj,comdat
	.globl	_ZL13mul_mat_vec_qIL9ggml_type10ELi1ELb0ELb1EEvPKvS2_PKi31ggml_cuda_mm_fusion_args_devicePfj15HIP_vector_typeIjLj3EEjjjS8_jjjS8_jjjj ; -- Begin function _ZL13mul_mat_vec_qIL9ggml_type10ELi1ELb0ELb1EEvPKvS2_PKi31ggml_cuda_mm_fusion_args_devicePfj15HIP_vector_typeIjLj3EEjjjS8_jjjS8_jjjj
	.p2align	8
	.type	_ZL13mul_mat_vec_qIL9ggml_type10ELi1ELb0ELb1EEvPKvS2_PKi31ggml_cuda_mm_fusion_args_devicePfj15HIP_vector_typeIjLj3EEjjjS8_jjjS8_jjjj,@function
_ZL13mul_mat_vec_qIL9ggml_type10ELi1ELb0ELb1EEvPKvS2_PKi31ggml_cuda_mm_fusion_args_devicePfj15HIP_vector_typeIjLj3EEjjjS8_jjjS8_jjjj: ; @_ZL13mul_mat_vec_qIL9ggml_type10ELi1ELb0ELb1EEvPKvS2_PKi31ggml_cuda_mm_fusion_args_devicePfj15HIP_vector_typeIjLj3EEjjjS8_jjjS8_jjjj
; %bb.0:
	s_clause 0x1
	s_load_b64 s[2:3], s[0:1], 0x10
	s_load_b128 s[8:11], s[0:1], 0x40
	s_and_b32 s15, ttmp7, 0xffff
	s_wait_kmcnt 0x0
	s_cmp_lg_u64 s[2:3], 0
	s_cselect_b32 s12, -1, 0
	s_cmp_eq_u64 s[2:3], 0
	s_cbranch_scc1 .LBB98_15
; %bb.1:
	s_lshl_b32 s4, s15, 2
	s_load_b32 s2, s[2:3], s4 offset:0x0
	s_clause 0x1
	s_load_b128 s[4:7], s[0:1], 0x68
	s_load_b32 s3, s[0:1], 0x50
	s_cbranch_execnz .LBB98_3
.LBB98_2:
	s_load_b64 s[16:17], s[0:1], 0x5c
	s_wait_kmcnt 0x0
	s_mul_hi_u32 s2, s16, s15
	s_delay_alu instid0(SALU_CYCLE_1) | instskip(NEXT) | instid1(SALU_CYCLE_1)
	s_add_co_i32 s2, s15, s2
	s_lshr_b32 s2, s2, s17
.LBB98_3:
	s_load_b32 s20, s[0:1], 0x78
	s_and_not1_b32 vcc_lo, exec_lo, s12
	s_mov_b32 s19, s15
	s_cbranch_vccnz .LBB98_5
; %bb.4:
	s_mul_hi_u32 s9, s9, s15
	s_delay_alu instid0(SALU_CYCLE_1) | instskip(NEXT) | instid1(SALU_CYCLE_1)
	s_add_co_i32 s9, s15, s9
	s_lshr_b32 s9, s9, s10
	s_delay_alu instid0(SALU_CYCLE_1) | instskip(NEXT) | instid1(SALU_CYCLE_1)
	s_mul_i32 s9, s9, s11
	s_sub_co_i32 s19, s15, s9
.LBB98_5:
	s_load_b96 s[12:14], s[0:1], 0x80
	v_bfe_u32 v3, v0, 10, 10
	v_and_b32_e32 v2, 0x3ff, v0
	v_mov_b32_e32 v4, 0
	s_lshr_b32 s18, s8, 8
	s_lshr_b32 s16, ttmp7, 16
	s_mov_b32 s17, exec_lo
	v_lshl_add_u32 v0, v3, 5, v2
	s_delay_alu instid0(VALU_DEP_1) | instskip(NEXT) | instid1(VALU_DEP_1)
	v_lshrrev_b32_e32 v5, 4, v0
	v_cmpx_gt_u32_e64 s18, v5
	s_cbranch_execz .LBB98_9
; %bb.6:
	s_load_b128 s[8:11], s[0:1], 0x0
	v_bfe_u32 v4, v2, 3, 1
	s_wait_kmcnt 0x0
	s_mul_hi_u32 s7, s7, s16
	v_lshrrev_b32_e32 v6, 4, v0
	s_add_co_i32 s7, s16, s7
	s_mul_i32 s21, s3, ttmp9
	v_mul_hi_u32_u24_e32 v1, 0x90, v4
	v_mul_u32_u24_e32 v0, 0x90, v4
	s_lshr_b32 s3, s7, s20
	s_mul_i32 s7, s2, s4
	s_mul_i32 s20, s3, s12
	;; [unrolled: 1-line block ×3, first 2 shown]
	s_mov_b32 s3, 0
	v_mad_co_u64_u32 v[0:1], null, 0x120, v6, v[0:1]
	s_mul_i32 s4, s19, s5
	s_mov_b32 s5, s3
	s_mul_u64 s[12:13], s[2:3], 36
	s_mul_u64 s[4:5], s[4:5], 36
	v_and_b32_e32 v8, 15, v2
	s_add_nc_u64 s[10:11], s[10:11], s[12:13]
	v_dual_mov_b32 v4, 0 :: v_dual_and_b32 v7, 7, v2
	v_bfe_u32 v9, v2, 2, 1
	s_add_nc_u64 s[4:5], s[10:11], s[4:5]
	v_lshlrev_b32_e32 v8, 2, v8
	v_add_co_u32 v0, vcc_lo, s4, v0
	s_delay_alu instid0(VALU_DEP_3) | instskip(SKIP_3) | instid1(SALU_CYCLE_1)
	v_and_or_b32 v6, v2, 8, v9
	v_lshlrev_b32_e32 v7, 2, v7
	v_add_co_ci_u32_e64 v1, null, s5, v1, vcc_lo
	s_add_co_i32 s20, s20, s21
	s_add_co_i32 s4, s7, s20
.LBB98_7:                               ; =>This Inner Loop Header: Depth=1
	s_wait_alu 0xfffe
	v_add_nc_u32_e32 v11, s4, v5
	v_add_co_u32 v9, vcc_lo, v0, v7
	s_wait_alu 0xfffd
	v_add_co_ci_u32_e64 v10, null, 0, v1, vcc_lo
	s_delay_alu instid0(VALU_DEP_3)
	v_mad_co_i64_i32 v[11:12], null, 0x54, v11, s[8:9]
	s_clause 0x6
	global_load_b32 v15, v[0:1], off
	global_load_b32 v16, v[0:1], off offset:36
	global_load_b32 v17, v[0:1], off offset:72
	;; [unrolled: 1-line block ×6, first 2 shown]
	v_add_nc_u32_e32 v5, 16, v5
	v_add_co_u32 v9, vcc_lo, v11, v8
	s_wait_alu 0xfffd
	v_add_co_ci_u32_e64 v10, null, 0, v12, vcc_lo
	v_add_co_u32 v13, vcc_lo, v11, v6
	s_wait_alu 0xfffd
	v_add_co_ci_u32_e64 v14, null, 0, v12, vcc_lo
	s_clause 0x5
	global_load_b32 v9, v[9:10], off offset:16
	global_load_u8 v10, v[13:14], off
	global_load_u8 v22, v[13:14], off offset:2
	global_load_u8 v23, v[13:14], off offset:4
	;; [unrolled: 1-line block ×3, first 2 shown]
	global_load_b32 v11, v[11:12], off offset:80
	global_load_b32 v12, v[0:1], off offset:108
	v_add_co_u32 v0, vcc_lo, 0x1200, v0
	v_cmp_le_u32_e64 s2, s18, v5
	s_wait_alu 0xfffd
	v_add_co_ci_u32_e64 v1, null, 0, v1, vcc_lo
	s_or_b32 s3, s2, s3
	s_wait_loadcnt 0x6
	v_and_b32_e32 v14, 0x3030303, v9
	s_wait_loadcnt 0x5
	v_and_b32_e32 v24, 15, v10
	v_lshrrev_b32_e32 v10, 4, v10
	v_lshrrev_b32_e32 v25, 2, v9
	s_wait_loadcnt 0x4
	v_and_b32_e32 v26, 15, v22
	v_lshrrev_b32_e32 v22, 4, v22
	s_wait_loadcnt 0x3
	v_and_b32_e32 v28, 15, v23
	v_mul_lo_u32 v10, 0x1010101, v10
	v_lshrrev_b32_e32 v23, 4, v23
	v_lshrrev_b32_e32 v27, 4, v9
	v_dot4_i32_iu8 v14, v14, v18, 0 neg_lo:[1,1,0]
	v_and_b32_e32 v25, 0x3030303, v25
	v_mul_lo_u32 v22, 0x1010101, v22
	s_wait_loadcnt 0x2
	v_and_b32_e32 v29, 15, v13
	v_lshrrev_b32_e32 v13, 4, v13
	v_mul_lo_u32 v23, 0x1010101, v23
	v_dot4_i32_iu8 v10, v10, v18, 0 neg_lo:[1,1,0]
	v_lshrrev_b32_e32 v9, 6, v9
	v_and_b32_e32 v27, 0x3030303, v27
	v_mul_lo_u32 v14, v24, v14
	v_dot4_i32_iu8 v24, v25, v19, 0 neg_lo:[1,1,0]
	v_mul_lo_u32 v13, 0x1010101, v13
	v_dot4_i32_iu8 v18, v22, v19, 0 neg_lo:[1,1,0]
	v_cvt_f32_i32_e32 v10, v10
	v_and_b32_e32 v9, 0x3030303, v9
	v_dot4_i32_iu8 v25, v27, v20, 0 neg_lo:[1,1,0]
	v_dot4_i32_iu8 v19, v23, v20, 0 neg_lo:[1,1,0]
	v_mul_lo_u32 v20, v26, v24
	v_cvt_f32_i32_e32 v14, v14
	v_cvt_f32_i32_e32 v18, v18
	v_fma_mix_f32 v10, v15, v10, 0 op_sel_hi:[1,0,0]
	v_dot4_i32_iu8 v9, v9, v21, 0 neg_lo:[1,1,0]
	v_dot4_i32_iu8 v13, v13, v21, 0 neg_lo:[1,1,0]
	v_mul_lo_u32 v21, v28, v25
	v_cvt_f32_i32_e32 v19, v19
	v_fma_mix_f32 v14, v15, v14, 0 op_sel_hi:[1,0,0]
	v_cvt_f32_i32_e32 v15, v20
	v_fma_mix_f32 v10, v16, v18, v10 op_sel_hi:[1,0,0]
	v_mul_lo_u32 v9, v29, v9
	s_wait_loadcnt 0x1
	v_lshrrev_b32_e32 v30, 16, v11
	v_cvt_f32_i32_e32 v13, v13
	v_cvt_f32_i32_e32 v18, v21
	v_fma_mix_f32 v14, v16, v15, v14 op_sel_hi:[1,0,0]
	v_fma_mix_f32 v10, v17, v19, v10 op_sel_hi:[1,0,0]
	v_cvt_f32_f16_e32 v15, v30
	v_cvt_f32_i32_e32 v9, v9
	s_delay_alu instid0(VALU_DEP_4) | instskip(SKIP_2) | instid1(VALU_DEP_2)
	v_fma_mix_f32 v14, v17, v18, v14 op_sel_hi:[1,0,0]
	s_wait_loadcnt 0x0
	v_fma_mix_f32 v10, v12, v13, v10 op_sel_hi:[1,0,0]
	v_fma_mix_f32 v9, v12, v9, v14 op_sel_hi:[1,0,0]
	s_delay_alu instid0(VALU_DEP_2) | instskip(NEXT) | instid1(VALU_DEP_1)
	v_mul_f32_e32 v10, v10, v15
	v_fma_mix_f32 v9, v9, v11, -v10 op_sel_hi:[0,1,0]
	s_delay_alu instid0(VALU_DEP_1)
	v_add_f32_e32 v4, v4, v9
	s_and_not1_b32 exec_lo, exec_lo, s3
	s_cbranch_execnz .LBB98_7
; %bb.8:
	s_or_b32 exec_lo, exec_lo, s3
.LBB98_9:
	s_delay_alu instid0(SALU_CYCLE_1)
	s_or_b32 exec_lo, exec_lo, s17
	v_lshlrev_b32_e32 v0, 2, v2
	s_wait_kmcnt 0x0
	s_mov_b32 s3, exec_lo
	v_cmp_eq_u32_e32 vcc_lo, 0, v3
	v_cmpx_ne_u32_e32 0, v3
; %bb.10:
	v_lshlrev_b32_e32 v1, 7, v3
	s_delay_alu instid0(VALU_DEP_1)
	v_add3_u32 v1, v1, v0, 0xffffff80
	ds_store_b32 v1, v4
; %bb.11:
	s_or_b32 exec_lo, exec_lo, s3
	s_wait_dscnt 0x0
	s_barrier_signal -1
	s_barrier_wait -1
	global_inv scope:SCOPE_SE
	s_and_saveexec_b32 s2, vcc_lo
	s_cbranch_execz .LBB98_14
; %bb.12:
	ds_load_2addr_b32 v[5:6], v0 offset1:32
	ds_load_2addr_b32 v[7:8], v0 offset0:64 offset1:96
	ds_load_2addr_b32 v[9:10], v0 offset0:128 offset1:160
	v_mbcnt_lo_u32_b32 v3, -1, 0
	ds_load_b32 v0, v0 offset:768
	s_mov_b32 s3, 0
	s_wait_dscnt 0x3
	v_add_f32_e32 v1, v4, v5
	v_xor_b32_e32 v4, 16, v3
	s_delay_alu instid0(VALU_DEP_1) | instskip(SKIP_1) | instid1(VALU_DEP_3)
	v_cmp_gt_i32_e32 vcc_lo, 32, v4
	s_wait_alu 0xfffd
	v_dual_cndmask_b32 v4, v3, v4 :: v_dual_add_f32 v1, v1, v6
	s_wait_dscnt 0x2
	s_delay_alu instid0(VALU_DEP_1) | instskip(NEXT) | instid1(VALU_DEP_1)
	v_add_f32_e32 v1, v1, v7
	v_add_f32_e32 v1, v1, v8
	s_wait_dscnt 0x1
	s_delay_alu instid0(VALU_DEP_1) | instskip(NEXT) | instid1(VALU_DEP_1)
	v_add_f32_e32 v1, v1, v9
	v_add_f32_e32 v1, v1, v10
	s_wait_dscnt 0x0
	s_delay_alu instid0(VALU_DEP_1)
	v_add_f32_e32 v0, v1, v0
	v_lshlrev_b32_e32 v1, 2, v4
	v_xor_b32_e32 v4, 8, v3
	ds_bpermute_b32 v1, v1, v0
	v_cmp_gt_i32_e32 vcc_lo, 32, v4
	s_wait_alu 0xfffd
	v_cndmask_b32_e32 v4, v3, v4, vcc_lo
	s_delay_alu instid0(VALU_DEP_1) | instskip(SKIP_4) | instid1(VALU_DEP_1)
	v_lshlrev_b32_e32 v4, 2, v4
	s_wait_dscnt 0x0
	v_add_f32_e32 v0, v0, v1
	ds_bpermute_b32 v1, v4, v0
	v_xor_b32_e32 v4, 4, v3
	v_cmp_gt_i32_e32 vcc_lo, 32, v4
	s_wait_alu 0xfffd
	v_cndmask_b32_e32 v4, v3, v4, vcc_lo
	s_delay_alu instid0(VALU_DEP_1) | instskip(SKIP_4) | instid1(VALU_DEP_1)
	v_lshlrev_b32_e32 v4, 2, v4
	s_wait_dscnt 0x0
	v_add_f32_e32 v0, v0, v1
	ds_bpermute_b32 v1, v4, v0
	v_xor_b32_e32 v4, 2, v3
	;; [unrolled: 9-line block ×3, first 2 shown]
	v_cmp_gt_i32_e32 vcc_lo, 32, v4
	s_wait_alu 0xfffd
	v_cndmask_b32_e32 v3, v3, v4, vcc_lo
	v_cmp_eq_u32_e32 vcc_lo, 0, v2
	s_wait_dscnt 0x0
	s_delay_alu instid0(VALU_DEP_2)
	v_dual_add_f32 v0, v0, v1 :: v_dual_lshlrev_b32 v3, 2, v3
	ds_bpermute_b32 v1, v3, v0
	s_and_b32 exec_lo, exec_lo, vcc_lo
	s_cbranch_execz .LBB98_14
; %bb.13:
	s_load_b64 s[0:1], s[0:1], 0x38
	s_mul_i32 s2, s6, s15
	s_mul_i32 s4, s14, s16
	s_add_co_i32 s2, s2, ttmp9
	v_mov_b32_e32 v2, 0
	s_wait_alu 0xfffe
	s_add_co_i32 s2, s2, s4
	s_wait_dscnt 0x0
	v_add_f32_e32 v0, v0, v1
	s_lshl_b64 s[2:3], s[2:3], 2
	s_wait_kmcnt 0x0
	s_add_nc_u64 s[0:1], s[0:1], s[2:3]
	global_store_b32 v2, v0, s[0:1]
.LBB98_14:
	s_endpgm
.LBB98_15:
                                        ; implicit-def: $sgpr2
	s_clause 0x1
	s_load_b128 s[4:7], s[0:1], 0x68
	s_load_b32 s3, s[0:1], 0x50
	s_branch .LBB98_2
	.section	.rodata,"a",@progbits
	.p2align	6, 0x0
	.amdhsa_kernel _ZL13mul_mat_vec_qIL9ggml_type10ELi1ELb0ELb1EEvPKvS2_PKi31ggml_cuda_mm_fusion_args_devicePfj15HIP_vector_typeIjLj3EEjjjS8_jjjS8_jjjj
		.amdhsa_group_segment_fixed_size 896
		.amdhsa_private_segment_fixed_size 0
		.amdhsa_kernarg_size 144
		.amdhsa_user_sgpr_count 2
		.amdhsa_user_sgpr_dispatch_ptr 0
		.amdhsa_user_sgpr_queue_ptr 0
		.amdhsa_user_sgpr_kernarg_segment_ptr 1
		.amdhsa_user_sgpr_dispatch_id 0
		.amdhsa_user_sgpr_private_segment_size 0
		.amdhsa_wavefront_size32 1
		.amdhsa_uses_dynamic_stack 0
		.amdhsa_enable_private_segment 0
		.amdhsa_system_sgpr_workgroup_id_x 1
		.amdhsa_system_sgpr_workgroup_id_y 1
		.amdhsa_system_sgpr_workgroup_id_z 1
		.amdhsa_system_sgpr_workgroup_info 0
		.amdhsa_system_vgpr_workitem_id 1
		.amdhsa_next_free_vgpr 31
		.amdhsa_next_free_sgpr 22
		.amdhsa_reserve_vcc 1
		.amdhsa_float_round_mode_32 0
		.amdhsa_float_round_mode_16_64 0
		.amdhsa_float_denorm_mode_32 3
		.amdhsa_float_denorm_mode_16_64 3
		.amdhsa_fp16_overflow 0
		.amdhsa_workgroup_processor_mode 1
		.amdhsa_memory_ordered 1
		.amdhsa_forward_progress 1
		.amdhsa_inst_pref_size 13
		.amdhsa_round_robin_scheduling 0
		.amdhsa_exception_fp_ieee_invalid_op 0
		.amdhsa_exception_fp_denorm_src 0
		.amdhsa_exception_fp_ieee_div_zero 0
		.amdhsa_exception_fp_ieee_overflow 0
		.amdhsa_exception_fp_ieee_underflow 0
		.amdhsa_exception_fp_ieee_inexact 0
		.amdhsa_exception_int_div_zero 0
	.end_amdhsa_kernel
	.section	.text._ZL13mul_mat_vec_qIL9ggml_type10ELi1ELb0ELb1EEvPKvS2_PKi31ggml_cuda_mm_fusion_args_devicePfj15HIP_vector_typeIjLj3EEjjjS8_jjjS8_jjjj,"axG",@progbits,_ZL13mul_mat_vec_qIL9ggml_type10ELi1ELb0ELb1EEvPKvS2_PKi31ggml_cuda_mm_fusion_args_devicePfj15HIP_vector_typeIjLj3EEjjjS8_jjjS8_jjjj,comdat
.Lfunc_end98:
	.size	_ZL13mul_mat_vec_qIL9ggml_type10ELi1ELb0ELb1EEvPKvS2_PKi31ggml_cuda_mm_fusion_args_devicePfj15HIP_vector_typeIjLj3EEjjjS8_jjjS8_jjjj, .Lfunc_end98-_ZL13mul_mat_vec_qIL9ggml_type10ELi1ELb0ELb1EEvPKvS2_PKi31ggml_cuda_mm_fusion_args_devicePfj15HIP_vector_typeIjLj3EEjjjS8_jjjS8_jjjj
                                        ; -- End function
	.set _ZL13mul_mat_vec_qIL9ggml_type10ELi1ELb0ELb1EEvPKvS2_PKi31ggml_cuda_mm_fusion_args_devicePfj15HIP_vector_typeIjLj3EEjjjS8_jjjS8_jjjj.num_vgpr, 31
	.set _ZL13mul_mat_vec_qIL9ggml_type10ELi1ELb0ELb1EEvPKvS2_PKi31ggml_cuda_mm_fusion_args_devicePfj15HIP_vector_typeIjLj3EEjjjS8_jjjS8_jjjj.num_agpr, 0
	.set _ZL13mul_mat_vec_qIL9ggml_type10ELi1ELb0ELb1EEvPKvS2_PKi31ggml_cuda_mm_fusion_args_devicePfj15HIP_vector_typeIjLj3EEjjjS8_jjjS8_jjjj.numbered_sgpr, 22
	.set _ZL13mul_mat_vec_qIL9ggml_type10ELi1ELb0ELb1EEvPKvS2_PKi31ggml_cuda_mm_fusion_args_devicePfj15HIP_vector_typeIjLj3EEjjjS8_jjjS8_jjjj.num_named_barrier, 0
	.set _ZL13mul_mat_vec_qIL9ggml_type10ELi1ELb0ELb1EEvPKvS2_PKi31ggml_cuda_mm_fusion_args_devicePfj15HIP_vector_typeIjLj3EEjjjS8_jjjS8_jjjj.private_seg_size, 0
	.set _ZL13mul_mat_vec_qIL9ggml_type10ELi1ELb0ELb1EEvPKvS2_PKi31ggml_cuda_mm_fusion_args_devicePfj15HIP_vector_typeIjLj3EEjjjS8_jjjS8_jjjj.uses_vcc, 1
	.set _ZL13mul_mat_vec_qIL9ggml_type10ELi1ELb0ELb1EEvPKvS2_PKi31ggml_cuda_mm_fusion_args_devicePfj15HIP_vector_typeIjLj3EEjjjS8_jjjS8_jjjj.uses_flat_scratch, 0
	.set _ZL13mul_mat_vec_qIL9ggml_type10ELi1ELb0ELb1EEvPKvS2_PKi31ggml_cuda_mm_fusion_args_devicePfj15HIP_vector_typeIjLj3EEjjjS8_jjjS8_jjjj.has_dyn_sized_stack, 0
	.set _ZL13mul_mat_vec_qIL9ggml_type10ELi1ELb0ELb1EEvPKvS2_PKi31ggml_cuda_mm_fusion_args_devicePfj15HIP_vector_typeIjLj3EEjjjS8_jjjS8_jjjj.has_recursion, 0
	.set _ZL13mul_mat_vec_qIL9ggml_type10ELi1ELb0ELb1EEvPKvS2_PKi31ggml_cuda_mm_fusion_args_devicePfj15HIP_vector_typeIjLj3EEjjjS8_jjjS8_jjjj.has_indirect_call, 0
	.section	.AMDGPU.csdata,"",@progbits
; Kernel info:
; codeLenInByte = 1580
; TotalNumSgprs: 24
; NumVgprs: 31
; ScratchSize: 0
; MemoryBound: 0
; FloatMode: 240
; IeeeMode: 1
; LDSByteSize: 896 bytes/workgroup (compile time only)
; SGPRBlocks: 0
; VGPRBlocks: 3
; NumSGPRsForWavesPerEU: 24
; NumVGPRsForWavesPerEU: 31
; Occupancy: 16
; WaveLimiterHint : 0
; COMPUTE_PGM_RSRC2:SCRATCH_EN: 0
; COMPUTE_PGM_RSRC2:USER_SGPR: 2
; COMPUTE_PGM_RSRC2:TRAP_HANDLER: 0
; COMPUTE_PGM_RSRC2:TGID_X_EN: 1
; COMPUTE_PGM_RSRC2:TGID_Y_EN: 1
; COMPUTE_PGM_RSRC2:TGID_Z_EN: 1
; COMPUTE_PGM_RSRC2:TIDIG_COMP_CNT: 1
	.section	.text._ZL13mul_mat_vec_qIL9ggml_type10ELi1ELb1ELb0EEvPKvS2_PKi31ggml_cuda_mm_fusion_args_devicePfj15HIP_vector_typeIjLj3EEjjjS8_jjjS8_jjjj,"axG",@progbits,_ZL13mul_mat_vec_qIL9ggml_type10ELi1ELb1ELb0EEvPKvS2_PKi31ggml_cuda_mm_fusion_args_devicePfj15HIP_vector_typeIjLj3EEjjjS8_jjjS8_jjjj,comdat
	.globl	_ZL13mul_mat_vec_qIL9ggml_type10ELi1ELb1ELb0EEvPKvS2_PKi31ggml_cuda_mm_fusion_args_devicePfj15HIP_vector_typeIjLj3EEjjjS8_jjjS8_jjjj ; -- Begin function _ZL13mul_mat_vec_qIL9ggml_type10ELi1ELb1ELb0EEvPKvS2_PKi31ggml_cuda_mm_fusion_args_devicePfj15HIP_vector_typeIjLj3EEjjjS8_jjjS8_jjjj
	.p2align	8
	.type	_ZL13mul_mat_vec_qIL9ggml_type10ELi1ELb1ELb0EEvPKvS2_PKi31ggml_cuda_mm_fusion_args_devicePfj15HIP_vector_typeIjLj3EEjjjS8_jjjS8_jjjj,@function
_ZL13mul_mat_vec_qIL9ggml_type10ELi1ELb1ELb0EEvPKvS2_PKi31ggml_cuda_mm_fusion_args_devicePfj15HIP_vector_typeIjLj3EEjjjS8_jjjS8_jjjj: ; @_ZL13mul_mat_vec_qIL9ggml_type10ELi1ELb1ELb0EEvPKvS2_PKi31ggml_cuda_mm_fusion_args_devicePfj15HIP_vector_typeIjLj3EEjjjS8_jjjS8_jjjj
; %bb.0:
	s_clause 0x3
	s_load_b256 s[8:15], s[0:1], 0x0
	s_load_b128 s[16:19], s[0:1], 0x20
	s_load_b128 s[20:23], s[0:1], 0x40
	;; [unrolled: 1-line block ×3, first 2 shown]
	s_and_b32 s27, ttmp7, 0xffff
	s_wait_kmcnt 0x0
	s_cmp_lg_u64 s[12:13], 0
	s_cselect_b32 s2, -1, 0
	s_cmp_eq_u64 s[12:13], 0
	s_cbranch_scc1 .LBB99_42
; %bb.1:
	s_lshl_b32 s3, s27, 2
	s_load_b32 s28, s[12:13], s3 offset:0x0
	s_clause 0x1
	s_load_b32 s30, s[0:1], 0x50
	s_load_b32 s29, s[0:1], 0x78
	s_cbranch_execnz .LBB99_3
.LBB99_2:
	s_load_b64 s[12:13], s[0:1], 0x5c
	s_wait_kmcnt 0x0
	s_mul_hi_u32 s3, s12, s27
	s_delay_alu instid0(SALU_CYCLE_1) | instskip(NEXT) | instid1(SALU_CYCLE_1)
	s_add_co_i32 s3, s27, s3
	s_lshr_b32 s28, s3, s13
.LBB99_3:
	s_and_not1_b32 vcc_lo, exec_lo, s2
	s_mov_b32 s3, s27
	s_mov_b32 s31, s27
	s_cbranch_vccnz .LBB99_5
; %bb.4:
	s_mul_hi_u32 s2, s21, s27
	s_wait_kmcnt 0x0
	s_mov_b32 s3, s28
	s_add_co_i32 s2, s27, s2
	s_delay_alu instid0(SALU_CYCLE_1) | instskip(NEXT) | instid1(SALU_CYCLE_1)
	s_lshr_b32 s2, s2, s22
	s_mul_i32 s2, s2, s23
	s_delay_alu instid0(SALU_CYCLE_1)
	s_sub_co_i32 s31, s27, s2
.LBB99_5:
	s_load_b96 s[24:26], s[0:1], 0x80
	v_bfe_u32 v8, v0, 10, 10
	v_dual_mov_b32 v4, 0 :: v_dual_and_b32 v3, 0x3ff, v0
	s_lshr_b32 s21, ttmp7, 16
	s_cmp_lg_u64 s[14:15], 0
	s_delay_alu instid0(VALU_DEP_1) | instskip(SKIP_4) | instid1(VALU_DEP_1)
	v_dual_mov_b32 v5, 0 :: v_dual_lshlrev_b32 v2, 2, v3
	v_or_b32_e32 v0, v3, v8
	s_cselect_b32 s2, -1, 0
	s_mov_b32 s23, 0
	s_mul_i32 s12, s3, s6
	v_cmp_eq_u32_e32 vcc_lo, 0, v0
	s_and_b32 s13, s2, vcc_lo
	s_delay_alu instid0(SALU_CYCLE_1)
	s_and_saveexec_b32 s3, s13
	s_cbranch_execz .LBB99_7
; %bb.6:
	s_wait_kmcnt 0x0
	s_mul_i32 s22, s26, s21
	s_mov_b32 s13, s23
	s_lshl_b64 s[36:37], s[22:23], 2
	s_mov_b32 s34, ttmp9
	s_add_nc_u64 s[14:15], s[14:15], s[36:37]
	s_lshl_b64 s[22:23], s[12:13], 2
	s_ashr_i32 s35, ttmp9, 31
	s_add_nc_u64 s[14:15], s[14:15], s[22:23]
	s_lshl_b64 s[22:23], s[34:35], 2
	s_delay_alu instid0(SALU_CYCLE_1)
	s_add_nc_u64 s[14:15], s[14:15], s[22:23]
	global_load_b32 v5, v2, s[14:15]
.LBB99_7:
	s_or_b32 exec_lo, exec_lo, s3
	s_cmp_lg_u64 s[16:17], 0
	s_cselect_b32 s14, -1, 0
	s_cmp_lg_u64 s[18:19], 0
	s_cselect_b32 s3, -1, 0
	s_delay_alu instid0(SALU_CYCLE_1) | instskip(NEXT) | instid1(SALU_CYCLE_1)
	s_and_b32 s13, s3, s14
	s_and_b32 s13, s13, vcc_lo
	s_delay_alu instid0(SALU_CYCLE_1)
	s_and_saveexec_b32 s15, s13
	s_cbranch_execz .LBB99_9
; %bb.8:
	s_wait_kmcnt 0x0
	s_mul_i32 s34, s26, s21
	s_mov_b32 s35, 0
	s_mov_b32 s22, ttmp9
	s_lshl_b64 s[36:37], s[34:35], 2
	s_mov_b32 s13, s35
	s_add_nc_u64 s[18:19], s[18:19], s[36:37]
	s_lshl_b64 s[12:13], s[12:13], 2
	s_ashr_i32 s23, ttmp9, 31
	s_add_nc_u64 s[12:13], s[18:19], s[12:13]
	s_lshl_b64 s[18:19], s[22:23], 2
	s_delay_alu instid0(SALU_CYCLE_1)
	s_add_nc_u64 s[12:13], s[12:13], s[18:19]
	global_load_b32 v4, v2, s[12:13]
.LBB99_9:
	s_or_b32 exec_lo, exec_lo, s15
	v_lshl_add_u32 v0, v8, 5, v3
	v_mov_b32_e32 v9, 0
	v_cndmask_b32_e64 v6, 0, 1, s14
	v_mov_b32_e32 v7, 0
	s_lshr_b32 s15, s20, 8
	v_lshrrev_b32_e32 v10, 4, v0
	s_mov_b32 s18, exec_lo
	s_wait_alu 0xfffe
	s_delay_alu instid0(VALU_DEP_1)
	v_cmpx_gt_u32_e64 s15, v10
	s_cbranch_execz .LBB99_15
; %bb.10:
	v_bfe_u32 v7, v3, 3, 1
	v_lshrrev_b32_e32 v9, 4, v0
	s_mul_hi_u32 s7, s7, s21
	s_wait_kmcnt 0x0
	s_mul_i32 s19, s28, s4
	s_add_co_i32 s7, s21, s7
	v_mul_hi_u32_u24_e32 v1, 0x90, v7
	v_mul_u32_u24_e32 v0, 0x90, v7
	s_lshr_b32 s4, s7, s29
	s_mul_i32 s12, s25, s21
	s_mov_b32 s13, 0
	s_mul_i32 s7, s4, s24
	v_mad_co_u64_u32 v[0:1], null, 0x120, v9, v[0:1]
	s_mul_i32 s4, s31, s5
	s_mov_b32 s5, s13
	s_mul_u64 s[22:23], s[12:13], 36
	s_mul_u64 s[4:5], s[4:5], 36
	s_add_nc_u64 s[10:11], s[10:11], s[22:23]
	v_and_b32_e32 v13, 15, v3
	v_and_b32_e32 v7, 7, v3
	v_bfe_u32 v11, v3, 2, 1
	s_add_nc_u64 s[4:5], s[10:11], s[4:5]
	s_mul_i32 s30, s30, ttmp9
	v_add_co_u32 v0, vcc_lo, s4, v0
	v_dual_mov_b32 v9, 0 :: v_dual_lshlrev_b32 v12, 2, v7
	v_and_or_b32 v11, v3, 8, v11
	v_add_co_ci_u32_e64 v1, null, s5, v1, vcc_lo
	v_lshlrev_b32_e32 v13, 2, v13
	v_mov_b32_e32 v7, 0
	s_add_co_i32 s7, s7, s30
	s_delay_alu instid0(SALU_CYCLE_1)
	s_add_co_i32 s5, s19, s7
	s_branch .LBB99_12
.LBB99_11:                              ;   in Loop: Header=BB99_12 Depth=1
	s_wait_loadcnt 0x3
	v_bfe_u32 v29, v27, 4, 4
	v_and_b32_e32 v28, 0x3030303, v25
	v_lshrrev_b32_e32 v30, 2, v25
	v_lshrrev_b32_e32 v32, 4, v25
	;; [unrolled: 1-line block ×3, first 2 shown]
	v_mul_lo_u32 v29, 0x1010101, v29
	v_dot4_i32_iu8 v28, v28, v22, 0 neg_lo:[1,1,0]
	v_add_nc_u32_e32 v10, 16, v10
	v_add_co_u32 v0, s4, 0x1200, v0
	s_wait_alu 0xf1ff
	v_add_co_ci_u32_e64 v1, null, 0, v1, s4
	s_delay_alu instid0(VALU_DEP_3) | instskip(SKIP_4) | instid1(VALU_DEP_3)
	v_cmp_le_u32_e32 vcc_lo, s15, v10
	v_dot4_i32_iu8 v22, v29, v22, 0 neg_lo:[1,1,0]
	v_and_b32_e32 v29, 0x3030303, v30
	v_and_b32_e32 v30, 0x3030303, v32
	s_or_b32 s13, vcc_lo, s13
	v_cvt_f32_i32_e32 v22, v22
	s_delay_alu instid0(VALU_DEP_3) | instskip(NEXT) | instid1(VALU_DEP_3)
	v_dot4_i32_iu8 v29, v29, v19, 0 neg_lo:[1,1,0]
	v_dot4_i32_iu8 v30, v30, v16, 0 neg_lo:[1,1,0]
	s_delay_alu instid0(VALU_DEP_3) | instskip(SKIP_3) | instid1(VALU_DEP_1)
	v_fma_f32 v22, v24, v22, 0
	s_wait_loadcnt 0x2
	v_and_b32_e32 v31, 15, v26
	v_bfe_u32 v26, v26, 4, 4
	v_mul_lo_u32 v26, 0x1010101, v26
	s_delay_alu instid0(VALU_DEP_1) | instskip(NEXT) | instid1(VALU_DEP_1)
	v_dot4_i32_iu8 v19, v26, v19, 0 neg_lo:[1,1,0]
	v_cvt_f32_i32_e32 v19, v19
	s_delay_alu instid0(VALU_DEP_1) | instskip(SKIP_1) | instid1(VALU_DEP_1)
	v_fmac_f32_e32 v22, v20, v19
	v_and_b32_e32 v27, 15, v27
	v_mul_lo_u32 v27, v27, v28
	s_wait_loadcnt 0x1
	v_bfe_u32 v28, v23, 4, 4
	s_delay_alu instid0(VALU_DEP_1) | instskip(NEXT) | instid1(VALU_DEP_3)
	v_mul_lo_u32 v28, 0x1010101, v28
	v_cvt_f32_i32_e32 v27, v27
	s_delay_alu instid0(VALU_DEP_1) | instskip(SKIP_1) | instid1(VALU_DEP_4)
	v_fma_f32 v26, v24, v27, 0
	v_mul_lo_u32 v27, v31, v29
	v_dot4_i32_iu8 v16, v28, v16, 0 neg_lo:[1,1,0]
	s_wait_loadcnt 0x0
	v_bfe_u32 v24, v21, 4, 4
	s_delay_alu instid0(VALU_DEP_2) | instskip(NEXT) | instid1(VALU_DEP_2)
	v_cvt_f32_i32_e32 v16, v16
	v_mul_lo_u32 v24, 0x1010101, v24
	v_cvt_f32_i32_e32 v27, v27
	s_delay_alu instid0(VALU_DEP_3) | instskip(NEXT) | instid1(VALU_DEP_2)
	v_dual_fmac_f32 v22, v18, v16 :: v_dual_and_b32 v25, 0x3030303, v25
	v_fmac_f32_e32 v26, v20, v27
	v_and_b32_e32 v23, 15, v23
	v_lshrrev_b32_e32 v16, 16, v14
	s_delay_alu instid0(VALU_DEP_4) | instskip(SKIP_1) | instid1(VALU_DEP_4)
	v_dot4_i32_iu8 v25, v25, v15, 0 neg_lo:[1,1,0]
	v_dot4_i32_iu8 v15, v24, v15, 0 neg_lo:[1,1,0]
	v_mul_lo_u32 v23, v23, v30
	s_delay_alu instid0(VALU_DEP_2) | instskip(NEXT) | instid1(VALU_DEP_2)
	v_cvt_f32_i32_e32 v15, v15
	v_cvt_f32_i32_e32 v20, v23
	s_delay_alu instid0(VALU_DEP_2) | instskip(SKIP_1) | instid1(VALU_DEP_3)
	v_fmac_f32_e32 v22, v17, v15
	v_cvt_f32_f16_e32 v15, v16
	v_dual_fmac_f32 v26, v18, v20 :: v_dual_and_b32 v21, 15, v21
	s_delay_alu instid0(VALU_DEP_2) | instskip(NEXT) | instid1(VALU_DEP_2)
	v_mul_f32_e32 v15, v22, v15
	v_mul_lo_u32 v19, v21, v25
	s_delay_alu instid0(VALU_DEP_1) | instskip(NEXT) | instid1(VALU_DEP_1)
	v_cvt_f32_i32_e32 v18, v19
	v_fmac_f32_e32 v26, v17, v18
	s_delay_alu instid0(VALU_DEP_1) | instskip(NEXT) | instid1(VALU_DEP_1)
	v_fma_mix_f32 v14, v26, v14, -v15 op_sel_hi:[0,1,0]
	v_add_f32_e32 v9, v9, v14
	s_and_not1_b32 exec_lo, exec_lo, s13
	s_cbranch_execz .LBB99_14
.LBB99_12:                              ; =>This Inner Loop Header: Depth=1
	s_wait_alu 0xfffe
	v_add_nc_u32_e32 v28, s5, v10
	v_add_co_u32 v14, vcc_lo, v0, v12
	s_wait_alu 0xfffd
	v_add_co_ci_u32_e64 v15, null, 0, v1, vcc_lo
	s_delay_alu instid0(VALU_DEP_3)
	v_mad_co_i64_i32 v[17:18], null, 0x54, v28, s[8:9]
	s_clause 0x3
	global_load_b32 v22, v[14:15], off offset:4
	global_load_b32 v19, v[14:15], off offset:40
	;; [unrolled: 1-line block ×4, first 2 shown]
	v_add_co_u32 v20, vcc_lo, v17, v13
	s_wait_alu 0xfffd
	v_add_co_ci_u32_e64 v21, null, 0, v18, vcc_lo
	v_add_co_u32 v29, vcc_lo, v17, v11
	s_wait_alu 0xfffd
	v_add_co_ci_u32_e64 v30, null, 0, v18, vcc_lo
	s_clause 0x3
	global_load_b32 v24, v[0:1], off
	global_load_b32 v31, v[0:1], off offset:36
	global_load_b32 v32, v[0:1], off offset:72
	;; [unrolled: 1-line block ×3, first 2 shown]
	s_clause 0x5
	global_load_b32 v25, v[20:21], off offset:16
	global_load_b32 v14, v[17:18], off offset:80
	global_load_u8 v27, v[29:30], off
	global_load_u8 v26, v[29:30], off offset:2
	global_load_u8 v23, v[29:30], off offset:4
	global_load_u8 v21, v[29:30], off offset:6
	s_and_not1_b32 vcc_lo, exec_lo, s14
	s_wait_loadcnt 0x9
	v_cvt_f32_f16_e32 v24, v24
	s_wait_loadcnt 0x8
	v_cvt_f32_f16_e32 v20, v31
	;; [unrolled: 2-line block ×4, first 2 shown]
	s_wait_alu 0xfffe
	s_cbranch_vccnz .LBB99_11
; %bb.13:                               ;   in Loop: Header=BB99_12 Depth=1
	v_mad_co_i64_i32 v[28:29], null, 0x54, v28, s[16:17]
	s_delay_alu instid0(VALU_DEP_1) | instskip(SKIP_1) | instid1(VALU_DEP_2)
	v_add_co_u32 v30, vcc_lo, v28, v13
	s_wait_alu 0xfffd
	v_add_co_ci_u32_e64 v31, null, 0, v29, vcc_lo
	v_add_co_u32 v32, vcc_lo, v28, v11
	s_wait_alu 0xfffd
	v_add_co_ci_u32_e64 v33, null, 0, v29, vcc_lo
	s_clause 0x5
	global_load_b32 v30, v[30:31], off offset:16
	global_load_u8 v31, v[32:33], off
	global_load_u8 v34, v[32:33], off offset:2
	global_load_u8 v35, v[32:33], off offset:4
	;; [unrolled: 1-line block ×3, first 2 shown]
	global_load_b32 v28, v[28:29], off offset:80
	s_wait_loadcnt 0x5
	v_lshrrev_b32_e32 v38, 4, v30
	s_wait_loadcnt 0x4
	v_and_b32_e32 v33, 15, v31
	v_lshrrev_b32_e32 v31, 4, v31
	s_wait_loadcnt 0x3
	v_and_b32_e32 v37, 15, v34
	;; [unrolled: 3-line block ×3, first 2 shown]
	v_lshrrev_b32_e32 v35, 4, v35
	v_mul_lo_u32 v31, 0x1010101, v31
	v_lshrrev_b32_e32 v36, 2, v30
	v_mul_lo_u32 v34, 0x1010101, v34
	s_delay_alu instid0(VALU_DEP_4) | instskip(NEXT) | instid1(VALU_DEP_4)
	v_mul_lo_u32 v35, 0x1010101, v35
	v_dot4_i32_iu8 v31, v31, v22, 0 neg_lo:[1,1,0]
	s_delay_alu instid0(VALU_DEP_3) | instskip(NEXT) | instid1(VALU_DEP_3)
	v_dot4_i32_iu8 v34, v34, v19, 0 neg_lo:[1,1,0]
	v_dot4_i32_iu8 v35, v35, v16, 0 neg_lo:[1,1,0]
	s_delay_alu instid0(VALU_DEP_3) | instskip(NEXT) | instid1(VALU_DEP_3)
	v_cvt_f32_i32_e32 v31, v31
	v_cvt_f32_i32_e32 v34, v34
	s_delay_alu instid0(VALU_DEP_3) | instskip(NEXT) | instid1(VALU_DEP_3)
	v_cvt_f32_i32_e32 v35, v35
	v_fma_f32 v31, v24, v31, 0
	s_wait_loadcnt 0x1
	v_and_b32_e32 v40, 15, v32
	v_lshrrev_b32_e32 v32, 4, v32
	s_delay_alu instid0(VALU_DEP_3) | instskip(SKIP_1) | instid1(VALU_DEP_3)
	v_fmac_f32_e32 v31, v20, v34
	v_and_b32_e32 v38, 0x3030303, v38
	v_mul_lo_u32 v32, 0x1010101, v32
	s_delay_alu instid0(VALU_DEP_3) | instskip(NEXT) | instid1(VALU_DEP_2)
	v_fmac_f32_e32 v31, v18, v35
	v_dot4_i32_iu8 v32, v32, v15, 0 neg_lo:[1,1,0]
	s_delay_alu instid0(VALU_DEP_1) | instskip(NEXT) | instid1(VALU_DEP_1)
	v_cvt_f32_i32_e32 v32, v32
	v_fmac_f32_e32 v31, v17, v32
	v_and_b32_e32 v29, 0x3030303, v30
	v_lshrrev_b32_e32 v30, 6, v30
	s_delay_alu instid0(VALU_DEP_2) | instskip(NEXT) | instid1(VALU_DEP_2)
	v_dot4_i32_iu8 v29, v29, v22, 0 neg_lo:[1,1,0]
	v_and_b32_e32 v30, 0x3030303, v30
	s_delay_alu instid0(VALU_DEP_2) | instskip(NEXT) | instid1(VALU_DEP_2)
	v_mul_lo_u32 v29, v33, v29
	v_dot4_i32_iu8 v30, v30, v15, 0 neg_lo:[1,1,0]
	s_delay_alu instid0(VALU_DEP_1) | instskip(NEXT) | instid1(VALU_DEP_3)
	v_mul_lo_u32 v30, v40, v30
	v_cvt_f32_i32_e32 v29, v29
	s_delay_alu instid0(VALU_DEP_1) | instskip(SKIP_1) | instid1(VALU_DEP_4)
	v_fma_f32 v29, v24, v29, 0
	v_and_b32_e32 v36, 0x3030303, v36
	v_cvt_f32_i32_e32 v30, v30
	s_delay_alu instid0(VALU_DEP_2) | instskip(SKIP_1) | instid1(VALU_DEP_2)
	v_dot4_i32_iu8 v33, v36, v19, 0 neg_lo:[1,1,0]
	v_dot4_i32_iu8 v36, v38, v16, 0 neg_lo:[1,1,0]
	v_mul_lo_u32 v33, v37, v33
	s_delay_alu instid0(VALU_DEP_2) | instskip(NEXT) | instid1(VALU_DEP_2)
	v_mul_lo_u32 v36, v39, v36
	v_cvt_f32_i32_e32 v33, v33
	s_delay_alu instid0(VALU_DEP_2) | instskip(NEXT) | instid1(VALU_DEP_2)
	v_cvt_f32_i32_e32 v34, v36
	v_fmac_f32_e32 v29, v20, v33
	s_wait_loadcnt 0x0
	v_lshrrev_b32_e32 v33, 16, v28
	s_delay_alu instid0(VALU_DEP_2) | instskip(NEXT) | instid1(VALU_DEP_2)
	v_fmac_f32_e32 v29, v18, v34
	v_cvt_f32_f16_e32 v32, v33
	s_delay_alu instid0(VALU_DEP_1) | instskip(NEXT) | instid1(VALU_DEP_1)
	v_dual_fmac_f32 v29, v17, v30 :: v_dual_mul_f32 v30, v31, v32
	v_fma_mix_f32 v28, v29, v28, -v30 op_sel_hi:[0,1,0]
	s_delay_alu instid0(VALU_DEP_1)
	v_add_f32_e32 v7, v7, v28
	s_branch .LBB99_11
.LBB99_14:
	s_or_b32 exec_lo, exec_lo, s13
.LBB99_15:
	s_delay_alu instid0(SALU_CYCLE_1)
	s_or_b32 exec_lo, exec_lo, s18
	s_load_b32 s5, s[0:1], 0x30
	v_cmp_eq_u32_e64 s4, 0, v8
	s_mov_b32 s7, exec_lo
	v_cmpx_ne_u32_e32 0, v8
	s_cbranch_execz .LBB99_19
; %bb.16:
	v_add_nc_u32_e32 v0, -1, v8
	s_and_b32 vcc_lo, exec_lo, s14
	s_delay_alu instid0(VALU_DEP_1)
	v_lshlrev_b32_e32 v0, 7, v0
	s_wait_alu 0xfffe
	s_cbranch_vccz .LBB99_18
; %bb.17:
	s_delay_alu instid0(VALU_DEP_1)
	v_lshl_add_u32 v1, v3, 2, v0
	ds_store_b32 v1, v7 offset:896
.LBB99_18:
	s_delay_alu instid0(VALU_DEP_1)
	v_lshl_add_u32 v0, v3, 2, v0
	ds_store_b32 v0, v9
.LBB99_19:
	s_or_b32 exec_lo, exec_lo, s7
	s_wait_loadcnt_dscnt 0x0
	s_barrier_signal -1
	s_barrier_wait -1
	global_inv scope:SCOPE_SE
	s_and_saveexec_b32 s7, s4
	s_cbranch_execz .LBB99_61
; %bb.20:
	ds_load_b32 v0, v2
	v_cmp_ne_u32_e32 vcc_lo, 1, v6
	v_add_nc_u32_e32 v1, 0x380, v2
	s_cbranch_vccnz .LBB99_22
; %bb.21:
	ds_load_b32 v8, v1
	s_wait_dscnt 0x0
	v_add_f32_e32 v7, v7, v8
.LBB99_22:
	ds_load_b32 v8, v2 offset:128
	v_cmp_ne_u32_e32 vcc_lo, 1, v6
	s_cbranch_vccnz .LBB99_24
; %bb.23:
	ds_load_b32 v10, v1 offset:128
	s_wait_dscnt 0x0
	v_add_f32_e32 v7, v7, v10
.LBB99_24:
	ds_load_b32 v10, v2 offset:256
	v_cmp_ne_u32_e32 vcc_lo, 1, v6
	s_cbranch_vccnz .LBB99_26
; %bb.25:
	ds_load_b32 v11, v1 offset:256
	s_wait_dscnt 0x0
	v_add_f32_e32 v7, v7, v11
.LBB99_26:
	;; [unrolled: 8-line block ×6, first 2 shown]
	s_wait_dscnt 0x6
	v_add_f32_e32 v0, v9, v0
	v_mbcnt_lo_u32_b32 v1, -1, 0
	s_delay_alu instid0(VALU_DEP_1) | instskip(SKIP_1) | instid1(VALU_DEP_3)
	v_xor_b32_e32 v9, 8, v1
	s_wait_dscnt 0x5
	v_add_f32_e32 v0, v0, v8
	v_xor_b32_e32 v8, 16, v1
	s_delay_alu instid0(VALU_DEP_1)
	v_cmp_gt_i32_e32 vcc_lo, 32, v8
	s_wait_alu 0xfffd
	v_cndmask_b32_e32 v8, v1, v8, vcc_lo
	v_cmp_gt_i32_e32 vcc_lo, 32, v9
	s_wait_dscnt 0x4
	s_wait_alu 0xfffd
	v_dual_cndmask_b32 v9, v1, v9 :: v_dual_add_f32 v0, v0, v10
	s_wait_dscnt 0x3
	s_delay_alu instid0(VALU_DEP_1) | instskip(SKIP_1) | instid1(VALU_DEP_1)
	v_dual_add_f32 v0, v0, v11 :: v_dual_lshlrev_b32 v9, 2, v9
	s_wait_dscnt 0x2
	v_add_f32_e32 v0, v0, v12
	s_wait_dscnt 0x1
	s_delay_alu instid0(VALU_DEP_1) | instskip(SKIP_1) | instid1(VALU_DEP_1)
	v_add_f32_e32 v0, v0, v13
	s_wait_dscnt 0x0
	v_add_f32_e32 v10, v0, v14
	v_lshlrev_b32_e32 v0, 2, v8
	ds_bpermute_b32 v8, v0, v10
	s_wait_dscnt 0x0
	v_add_f32_e32 v8, v10, v8
	v_xor_b32_e32 v10, 4, v1
	ds_bpermute_b32 v11, v9, v8
	v_cmp_gt_i32_e32 vcc_lo, 32, v10
	s_wait_alu 0xfffd
	v_cndmask_b32_e32 v10, v1, v10, vcc_lo
	s_delay_alu instid0(VALU_DEP_1)
	v_lshlrev_b32_e32 v10, 2, v10
	s_wait_dscnt 0x0
	v_add_f32_e32 v8, v8, v11
	v_xor_b32_e32 v11, 2, v1
	ds_bpermute_b32 v12, v10, v8
	v_cmp_gt_i32_e32 vcc_lo, 32, v11
	s_wait_alu 0xfffd
	v_cndmask_b32_e32 v11, v1, v11, vcc_lo
	s_wait_dscnt 0x0
	s_delay_alu instid0(VALU_DEP_1)
	v_dual_add_f32 v8, v8, v12 :: v_dual_lshlrev_b32 v11, 2, v11
	v_xor_b32_e32 v12, 1, v1
	ds_bpermute_b32 v13, v11, v8
	v_cmp_gt_i32_e32 vcc_lo, 32, v12
	s_wait_alu 0xfffd
	v_cndmask_b32_e32 v1, v1, v12, vcc_lo
	v_cmp_ne_u32_e32 vcc_lo, 1, v6
	s_delay_alu instid0(VALU_DEP_2)
	v_lshlrev_b32_e32 v12, 2, v1
	s_wait_dscnt 0x0
	v_add_f32_e32 v1, v8, v13
	ds_bpermute_b32 v8, v12, v1
	s_cbranch_vccnz .LBB99_36
; %bb.35:
	ds_bpermute_b32 v0, v0, v7
	s_wait_dscnt 0x0
	v_add_f32_e32 v0, v7, v0
	ds_bpermute_b32 v7, v9, v0
	s_wait_dscnt 0x0
	v_add_f32_e32 v0, v0, v7
	ds_bpermute_b32 v7, v10, v0
	s_wait_dscnt 0x0
	v_add_f32_e32 v0, v0, v7
	ds_bpermute_b32 v7, v11, v0
	s_wait_dscnt 0x0
	v_add_f32_e32 v0, v0, v7
	ds_bpermute_b32 v7, v12, v0
	s_wait_dscnt 0x0
	v_add_f32_e32 v7, v0, v7
.LBB99_36:
	v_cmp_eq_u32_e32 vcc_lo, 0, v3
	s_and_b32 exec_lo, exec_lo, vcc_lo
	s_cbranch_execz .LBB99_61
; %bb.37:
	s_wait_dscnt 0x0
	v_add_f32_e32 v0, v1, v8
	v_cmp_ne_u32_e32 vcc_lo, 1, v6
	s_delay_alu instid0(VALU_DEP_2) | instskip(NEXT) | instid1(VALU_DEP_1)
	v_add_f32_e32 v1, v5, v0
	v_cndmask_b32_e64 v0, v0, v1, s2
	s_cbranch_vccnz .LBB99_60
; %bb.38:
	v_add_f32_e32 v1, v4, v7
	s_wait_kmcnt 0x0
	s_cmp_lt_i32 s5, 2
	s_mov_b32 s2, 0
	s_delay_alu instid0(VALU_DEP_1)
	v_cndmask_b32_e64 v1, v7, v1, s3
	s_cbranch_scc1 .LBB99_43
; %bb.39:
	s_cmp_gt_i32 s5, 2
	s_cbranch_scc0 .LBB99_44
; %bb.40:
	s_cmp_eq_u32 s5, 3
	s_cbranch_scc0 .LBB99_45
; %bb.41:
	v_max_num_f32_e32 v3, v1, v1
	s_mov_b32 s3, 0xc0e00000
	s_delay_alu instid0(VALU_DEP_1) | instskip(NEXT) | instid1(VALU_DEP_1)
	v_min_num_f32_e32 v3, 0x40e00000, v3
	v_mul_f32_e32 v4, 0xbfd9db23, v3
	s_delay_alu instid0(VALU_DEP_1) | instskip(NEXT) | instid1(VALU_DEP_1)
	v_mul_f32_e32 v5, 0x3fb8aa3b, v4
	v_fma_f32 v6, 0x3fb8aa3b, v4, -v5
	v_rndne_f32_e32 v7, v5
	s_delay_alu instid0(VALU_DEP_1) | instskip(NEXT) | instid1(VALU_DEP_1)
	v_dual_fmamk_f32 v6, v4, 0x32a5705f, v6 :: v_dual_sub_f32 v5, v5, v7
	v_add_f32_e32 v5, v5, v6
	v_cvt_i32_f32_e32 v6, v7
	v_cmp_ngt_f32_e32 vcc_lo, 0xc2ce8ed0, v4
	s_delay_alu instid0(VALU_DEP_3) | instskip(NEXT) | instid1(TRANS32_DEP_1)
	v_exp_f32_e32 v5, v5
	v_ldexp_f32 v5, v5, v6
	s_wait_alu 0xfffd
	s_delay_alu instid0(VALU_DEP_1) | instskip(SKIP_2) | instid1(VALU_DEP_2)
	v_cndmask_b32_e32 v5, 0, v5, vcc_lo
	v_cmp_nlt_f32_e32 vcc_lo, 0x42b17218, v4
	s_wait_alu 0xfffd
	v_cndmask_b32_e32 v4, 0x7f800000, v5, vcc_lo
	s_delay_alu instid0(VALU_DEP_1) | instskip(NEXT) | instid1(VALU_DEP_1)
	v_add_f32_e32 v4, 1.0, v4
	v_div_scale_f32 v5, null, v4, v4, v3
	v_div_scale_f32 v8, vcc_lo, v3, v4, v3
	s_delay_alu instid0(VALU_DEP_2) | instskip(NEXT) | instid1(TRANS32_DEP_1)
	v_rcp_f32_e32 v6, v5
	v_fma_f32 v7, -v5, v6, 1.0
	s_delay_alu instid0(VALU_DEP_1) | instskip(NEXT) | instid1(VALU_DEP_1)
	v_fmac_f32_e32 v6, v7, v6
	v_mul_f32_e32 v7, v8, v6
	s_delay_alu instid0(VALU_DEP_1) | instskip(NEXT) | instid1(VALU_DEP_1)
	v_fma_f32 v9, -v5, v7, v8
	v_fmac_f32_e32 v7, v9, v6
	s_delay_alu instid0(VALU_DEP_1) | instskip(SKIP_2) | instid1(VALU_DEP_2)
	v_fma_f32 v5, -v5, v7, v8
	v_max_num_f32_e32 v8, v0, v0
	s_wait_alu 0xfffd
	v_div_fmas_f32 v5, v5, v6, v7
	s_wait_alu 0xfffe
	s_delay_alu instid0(VALU_DEP_2) | instskip(SKIP_1) | instid1(VALU_DEP_2)
	v_minmax_num_f32 v6, v8, 0x40e00000, s3
	s_mov_b32 s3, 0
	v_div_fixup_f32 v3, v5, v4, v3
	s_delay_alu instid0(VALU_DEP_2) | instskip(NEXT) | instid1(VALU_DEP_1)
	v_add_f32_e32 v4, 1.0, v6
	v_mul_f32_e32 v3, v4, v3
	s_branch .LBB99_46
.LBB99_42:
                                        ; implicit-def: $sgpr28
	s_clause 0x1
	s_load_b32 s30, s[0:1], 0x50
	s_load_b32 s29, s[0:1], 0x78
	s_branch .LBB99_2
.LBB99_43:
	s_mov_b32 s3, 0
                                        ; implicit-def: $vgpr3
	s_cbranch_execnz .LBB99_50
	s_branch .LBB99_51
.LBB99_44:
	s_mov_b32 s4, -1
	s_mov_b32 s3, 0
                                        ; implicit-def: $vgpr3
	s_branch .LBB99_47
.LBB99_45:
	s_mov_b32 s3, -1
                                        ; implicit-def: $vgpr3
.LBB99_46:
	s_mov_b32 s4, 0
.LBB99_47:
	s_wait_alu 0xfffe
	s_and_b32 vcc_lo, exec_lo, s4
	s_wait_alu 0xfffe
	s_cbranch_vccz .LBB99_49
; %bb.48:
	v_mul_f32_e32 v3, 0xbfb8aa3b, v1
	v_cmp_nlt_f32_e32 vcc_lo, 0x42ce8ed0, v1
	s_delay_alu instid0(VALU_DEP_2) | instskip(SKIP_1) | instid1(VALU_DEP_2)
	v_rndne_f32_e32 v4, v3
	v_fma_f32 v5, 0xbfb8aa3b, v1, -v3
	v_sub_f32_e32 v3, v3, v4
	s_delay_alu instid0(VALU_DEP_2) | instskip(SKIP_1) | instid1(VALU_DEP_2)
	v_fmamk_f32 v5, v1, 0xb2a5705f, v5
	v_cvt_i32_f32_e32 v4, v4
	v_add_f32_e32 v3, v3, v5
	s_delay_alu instid0(VALU_DEP_1) | instskip(NEXT) | instid1(TRANS32_DEP_1)
	v_exp_f32_e32 v3, v3
	v_ldexp_f32 v3, v3, v4
	s_wait_alu 0xfffd
	s_delay_alu instid0(VALU_DEP_1) | instskip(SKIP_2) | instid1(VALU_DEP_2)
	v_cndmask_b32_e32 v3, 0, v3, vcc_lo
	v_cmp_ngt_f32_e32 vcc_lo, 0xc2b17218, v1
	s_wait_alu 0xfffd
	v_cndmask_b32_e32 v3, 0x7f800000, v3, vcc_lo
	s_delay_alu instid0(VALU_DEP_1) | instskip(NEXT) | instid1(VALU_DEP_1)
	v_add_f32_e32 v3, 1.0, v3
	v_div_scale_f32 v4, null, v3, v3, v1
	s_delay_alu instid0(VALU_DEP_1) | instskip(NEXT) | instid1(TRANS32_DEP_1)
	v_rcp_f32_e32 v5, v4
	v_fma_f32 v6, -v4, v5, 1.0
	s_delay_alu instid0(VALU_DEP_1) | instskip(SKIP_1) | instid1(VALU_DEP_1)
	v_fmac_f32_e32 v5, v6, v5
	v_div_scale_f32 v6, vcc_lo, v1, v3, v1
	v_mul_f32_e32 v7, v6, v5
	s_delay_alu instid0(VALU_DEP_1) | instskip(NEXT) | instid1(VALU_DEP_1)
	v_fma_f32 v8, -v4, v7, v6
	v_fmac_f32_e32 v7, v8, v5
	s_delay_alu instid0(VALU_DEP_1) | instskip(SKIP_1) | instid1(VALU_DEP_1)
	v_fma_f32 v4, -v4, v7, v6
	s_wait_alu 0xfffd
	v_div_fmas_f32 v4, v4, v5, v7
	s_delay_alu instid0(VALU_DEP_1) | instskip(NEXT) | instid1(VALU_DEP_1)
	v_div_fixup_f32 v3, v4, v3, v1
	v_mul_f32_e32 v3, v0, v3
.LBB99_49:
	s_branch .LBB99_51
.LBB99_50:
	s_cmp_lg_u32 s5, 1
	s_mov_b32 s2, -1
	s_cselect_b32 s3, -1, 0
.LBB99_51:
	s_wait_alu 0xfffe
	s_and_not1_b32 vcc_lo, exec_lo, s3
	s_wait_alu 0xfffe
	s_cbranch_vccz .LBB99_53
; %bb.52:
	s_and_not1_b32 vcc_lo, exec_lo, s2
	s_wait_alu 0xfffe
	s_cbranch_vccz .LBB99_54
	s_branch .LBB99_59
.LBB99_53:
	v_mul_f32_e32 v3, v1, v0
	s_cbranch_execnz .LBB99_59
.LBB99_54:
	v_mul_f32_e32 v3, 0x3d372713, v1
	v_mul_f32_e32 v4, 0x3f4c422a, v1
	s_delay_alu instid0(VALU_DEP_2) | instskip(NEXT) | instid1(VALU_DEP_1)
	v_fma_f32 v3, v1, v3, 1.0
	v_mul_f32_e32 v3, v4, v3
                                        ; implicit-def: $vgpr4
	s_delay_alu instid0(VALU_DEP_1)
	v_cmp_ngt_f32_e64 s2, 0x3f200000, |v3|
	s_and_saveexec_b32 s3, s2
	s_wait_alu 0xfffe
	s_xor_b32 s2, exec_lo, s3
	s_cbranch_execz .LBB99_56
; %bb.55:
	v_add_f32_e64 v4, |v3|, |v3|
	s_delay_alu instid0(VALU_DEP_1) | instskip(SKIP_1) | instid1(VALU_DEP_2)
	v_mul_f32_e32 v5, 0x3fb8aa3b, v4
	v_cmp_ngt_f32_e32 vcc_lo, 0xc2ce8ed0, v4
	v_rndne_f32_e32 v6, v5
	v_fma_f32 v7, 0x3fb8aa3b, v4, -v5
	s_delay_alu instid0(VALU_DEP_2) | instskip(NEXT) | instid1(VALU_DEP_2)
	v_sub_f32_e32 v5, v5, v6
	v_fmamk_f32 v7, v4, 0x32a5705f, v7
	v_cvt_i32_f32_e32 v6, v6
	s_delay_alu instid0(VALU_DEP_2) | instskip(NEXT) | instid1(VALU_DEP_1)
	v_add_f32_e32 v5, v5, v7
	v_exp_f32_e32 v5, v5
	s_delay_alu instid0(TRANS32_DEP_1) | instskip(SKIP_1) | instid1(VALU_DEP_1)
	v_ldexp_f32 v5, v5, v6
	s_wait_alu 0xfffd
	v_cndmask_b32_e32 v5, 0, v5, vcc_lo
	v_cmp_nlt_f32_e32 vcc_lo, 0x42b17218, v4
	s_wait_alu 0xfffd
	s_delay_alu instid0(VALU_DEP_2) | instskip(NEXT) | instid1(VALU_DEP_1)
	v_cndmask_b32_e32 v4, 0x7f800000, v5, vcc_lo
	v_add_f32_e32 v4, 1.0, v4
	s_delay_alu instid0(VALU_DEP_1) | instskip(NEXT) | instid1(TRANS32_DEP_1)
	v_rcp_f32_e32 v4, v4
	v_fma_f32 v4, v4, -2.0, 1.0
.LBB99_56:
	s_wait_alu 0xfffe
	s_and_not1_saveexec_b32 s2, s2
	s_cbranch_execz .LBB99_58
; %bb.57:
	v_mul_f32_e32 v4, v3, v3
	s_mov_b32 s3, 0xbbbac73d
	s_wait_alu 0xfffe
	s_delay_alu instid0(VALU_DEP_1) | instskip(NEXT) | instid1(VALU_DEP_1)
	v_fmaak_f32 v5, s3, v4, 0x3ca908c9
	v_fmaak_f32 v5, v4, v5, 0xbd5c1c4e
	s_delay_alu instid0(VALU_DEP_1) | instskip(NEXT) | instid1(VALU_DEP_1)
	v_fmaak_f32 v5, v4, v5, 0x3e088382
	v_fmaak_f32 v5, v4, v5, 0xbeaaaa99
	s_delay_alu instid0(VALU_DEP_1) | instskip(NEXT) | instid1(VALU_DEP_1)
	v_mul_f32_e64 v5, |v3|, v5
	v_fma_f32 v4, v4, v5, |v3|
.LBB99_58:
	s_wait_alu 0xfffe
	s_or_b32 exec_lo, exec_lo, s2
	s_delay_alu instid0(VALU_DEP_1) | instskip(SKIP_1) | instid1(VALU_DEP_2)
	v_bfi_b32 v3, 0x7fffffff, v4, v3
	v_mul_f32_e32 v1, 0.5, v1
	v_add_f32_e32 v3, 1.0, v3
	s_delay_alu instid0(VALU_DEP_1) | instskip(NEXT) | instid1(VALU_DEP_1)
	v_mul_f32_e32 v1, v1, v3
	v_mul_f32_e32 v3, v0, v1
.LBB99_59:
	s_delay_alu instid0(VALU_DEP_1)
	v_mov_b32_e32 v0, v3
.LBB99_60:
	s_load_b64 s[0:1], s[0:1], 0x38
	s_mul_i32 s2, s6, s27
	s_wait_kmcnt 0x0
	s_mul_i32 s3, s26, s21
	s_wait_alu 0xfffe
	s_add_co_i32 s2, s2, ttmp9
	s_wait_alu 0xfffe
	s_add_co_i32 s2, s2, s3
	s_mov_b32 s3, 0
	s_wait_alu 0xfffe
	s_lshl_b64 s[2:3], s[2:3], 2
	s_wait_alu 0xfffe
	s_add_nc_u64 s[0:1], s[0:1], s[2:3]
	global_store_b32 v2, v0, s[0:1]
.LBB99_61:
	s_endpgm
	.section	.rodata,"a",@progbits
	.p2align	6, 0x0
	.amdhsa_kernel _ZL13mul_mat_vec_qIL9ggml_type10ELi1ELb1ELb0EEvPKvS2_PKi31ggml_cuda_mm_fusion_args_devicePfj15HIP_vector_typeIjLj3EEjjjS8_jjjS8_jjjj
		.amdhsa_group_segment_fixed_size 1792
		.amdhsa_private_segment_fixed_size 0
		.amdhsa_kernarg_size 144
		.amdhsa_user_sgpr_count 2
		.amdhsa_user_sgpr_dispatch_ptr 0
		.amdhsa_user_sgpr_queue_ptr 0
		.amdhsa_user_sgpr_kernarg_segment_ptr 1
		.amdhsa_user_sgpr_dispatch_id 0
		.amdhsa_user_sgpr_private_segment_size 0
		.amdhsa_wavefront_size32 1
		.amdhsa_uses_dynamic_stack 0
		.amdhsa_enable_private_segment 0
		.amdhsa_system_sgpr_workgroup_id_x 1
		.amdhsa_system_sgpr_workgroup_id_y 1
		.amdhsa_system_sgpr_workgroup_id_z 1
		.amdhsa_system_sgpr_workgroup_info 0
		.amdhsa_system_vgpr_workitem_id 1
		.amdhsa_next_free_vgpr 41
		.amdhsa_next_free_sgpr 38
		.amdhsa_reserve_vcc 1
		.amdhsa_float_round_mode_32 0
		.amdhsa_float_round_mode_16_64 0
		.amdhsa_float_denorm_mode_32 3
		.amdhsa_float_denorm_mode_16_64 3
		.amdhsa_fp16_overflow 0
		.amdhsa_workgroup_processor_mode 1
		.amdhsa_memory_ordered 1
		.amdhsa_forward_progress 1
		.amdhsa_inst_pref_size 30
		.amdhsa_round_robin_scheduling 0
		.amdhsa_exception_fp_ieee_invalid_op 0
		.amdhsa_exception_fp_denorm_src 0
		.amdhsa_exception_fp_ieee_div_zero 0
		.amdhsa_exception_fp_ieee_overflow 0
		.amdhsa_exception_fp_ieee_underflow 0
		.amdhsa_exception_fp_ieee_inexact 0
		.amdhsa_exception_int_div_zero 0
	.end_amdhsa_kernel
	.section	.text._ZL13mul_mat_vec_qIL9ggml_type10ELi1ELb1ELb0EEvPKvS2_PKi31ggml_cuda_mm_fusion_args_devicePfj15HIP_vector_typeIjLj3EEjjjS8_jjjS8_jjjj,"axG",@progbits,_ZL13mul_mat_vec_qIL9ggml_type10ELi1ELb1ELb0EEvPKvS2_PKi31ggml_cuda_mm_fusion_args_devicePfj15HIP_vector_typeIjLj3EEjjjS8_jjjS8_jjjj,comdat
.Lfunc_end99:
	.size	_ZL13mul_mat_vec_qIL9ggml_type10ELi1ELb1ELb0EEvPKvS2_PKi31ggml_cuda_mm_fusion_args_devicePfj15HIP_vector_typeIjLj3EEjjjS8_jjjS8_jjjj, .Lfunc_end99-_ZL13mul_mat_vec_qIL9ggml_type10ELi1ELb1ELb0EEvPKvS2_PKi31ggml_cuda_mm_fusion_args_devicePfj15HIP_vector_typeIjLj3EEjjjS8_jjjS8_jjjj
                                        ; -- End function
	.set _ZL13mul_mat_vec_qIL9ggml_type10ELi1ELb1ELb0EEvPKvS2_PKi31ggml_cuda_mm_fusion_args_devicePfj15HIP_vector_typeIjLj3EEjjjS8_jjjS8_jjjj.num_vgpr, 41
	.set _ZL13mul_mat_vec_qIL9ggml_type10ELi1ELb1ELb0EEvPKvS2_PKi31ggml_cuda_mm_fusion_args_devicePfj15HIP_vector_typeIjLj3EEjjjS8_jjjS8_jjjj.num_agpr, 0
	.set _ZL13mul_mat_vec_qIL9ggml_type10ELi1ELb1ELb0EEvPKvS2_PKi31ggml_cuda_mm_fusion_args_devicePfj15HIP_vector_typeIjLj3EEjjjS8_jjjS8_jjjj.numbered_sgpr, 38
	.set _ZL13mul_mat_vec_qIL9ggml_type10ELi1ELb1ELb0EEvPKvS2_PKi31ggml_cuda_mm_fusion_args_devicePfj15HIP_vector_typeIjLj3EEjjjS8_jjjS8_jjjj.num_named_barrier, 0
	.set _ZL13mul_mat_vec_qIL9ggml_type10ELi1ELb1ELb0EEvPKvS2_PKi31ggml_cuda_mm_fusion_args_devicePfj15HIP_vector_typeIjLj3EEjjjS8_jjjS8_jjjj.private_seg_size, 0
	.set _ZL13mul_mat_vec_qIL9ggml_type10ELi1ELb1ELb0EEvPKvS2_PKi31ggml_cuda_mm_fusion_args_devicePfj15HIP_vector_typeIjLj3EEjjjS8_jjjS8_jjjj.uses_vcc, 1
	.set _ZL13mul_mat_vec_qIL9ggml_type10ELi1ELb1ELb0EEvPKvS2_PKi31ggml_cuda_mm_fusion_args_devicePfj15HIP_vector_typeIjLj3EEjjjS8_jjjS8_jjjj.uses_flat_scratch, 0
	.set _ZL13mul_mat_vec_qIL9ggml_type10ELi1ELb1ELb0EEvPKvS2_PKi31ggml_cuda_mm_fusion_args_devicePfj15HIP_vector_typeIjLj3EEjjjS8_jjjS8_jjjj.has_dyn_sized_stack, 0
	.set _ZL13mul_mat_vec_qIL9ggml_type10ELi1ELb1ELb0EEvPKvS2_PKi31ggml_cuda_mm_fusion_args_devicePfj15HIP_vector_typeIjLj3EEjjjS8_jjjS8_jjjj.has_recursion, 0
	.set _ZL13mul_mat_vec_qIL9ggml_type10ELi1ELb1ELb0EEvPKvS2_PKi31ggml_cuda_mm_fusion_args_devicePfj15HIP_vector_typeIjLj3EEjjjS8_jjjS8_jjjj.has_indirect_call, 0
	.section	.AMDGPU.csdata,"",@progbits
; Kernel info:
; codeLenInByte = 3828
; TotalNumSgprs: 40
; NumVgprs: 41
; ScratchSize: 0
; MemoryBound: 0
; FloatMode: 240
; IeeeMode: 1
; LDSByteSize: 1792 bytes/workgroup (compile time only)
; SGPRBlocks: 0
; VGPRBlocks: 5
; NumSGPRsForWavesPerEU: 40
; NumVGPRsForWavesPerEU: 41
; Occupancy: 16
; WaveLimiterHint : 0
; COMPUTE_PGM_RSRC2:SCRATCH_EN: 0
; COMPUTE_PGM_RSRC2:USER_SGPR: 2
; COMPUTE_PGM_RSRC2:TRAP_HANDLER: 0
; COMPUTE_PGM_RSRC2:TGID_X_EN: 1
; COMPUTE_PGM_RSRC2:TGID_Y_EN: 1
; COMPUTE_PGM_RSRC2:TGID_Z_EN: 1
; COMPUTE_PGM_RSRC2:TIDIG_COMP_CNT: 1
	.section	.text._ZL13mul_mat_vec_qIL9ggml_type10ELi1ELb0ELb0EEvPKvS2_PKi31ggml_cuda_mm_fusion_args_devicePfj15HIP_vector_typeIjLj3EEjjjS8_jjjS8_jjjj,"axG",@progbits,_ZL13mul_mat_vec_qIL9ggml_type10ELi1ELb0ELb0EEvPKvS2_PKi31ggml_cuda_mm_fusion_args_devicePfj15HIP_vector_typeIjLj3EEjjjS8_jjjS8_jjjj,comdat
	.globl	_ZL13mul_mat_vec_qIL9ggml_type10ELi1ELb0ELb0EEvPKvS2_PKi31ggml_cuda_mm_fusion_args_devicePfj15HIP_vector_typeIjLj3EEjjjS8_jjjS8_jjjj ; -- Begin function _ZL13mul_mat_vec_qIL9ggml_type10ELi1ELb0ELb0EEvPKvS2_PKi31ggml_cuda_mm_fusion_args_devicePfj15HIP_vector_typeIjLj3EEjjjS8_jjjS8_jjjj
	.p2align	8
	.type	_ZL13mul_mat_vec_qIL9ggml_type10ELi1ELb0ELb0EEvPKvS2_PKi31ggml_cuda_mm_fusion_args_devicePfj15HIP_vector_typeIjLj3EEjjjS8_jjjS8_jjjj,@function
_ZL13mul_mat_vec_qIL9ggml_type10ELi1ELb0ELb0EEvPKvS2_PKi31ggml_cuda_mm_fusion_args_devicePfj15HIP_vector_typeIjLj3EEjjjS8_jjjS8_jjjj: ; @_ZL13mul_mat_vec_qIL9ggml_type10ELi1ELb0ELb0EEvPKvS2_PKi31ggml_cuda_mm_fusion_args_devicePfj15HIP_vector_typeIjLj3EEjjjS8_jjjS8_jjjj
; %bb.0:
	s_clause 0x1
	s_load_b64 s[2:3], s[0:1], 0x10
	s_load_b128 s[8:11], s[0:1], 0x40
	s_and_b32 s15, ttmp7, 0xffff
	s_wait_kmcnt 0x0
	s_cmp_lg_u64 s[2:3], 0
	s_cselect_b32 s12, -1, 0
	s_cmp_eq_u64 s[2:3], 0
	s_cbranch_scc1 .LBB100_15
; %bb.1:
	s_lshl_b32 s4, s15, 2
	s_load_b32 s2, s[2:3], s4 offset:0x0
	s_clause 0x1
	s_load_b128 s[4:7], s[0:1], 0x68
	s_load_b32 s3, s[0:1], 0x50
	s_cbranch_execnz .LBB100_3
.LBB100_2:
	s_load_b64 s[16:17], s[0:1], 0x5c
	s_wait_kmcnt 0x0
	s_mul_hi_u32 s2, s16, s15
	s_delay_alu instid0(SALU_CYCLE_1) | instskip(NEXT) | instid1(SALU_CYCLE_1)
	s_add_co_i32 s2, s15, s2
	s_lshr_b32 s2, s2, s17
.LBB100_3:
	s_load_b32 s20, s[0:1], 0x78
	s_and_not1_b32 vcc_lo, exec_lo, s12
	s_mov_b32 s19, s15
	s_cbranch_vccnz .LBB100_5
; %bb.4:
	s_mul_hi_u32 s9, s9, s15
	s_delay_alu instid0(SALU_CYCLE_1) | instskip(NEXT) | instid1(SALU_CYCLE_1)
	s_add_co_i32 s9, s15, s9
	s_lshr_b32 s9, s9, s10
	s_delay_alu instid0(SALU_CYCLE_1) | instskip(NEXT) | instid1(SALU_CYCLE_1)
	s_mul_i32 s9, s9, s11
	s_sub_co_i32 s19, s15, s9
.LBB100_5:
	s_load_b96 s[12:14], s[0:1], 0x80
	v_bfe_u32 v3, v0, 10, 10
	v_and_b32_e32 v2, 0x3ff, v0
	v_mov_b32_e32 v4, 0
	s_lshr_b32 s18, s8, 8
	s_lshr_b32 s16, ttmp7, 16
	s_mov_b32 s17, exec_lo
	v_lshl_add_u32 v0, v3, 5, v2
	s_delay_alu instid0(VALU_DEP_1) | instskip(NEXT) | instid1(VALU_DEP_1)
	v_lshrrev_b32_e32 v5, 4, v0
	v_cmpx_gt_u32_e64 s18, v5
	s_cbranch_execz .LBB100_9
; %bb.6:
	s_load_b128 s[8:11], s[0:1], 0x0
	v_bfe_u32 v4, v2, 3, 1
	s_wait_kmcnt 0x0
	s_mul_hi_u32 s7, s7, s16
	v_lshrrev_b32_e32 v6, 4, v0
	s_add_co_i32 s7, s16, s7
	s_mul_i32 s21, s3, ttmp9
	v_mul_hi_u32_u24_e32 v1, 0x90, v4
	v_mul_u32_u24_e32 v0, 0x90, v4
	s_lshr_b32 s3, s7, s20
	s_mul_i32 s7, s2, s4
	s_mul_i32 s20, s3, s12
	;; [unrolled: 1-line block ×3, first 2 shown]
	s_mov_b32 s3, 0
	v_mad_co_u64_u32 v[0:1], null, 0x120, v6, v[0:1]
	s_mul_i32 s4, s19, s5
	s_mov_b32 s5, s3
	s_mul_u64 s[12:13], s[2:3], 36
	s_mul_u64 s[4:5], s[4:5], 36
	v_and_b32_e32 v8, 15, v2
	s_add_nc_u64 s[10:11], s[10:11], s[12:13]
	v_dual_mov_b32 v4, 0 :: v_dual_and_b32 v7, 7, v2
	v_bfe_u32 v9, v2, 2, 1
	s_add_nc_u64 s[4:5], s[10:11], s[4:5]
	v_lshlrev_b32_e32 v8, 2, v8
	v_add_co_u32 v0, vcc_lo, s4, v0
	s_delay_alu instid0(VALU_DEP_3) | instskip(SKIP_3) | instid1(SALU_CYCLE_1)
	v_and_or_b32 v6, v2, 8, v9
	v_lshlrev_b32_e32 v7, 2, v7
	v_add_co_ci_u32_e64 v1, null, s5, v1, vcc_lo
	s_add_co_i32 s20, s20, s21
	s_add_co_i32 s4, s7, s20
.LBB100_7:                              ; =>This Inner Loop Header: Depth=1
	s_wait_alu 0xfffe
	v_add_nc_u32_e32 v11, s4, v5
	v_add_co_u32 v9, vcc_lo, v0, v7
	s_wait_alu 0xfffd
	v_add_co_ci_u32_e64 v10, null, 0, v1, vcc_lo
	s_delay_alu instid0(VALU_DEP_3)
	v_mad_co_i64_i32 v[11:12], null, 0x54, v11, s[8:9]
	s_clause 0x6
	global_load_b32 v15, v[0:1], off
	global_load_b32 v16, v[0:1], off offset:36
	global_load_b32 v17, v[0:1], off offset:72
	;; [unrolled: 1-line block ×6, first 2 shown]
	v_add_nc_u32_e32 v5, 16, v5
	v_add_co_u32 v9, vcc_lo, v11, v8
	s_wait_alu 0xfffd
	v_add_co_ci_u32_e64 v10, null, 0, v12, vcc_lo
	v_add_co_u32 v13, vcc_lo, v11, v6
	s_wait_alu 0xfffd
	v_add_co_ci_u32_e64 v14, null, 0, v12, vcc_lo
	s_clause 0x5
	global_load_b32 v9, v[9:10], off offset:16
	global_load_u8 v10, v[13:14], off
	global_load_u8 v22, v[13:14], off offset:2
	global_load_u8 v23, v[13:14], off offset:4
	;; [unrolled: 1-line block ×3, first 2 shown]
	global_load_b32 v11, v[11:12], off offset:80
	global_load_b32 v12, v[0:1], off offset:108
	v_add_co_u32 v0, vcc_lo, 0x1200, v0
	v_cmp_le_u32_e64 s2, s18, v5
	s_wait_alu 0xfffd
	v_add_co_ci_u32_e64 v1, null, 0, v1, vcc_lo
	s_or_b32 s3, s2, s3
	s_wait_loadcnt 0x6
	v_and_b32_e32 v14, 0x3030303, v9
	s_wait_loadcnt 0x5
	v_and_b32_e32 v24, 15, v10
	v_lshrrev_b32_e32 v10, 4, v10
	v_lshrrev_b32_e32 v25, 2, v9
	s_wait_loadcnt 0x4
	v_and_b32_e32 v26, 15, v22
	v_lshrrev_b32_e32 v22, 4, v22
	s_wait_loadcnt 0x3
	v_and_b32_e32 v28, 15, v23
	v_mul_lo_u32 v10, 0x1010101, v10
	v_lshrrev_b32_e32 v23, 4, v23
	v_lshrrev_b32_e32 v27, 4, v9
	v_dot4_i32_iu8 v14, v14, v18, 0 neg_lo:[1,1,0]
	v_and_b32_e32 v25, 0x3030303, v25
	v_mul_lo_u32 v22, 0x1010101, v22
	s_wait_loadcnt 0x2
	v_and_b32_e32 v29, 15, v13
	v_lshrrev_b32_e32 v13, 4, v13
	v_mul_lo_u32 v23, 0x1010101, v23
	v_dot4_i32_iu8 v10, v10, v18, 0 neg_lo:[1,1,0]
	v_lshrrev_b32_e32 v9, 6, v9
	v_and_b32_e32 v27, 0x3030303, v27
	v_mul_lo_u32 v14, v24, v14
	v_dot4_i32_iu8 v24, v25, v19, 0 neg_lo:[1,1,0]
	v_mul_lo_u32 v13, 0x1010101, v13
	v_dot4_i32_iu8 v18, v22, v19, 0 neg_lo:[1,1,0]
	v_cvt_f32_i32_e32 v10, v10
	v_and_b32_e32 v9, 0x3030303, v9
	v_dot4_i32_iu8 v25, v27, v20, 0 neg_lo:[1,1,0]
	v_dot4_i32_iu8 v19, v23, v20, 0 neg_lo:[1,1,0]
	v_mul_lo_u32 v20, v26, v24
	v_cvt_f32_i32_e32 v14, v14
	v_cvt_f32_i32_e32 v18, v18
	v_fma_mix_f32 v10, v15, v10, 0 op_sel_hi:[1,0,0]
	v_dot4_i32_iu8 v9, v9, v21, 0 neg_lo:[1,1,0]
	v_dot4_i32_iu8 v13, v13, v21, 0 neg_lo:[1,1,0]
	v_mul_lo_u32 v21, v28, v25
	v_cvt_f32_i32_e32 v19, v19
	v_fma_mix_f32 v14, v15, v14, 0 op_sel_hi:[1,0,0]
	v_cvt_f32_i32_e32 v15, v20
	v_fma_mix_f32 v10, v16, v18, v10 op_sel_hi:[1,0,0]
	v_mul_lo_u32 v9, v29, v9
	s_wait_loadcnt 0x1
	v_lshrrev_b32_e32 v30, 16, v11
	v_cvt_f32_i32_e32 v13, v13
	v_cvt_f32_i32_e32 v18, v21
	v_fma_mix_f32 v14, v16, v15, v14 op_sel_hi:[1,0,0]
	v_fma_mix_f32 v10, v17, v19, v10 op_sel_hi:[1,0,0]
	v_cvt_f32_f16_e32 v15, v30
	v_cvt_f32_i32_e32 v9, v9
	s_delay_alu instid0(VALU_DEP_4) | instskip(SKIP_2) | instid1(VALU_DEP_2)
	v_fma_mix_f32 v14, v17, v18, v14 op_sel_hi:[1,0,0]
	s_wait_loadcnt 0x0
	v_fma_mix_f32 v10, v12, v13, v10 op_sel_hi:[1,0,0]
	v_fma_mix_f32 v9, v12, v9, v14 op_sel_hi:[1,0,0]
	s_delay_alu instid0(VALU_DEP_2) | instskip(NEXT) | instid1(VALU_DEP_1)
	v_mul_f32_e32 v10, v10, v15
	v_fma_mix_f32 v9, v9, v11, -v10 op_sel_hi:[0,1,0]
	s_delay_alu instid0(VALU_DEP_1)
	v_add_f32_e32 v4, v4, v9
	s_and_not1_b32 exec_lo, exec_lo, s3
	s_cbranch_execnz .LBB100_7
; %bb.8:
	s_or_b32 exec_lo, exec_lo, s3
.LBB100_9:
	s_delay_alu instid0(SALU_CYCLE_1)
	s_or_b32 exec_lo, exec_lo, s17
	v_lshlrev_b32_e32 v0, 2, v2
	s_wait_kmcnt 0x0
	s_mov_b32 s3, exec_lo
	v_cmp_eq_u32_e32 vcc_lo, 0, v3
	v_cmpx_ne_u32_e32 0, v3
; %bb.10:
	v_lshlrev_b32_e32 v1, 7, v3
	s_delay_alu instid0(VALU_DEP_1)
	v_add3_u32 v1, v1, v0, 0xffffff80
	ds_store_b32 v1, v4
; %bb.11:
	s_or_b32 exec_lo, exec_lo, s3
	s_wait_dscnt 0x0
	s_barrier_signal -1
	s_barrier_wait -1
	global_inv scope:SCOPE_SE
	s_and_saveexec_b32 s2, vcc_lo
	s_cbranch_execz .LBB100_14
; %bb.12:
	ds_load_2addr_b32 v[5:6], v0 offset1:32
	ds_load_2addr_b32 v[7:8], v0 offset0:64 offset1:96
	ds_load_2addr_b32 v[9:10], v0 offset0:128 offset1:160
	v_mbcnt_lo_u32_b32 v3, -1, 0
	ds_load_b32 v0, v0 offset:768
	s_mov_b32 s3, 0
	s_wait_dscnt 0x3
	v_add_f32_e32 v1, v4, v5
	v_xor_b32_e32 v4, 16, v3
	s_delay_alu instid0(VALU_DEP_1) | instskip(SKIP_1) | instid1(VALU_DEP_3)
	v_cmp_gt_i32_e32 vcc_lo, 32, v4
	s_wait_alu 0xfffd
	v_dual_cndmask_b32 v4, v3, v4 :: v_dual_add_f32 v1, v1, v6
	s_wait_dscnt 0x2
	s_delay_alu instid0(VALU_DEP_1) | instskip(NEXT) | instid1(VALU_DEP_1)
	v_add_f32_e32 v1, v1, v7
	v_add_f32_e32 v1, v1, v8
	s_wait_dscnt 0x1
	s_delay_alu instid0(VALU_DEP_1) | instskip(NEXT) | instid1(VALU_DEP_1)
	v_add_f32_e32 v1, v1, v9
	v_add_f32_e32 v1, v1, v10
	s_wait_dscnt 0x0
	s_delay_alu instid0(VALU_DEP_1)
	v_add_f32_e32 v0, v1, v0
	v_lshlrev_b32_e32 v1, 2, v4
	v_xor_b32_e32 v4, 8, v3
	ds_bpermute_b32 v1, v1, v0
	v_cmp_gt_i32_e32 vcc_lo, 32, v4
	s_wait_alu 0xfffd
	v_cndmask_b32_e32 v4, v3, v4, vcc_lo
	s_delay_alu instid0(VALU_DEP_1) | instskip(SKIP_4) | instid1(VALU_DEP_1)
	v_lshlrev_b32_e32 v4, 2, v4
	s_wait_dscnt 0x0
	v_add_f32_e32 v0, v0, v1
	ds_bpermute_b32 v1, v4, v0
	v_xor_b32_e32 v4, 4, v3
	v_cmp_gt_i32_e32 vcc_lo, 32, v4
	s_wait_alu 0xfffd
	v_cndmask_b32_e32 v4, v3, v4, vcc_lo
	s_delay_alu instid0(VALU_DEP_1) | instskip(SKIP_4) | instid1(VALU_DEP_1)
	v_lshlrev_b32_e32 v4, 2, v4
	s_wait_dscnt 0x0
	v_add_f32_e32 v0, v0, v1
	ds_bpermute_b32 v1, v4, v0
	v_xor_b32_e32 v4, 2, v3
	;; [unrolled: 9-line block ×3, first 2 shown]
	v_cmp_gt_i32_e32 vcc_lo, 32, v4
	s_wait_alu 0xfffd
	v_cndmask_b32_e32 v3, v3, v4, vcc_lo
	v_cmp_eq_u32_e32 vcc_lo, 0, v2
	s_wait_dscnt 0x0
	s_delay_alu instid0(VALU_DEP_2)
	v_dual_add_f32 v0, v0, v1 :: v_dual_lshlrev_b32 v3, 2, v3
	ds_bpermute_b32 v1, v3, v0
	s_and_b32 exec_lo, exec_lo, vcc_lo
	s_cbranch_execz .LBB100_14
; %bb.13:
	s_load_b64 s[0:1], s[0:1], 0x38
	s_mul_i32 s2, s6, s15
	s_mul_i32 s4, s14, s16
	s_add_co_i32 s2, s2, ttmp9
	v_mov_b32_e32 v2, 0
	s_wait_alu 0xfffe
	s_add_co_i32 s2, s2, s4
	s_wait_dscnt 0x0
	v_add_f32_e32 v0, v0, v1
	s_lshl_b64 s[2:3], s[2:3], 2
	s_wait_kmcnt 0x0
	s_add_nc_u64 s[0:1], s[0:1], s[2:3]
	global_store_b32 v2, v0, s[0:1]
.LBB100_14:
	s_endpgm
.LBB100_15:
                                        ; implicit-def: $sgpr2
	s_clause 0x1
	s_load_b128 s[4:7], s[0:1], 0x68
	s_load_b32 s3, s[0:1], 0x50
	s_branch .LBB100_2
	.section	.rodata,"a",@progbits
	.p2align	6, 0x0
	.amdhsa_kernel _ZL13mul_mat_vec_qIL9ggml_type10ELi1ELb0ELb0EEvPKvS2_PKi31ggml_cuda_mm_fusion_args_devicePfj15HIP_vector_typeIjLj3EEjjjS8_jjjS8_jjjj
		.amdhsa_group_segment_fixed_size 896
		.amdhsa_private_segment_fixed_size 0
		.amdhsa_kernarg_size 144
		.amdhsa_user_sgpr_count 2
		.amdhsa_user_sgpr_dispatch_ptr 0
		.amdhsa_user_sgpr_queue_ptr 0
		.amdhsa_user_sgpr_kernarg_segment_ptr 1
		.amdhsa_user_sgpr_dispatch_id 0
		.amdhsa_user_sgpr_private_segment_size 0
		.amdhsa_wavefront_size32 1
		.amdhsa_uses_dynamic_stack 0
		.amdhsa_enable_private_segment 0
		.amdhsa_system_sgpr_workgroup_id_x 1
		.amdhsa_system_sgpr_workgroup_id_y 1
		.amdhsa_system_sgpr_workgroup_id_z 1
		.amdhsa_system_sgpr_workgroup_info 0
		.amdhsa_system_vgpr_workitem_id 1
		.amdhsa_next_free_vgpr 31
		.amdhsa_next_free_sgpr 22
		.amdhsa_reserve_vcc 1
		.amdhsa_float_round_mode_32 0
		.amdhsa_float_round_mode_16_64 0
		.amdhsa_float_denorm_mode_32 3
		.amdhsa_float_denorm_mode_16_64 3
		.amdhsa_fp16_overflow 0
		.amdhsa_workgroup_processor_mode 1
		.amdhsa_memory_ordered 1
		.amdhsa_forward_progress 1
		.amdhsa_inst_pref_size 13
		.amdhsa_round_robin_scheduling 0
		.amdhsa_exception_fp_ieee_invalid_op 0
		.amdhsa_exception_fp_denorm_src 0
		.amdhsa_exception_fp_ieee_div_zero 0
		.amdhsa_exception_fp_ieee_overflow 0
		.amdhsa_exception_fp_ieee_underflow 0
		.amdhsa_exception_fp_ieee_inexact 0
		.amdhsa_exception_int_div_zero 0
	.end_amdhsa_kernel
	.section	.text._ZL13mul_mat_vec_qIL9ggml_type10ELi1ELb0ELb0EEvPKvS2_PKi31ggml_cuda_mm_fusion_args_devicePfj15HIP_vector_typeIjLj3EEjjjS8_jjjS8_jjjj,"axG",@progbits,_ZL13mul_mat_vec_qIL9ggml_type10ELi1ELb0ELb0EEvPKvS2_PKi31ggml_cuda_mm_fusion_args_devicePfj15HIP_vector_typeIjLj3EEjjjS8_jjjS8_jjjj,comdat
.Lfunc_end100:
	.size	_ZL13mul_mat_vec_qIL9ggml_type10ELi1ELb0ELb0EEvPKvS2_PKi31ggml_cuda_mm_fusion_args_devicePfj15HIP_vector_typeIjLj3EEjjjS8_jjjS8_jjjj, .Lfunc_end100-_ZL13mul_mat_vec_qIL9ggml_type10ELi1ELb0ELb0EEvPKvS2_PKi31ggml_cuda_mm_fusion_args_devicePfj15HIP_vector_typeIjLj3EEjjjS8_jjjS8_jjjj
                                        ; -- End function
	.set _ZL13mul_mat_vec_qIL9ggml_type10ELi1ELb0ELb0EEvPKvS2_PKi31ggml_cuda_mm_fusion_args_devicePfj15HIP_vector_typeIjLj3EEjjjS8_jjjS8_jjjj.num_vgpr, 31
	.set _ZL13mul_mat_vec_qIL9ggml_type10ELi1ELb0ELb0EEvPKvS2_PKi31ggml_cuda_mm_fusion_args_devicePfj15HIP_vector_typeIjLj3EEjjjS8_jjjS8_jjjj.num_agpr, 0
	.set _ZL13mul_mat_vec_qIL9ggml_type10ELi1ELb0ELb0EEvPKvS2_PKi31ggml_cuda_mm_fusion_args_devicePfj15HIP_vector_typeIjLj3EEjjjS8_jjjS8_jjjj.numbered_sgpr, 22
	.set _ZL13mul_mat_vec_qIL9ggml_type10ELi1ELb0ELb0EEvPKvS2_PKi31ggml_cuda_mm_fusion_args_devicePfj15HIP_vector_typeIjLj3EEjjjS8_jjjS8_jjjj.num_named_barrier, 0
	.set _ZL13mul_mat_vec_qIL9ggml_type10ELi1ELb0ELb0EEvPKvS2_PKi31ggml_cuda_mm_fusion_args_devicePfj15HIP_vector_typeIjLj3EEjjjS8_jjjS8_jjjj.private_seg_size, 0
	.set _ZL13mul_mat_vec_qIL9ggml_type10ELi1ELb0ELb0EEvPKvS2_PKi31ggml_cuda_mm_fusion_args_devicePfj15HIP_vector_typeIjLj3EEjjjS8_jjjS8_jjjj.uses_vcc, 1
	.set _ZL13mul_mat_vec_qIL9ggml_type10ELi1ELb0ELb0EEvPKvS2_PKi31ggml_cuda_mm_fusion_args_devicePfj15HIP_vector_typeIjLj3EEjjjS8_jjjS8_jjjj.uses_flat_scratch, 0
	.set _ZL13mul_mat_vec_qIL9ggml_type10ELi1ELb0ELb0EEvPKvS2_PKi31ggml_cuda_mm_fusion_args_devicePfj15HIP_vector_typeIjLj3EEjjjS8_jjjS8_jjjj.has_dyn_sized_stack, 0
	.set _ZL13mul_mat_vec_qIL9ggml_type10ELi1ELb0ELb0EEvPKvS2_PKi31ggml_cuda_mm_fusion_args_devicePfj15HIP_vector_typeIjLj3EEjjjS8_jjjS8_jjjj.has_recursion, 0
	.set _ZL13mul_mat_vec_qIL9ggml_type10ELi1ELb0ELb0EEvPKvS2_PKi31ggml_cuda_mm_fusion_args_devicePfj15HIP_vector_typeIjLj3EEjjjS8_jjjS8_jjjj.has_indirect_call, 0
	.section	.AMDGPU.csdata,"",@progbits
; Kernel info:
; codeLenInByte = 1580
; TotalNumSgprs: 24
; NumVgprs: 31
; ScratchSize: 0
; MemoryBound: 0
; FloatMode: 240
; IeeeMode: 1
; LDSByteSize: 896 bytes/workgroup (compile time only)
; SGPRBlocks: 0
; VGPRBlocks: 3
; NumSGPRsForWavesPerEU: 24
; NumVGPRsForWavesPerEU: 31
; Occupancy: 16
; WaveLimiterHint : 0
; COMPUTE_PGM_RSRC2:SCRATCH_EN: 0
; COMPUTE_PGM_RSRC2:USER_SGPR: 2
; COMPUTE_PGM_RSRC2:TRAP_HANDLER: 0
; COMPUTE_PGM_RSRC2:TGID_X_EN: 1
; COMPUTE_PGM_RSRC2:TGID_Y_EN: 1
; COMPUTE_PGM_RSRC2:TGID_Z_EN: 1
; COMPUTE_PGM_RSRC2:TIDIG_COMP_CNT: 1
	.section	.text._ZL13mul_mat_vec_qIL9ggml_type10ELi2ELb0ELb0EEvPKvS2_PKi31ggml_cuda_mm_fusion_args_devicePfj15HIP_vector_typeIjLj3EEjjjS8_jjjS8_jjjj,"axG",@progbits,_ZL13mul_mat_vec_qIL9ggml_type10ELi2ELb0ELb0EEvPKvS2_PKi31ggml_cuda_mm_fusion_args_devicePfj15HIP_vector_typeIjLj3EEjjjS8_jjjS8_jjjj,comdat
	.globl	_ZL13mul_mat_vec_qIL9ggml_type10ELi2ELb0ELb0EEvPKvS2_PKi31ggml_cuda_mm_fusion_args_devicePfj15HIP_vector_typeIjLj3EEjjjS8_jjjS8_jjjj ; -- Begin function _ZL13mul_mat_vec_qIL9ggml_type10ELi2ELb0ELb0EEvPKvS2_PKi31ggml_cuda_mm_fusion_args_devicePfj15HIP_vector_typeIjLj3EEjjjS8_jjjS8_jjjj
	.p2align	8
	.type	_ZL13mul_mat_vec_qIL9ggml_type10ELi2ELb0ELb0EEvPKvS2_PKi31ggml_cuda_mm_fusion_args_devicePfj15HIP_vector_typeIjLj3EEjjjS8_jjjS8_jjjj,@function
_ZL13mul_mat_vec_qIL9ggml_type10ELi2ELb0ELb0EEvPKvS2_PKi31ggml_cuda_mm_fusion_args_devicePfj15HIP_vector_typeIjLj3EEjjjS8_jjjS8_jjjj: ; @_ZL13mul_mat_vec_qIL9ggml_type10ELi2ELb0ELb0EEvPKvS2_PKi31ggml_cuda_mm_fusion_args_devicePfj15HIP_vector_typeIjLj3EEjjjS8_jjjS8_jjjj
; %bb.0:
	s_clause 0x5
	s_load_b96 s[16:18], s[0:1], 0x80
	s_load_b32 s2, s[0:1], 0x40
	s_load_b128 s[4:7], s[0:1], 0x50
	s_load_b32 s23, s[0:1], 0x60
	s_load_b128 s[8:11], s[0:1], 0x68
	s_load_b32 s24, s[0:1], 0x78
	v_bfe_u32 v6, v0, 10, 10
	v_dual_mov_b32 v5, 0 :: v_dual_and_b32 v4, 0x3ff, v0
	v_mov_b32_e32 v8, 0
	s_and_b32 s19, ttmp7, 0xffff
	s_lshr_b32 s20, ttmp7, 16
	s_delay_alu instid0(VALU_DEP_2) | instskip(SKIP_1) | instid1(VALU_DEP_1)
	v_lshl_or_b32 v0, v6, 5, v4
	s_mov_b32 s22, exec_lo
	v_lshrrev_b32_e32 v7, 4, v0
	s_wait_kmcnt 0x0
	s_lshr_b32 s21, s2, 8
	s_delay_alu instid0(VALU_DEP_1) | instid1(SALU_CYCLE_1)
	v_cmpx_gt_u32_e64 s21, v7
	s_cbranch_execz .LBB101_4
; %bb.1:
	s_load_b128 s[12:15], s[0:1], 0x0
	v_lshl_add_u32 v0, v6, 5, v4
	v_bfe_u32 v3, v4, 3, 1
	v_lshrrev_b32_e32 v2, 1, v4
	s_mul_hi_u32 s7, s7, s19
	s_mul_hi_u32 s11, s11, s20
	v_lshrrev_b32_e32 v5, 4, v0
	v_mul_hi_u32_u24_e32 v1, 0x90, v3
	v_mul_u32_u24_e32 v0, 0x90, v3
	s_mul_i32 s2, s17, s20
	s_mov_b32 s3, 0
	s_add_co_i32 s7, s19, s7
	v_and_b32_e32 v9, 4, v2
	v_mad_co_u64_u32 v[2:3], null, 0x120, v5, v[0:1]
	s_add_co_i32 s11, s20, s11
	s_mul_u64 s[26:27], s[2:3], 36
	s_mul_i32 s2, s9, s19
	s_lshr_b32 s7, s7, s23
	v_dual_mov_b32 v5, 0 :: v_dual_and_b32 v8, 15, v4
	s_lshr_b32 s11, s11, s24
	s_mul_u64 s[24:25], s[2:3], 36
	s_mul_i32 s2, s7, s8
	s_wait_kmcnt 0x0
	s_add_nc_u64 s[8:9], s[14:15], s[26:27]
	v_bfe_u32 v10, v4, 2, 1
	s_add_nc_u64 s[8:9], s[8:9], s[24:25]
	v_and_b32_e32 v13, 7, v4
	v_lshlrev_b32_e32 v12, 2, v8
	v_mov_b32_e32 v8, 0
	v_mad_co_u64_u32 v[0:1], null, v9, 36, s[8:9]
	v_add_co_u32 v2, vcc_lo, s8, v2
	s_mul_i32 s4, s4, ttmp9
	v_and_or_b32 v9, v4, 8, v10
	v_lshlrev_b32_e32 v10, 2, v13
	v_add_co_ci_u32_e64 v3, null, s9, v3, vcc_lo
	v_lshl_add_u32 v11, v7, 3, s5
	v_lshlrev_b32_e32 v13, 2, v13
	s_mul_i32 s7, s11, s16
	s_add_co_i32 s2, s2, s4
	s_delay_alu instid0(SALU_CYCLE_1)
	s_add_co_i32 s2, s7, s2
.LBB101_2:                              ; =>This Inner Loop Header: Depth=1
	s_delay_alu instid0(SALU_CYCLE_1)
	v_add_nc_u32_e32 v18, s2, v7
	v_mad_co_u64_u32 v[16:17], null, v11, 36, v[0:1]
	v_add_co_u32 v14, vcc_lo, v2, v10
	s_wait_alu 0xfffd
	v_add_co_ci_u32_e64 v15, null, 0, v3, vcc_lo
	v_mad_co_i64_i32 v[18:19], null, 0x54, v18, s[12:13]
	s_clause 0x6
	global_load_b32 v24, v[2:3], off
	global_load_b32 v25, v[2:3], off offset:36
	global_load_b32 v26, v[2:3], off offset:72
	;; [unrolled: 1-line block ×6, first 2 shown]
	v_add_co_u32 v14, vcc_lo, v16, v13
	s_wait_alu 0xfffd
	v_add_co_ci_u32_e64 v15, null, 0, v17, vcc_lo
	v_add_co_u32 v20, vcc_lo, v18, v12
	s_wait_alu 0xfffd
	v_add_co_ci_u32_e64 v21, null, 0, v19, vcc_lo
	v_add_co_u32 v22, vcc_lo, v18, v9
	s_clause 0x2
	global_load_b32 v31, v[16:17], off
	global_load_b32 v32, v[16:17], off offset:36
	global_load_b32 v33, v[16:17], off offset:72
	s_wait_alu 0xfffd
	v_add_co_ci_u32_e64 v23, null, 0, v19, vcc_lo
	s_clause 0x3
	global_load_b32 v34, v[14:15], off offset:4
	global_load_b32 v35, v[14:15], off offset:40
	;; [unrolled: 1-line block ×4, first 2 shown]
	s_clause 0x5
	global_load_b32 v15, v[20:21], off offset:16
	global_load_u8 v20, v[22:23], off
	global_load_u8 v21, v[22:23], off offset:2
	global_load_u8 v37, v[22:23], off offset:4
	;; [unrolled: 1-line block ×3, first 2 shown]
	global_load_b32 v18, v[18:19], off offset:80
	global_load_b32 v19, v[2:3], off offset:108
	;; [unrolled: 1-line block ×3, first 2 shown]
	v_add_co_u32 v2, vcc_lo, 0x240, v2
	s_wait_alu 0xfffd
	v_add_co_ci_u32_e64 v3, null, 0, v3, vcc_lo
	v_add_nc_u32_e32 v11, 16, v11
	s_wait_loadcnt 0x7
	v_and_b32_e32 v17, 0x3030303, v15
	v_lshrrev_b32_e32 v38, 2, v15
	v_lshrrev_b32_e32 v40, 4, v15
	s_wait_loadcnt 0x4
	v_and_b32_e32 v41, 15, v37
	v_lshrrev_b32_e32 v37, 4, v37
	s_wait_loadcnt 0x2
	v_lshrrev_b32_e32 v43, 16, v18
	v_and_b32_e32 v38, 0x3030303, v38
	v_dot4_i32_iu8 v44, v17, v27, 0 neg_lo:[1,1,0]
	v_and_b32_e32 v42, 15, v22
	v_lshrrev_b32_e32 v22, 4, v22
	v_cvt_f32_f16_e32 v43, v43
	v_and_b32_e32 v23, 15, v20
	v_lshrrev_b32_e32 v20, 4, v20
	v_and_b32_e32 v39, 15, v21
	v_lshrrev_b32_e32 v21, 4, v21
	v_mul_lo_u32 v37, 0x1010101, v37
	v_lshrrev_b32_e32 v15, 6, v15
	v_mul_lo_u32 v20, 0x1010101, v20
	v_dot4_i32_iu8 v45, v38, v28, 0 neg_lo:[1,1,0]
	v_mul_lo_u32 v21, 0x1010101, v21
	v_mul_lo_u32 v22, 0x1010101, v22
	v_and_b32_e32 v15, 0x3030303, v15
	v_dot4_i32_iu8 v17, v17, v34, 0 neg_lo:[1,1,0]
	v_and_b32_e32 v40, 0x3030303, v40
	v_mul_lo_u32 v44, v23, v44
	v_dot4_i32_iu8 v27, v20, v27, 0 neg_lo:[1,1,0]
	v_dot4_i32_iu8 v20, v20, v34, 0 neg_lo:[1,1,0]
	;; [unrolled: 1-line block ×6, first 2 shown]
	v_cvt_f32_i32_e32 v20, v20
	v_dot4_i32_iu8 v15, v15, v14, 0 neg_lo:[1,1,0]
	v_cvt_f32_i32_e32 v21, v21
	v_dot4_i32_iu8 v14, v22, v14, 0 neg_lo:[1,1,0]
	v_cvt_f32_i32_e32 v34, v34
	v_fma_mix_f32 v20, v31, v20, 0 op_sel_hi:[1,0,0]
	v_mul_lo_u32 v17, v23, v17
	v_dot4_i32_iu8 v23, v38, v35, 0 neg_lo:[1,1,0]
	v_cvt_f32_i32_e32 v14, v14
	v_dot4_i32_iu8 v38, v40, v36, 0 neg_lo:[1,1,0]
	v_fma_mix_f32 v20, v32, v21, v20 op_sel_hi:[1,0,0]
	v_dot4_i32_iu8 v46, v40, v29, 0 neg_lo:[1,1,0]
	v_dot4_i32_iu8 v29, v37, v29, 0 neg_lo:[1,1,0]
	v_cvt_f32_i32_e32 v27, v27
	v_mul_lo_u32 v37, v41, v38
	v_fma_mix_f32 v20, v33, v34, v20 op_sel_hi:[1,0,0]
	v_cvt_f32_i32_e32 v38, v44
	v_dot4_i32_iu8 v30, v22, v30, 0 neg_lo:[1,1,0]
	v_cvt_f32_i32_e32 v28, v28
	v_cvt_f32_i32_e32 v17, v17
	s_wait_loadcnt 0x0
	v_fma_mix_f32 v14, v16, v14, v20 op_sel_hi:[1,0,0]
	v_fma_mix_f32 v38, v24, v38, 0 op_sel_hi:[1,0,0]
	;; [unrolled: 1-line block ×3, first 2 shown]
	v_mul_lo_u32 v35, v41, v46
	v_cvt_f32_i32_e32 v29, v29
	v_mul_f32_e32 v14, v14, v43
	v_mul_lo_u32 v22, v39, v45
	v_mul_lo_u32 v23, v39, v23
	v_fma_mix_f32 v17, v31, v17, 0 op_sel_hi:[1,0,0]
	v_fma_mix_f32 v24, v25, v28, v24 op_sel_hi:[1,0,0]
	v_mul_lo_u32 v36, v42, v47
	v_mul_lo_u32 v15, v42, v15
	v_cvt_f32_i32_e32 v30, v30
	v_cvt_f32_i32_e32 v27, v35
	;; [unrolled: 1-line block ×6, first 2 shown]
	s_delay_alu instid0(VALU_DEP_4) | instskip(NEXT) | instid1(VALU_DEP_4)
	v_fma_mix_f32 v21, v25, v22, v38 op_sel_hi:[1,0,0]
	v_fma_mix_f32 v17, v32, v23, v17 op_sel_hi:[1,0,0]
	;; [unrolled: 1-line block ×3, first 2 shown]
	v_cvt_f32_i32_e32 v15, v15
	s_delay_alu instid0(VALU_DEP_4) | instskip(NEXT) | instid1(VALU_DEP_4)
	v_fma_mix_f32 v21, v26, v27, v21 op_sel_hi:[1,0,0]
	v_fma_mix_f32 v17, v33, v31, v17 op_sel_hi:[1,0,0]
	s_delay_alu instid0(VALU_DEP_4) | instskip(NEXT) | instid1(VALU_DEP_3)
	v_fma_mix_f32 v22, v19, v30, v22 op_sel_hi:[1,0,0]
	v_fma_mix_f32 v19, v19, v35, v21 op_sel_hi:[1,0,0]
	s_delay_alu instid0(VALU_DEP_3) | instskip(NEXT) | instid1(VALU_DEP_3)
	v_fma_mix_f32 v15, v16, v15, v17 op_sel_hi:[1,0,0]
	v_mul_f32_e32 v16, v22, v43
	s_delay_alu instid0(VALU_DEP_2) | instskip(NEXT) | instid1(VALU_DEP_2)
	v_fma_mix_f32 v14, v15, v18, -v14 op_sel_hi:[0,1,0]
	v_fma_mix_f32 v16, v19, v18, -v16 op_sel_hi:[0,1,0]
	v_add_nc_u32_e32 v7, 2, v7
	s_delay_alu instid0(VALU_DEP_2) | instskip(NEXT) | instid1(VALU_DEP_2)
	v_dual_add_f32 v5, v5, v14 :: v_dual_add_f32 v8, v8, v16
	v_cmp_le_u32_e32 vcc_lo, s21, v7
	s_or_b32 s3, vcc_lo, s3
	s_wait_alu 0xfffe
	s_and_not1_b32 exec_lo, exec_lo, s3
	s_cbranch_execnz .LBB101_2
; %bb.3:
	s_or_b32 exec_lo, exec_lo, s3
.LBB101_4:
	s_delay_alu instid0(SALU_CYCLE_1)
	s_or_b32 exec_lo, exec_lo, s22
	s_mov_b32 s3, 0
	; wave barrier
	global_inv scope:SCOPE_SE
	s_mov_b32 s2, exec_lo
	v_cmpx_eq_u32_e32 0, v6
	s_cbranch_execz .LBB101_9
; %bb.5:
	v_mbcnt_lo_u32_b32 v6, -1, 0
	s_load_b64 s[0:1], s[0:1], 0x38
	s_mul_i32 s2, s10, s19
	s_mul_i32 s4, s18, s20
	s_wait_alu 0xfffe
	s_add_co_i32 s2, s2, ttmp9
	v_xor_b32_e32 v0, 16, v6
	v_xor_b32_e32 v1, 8, v6
	;; [unrolled: 1-line block ×3, first 2 shown]
	s_wait_alu 0xfffe
	s_add_co_i32 s2, s2, s4
	s_wait_alu 0xfffe
	s_lshl_b64 s[2:3], s[2:3], 2
	v_cmp_gt_i32_e32 vcc_lo, 32, v0
	s_wait_alu 0xfffd
	v_cndmask_b32_e32 v0, v6, v0, vcc_lo
	v_cmp_gt_i32_e32 vcc_lo, 32, v1
	s_wait_kmcnt 0x0
	s_wait_alu 0xfffe
	s_add_nc_u64 s[0:1], s[0:1], s[2:3]
	s_wait_alu 0xfffd
	v_cndmask_b32_e32 v1, v6, v1, vcc_lo
	s_delay_alu instid0(VALU_DEP_1)
	v_lshlrev_b32_e32 v1, 2, v1
	v_lshlrev_b32_e32 v0, 2, v0
	ds_bpermute_b32 v2, v0, v8
	s_wait_dscnt 0x0
	v_add_f32_e32 v3, v8, v2
	v_xor_b32_e32 v2, 4, v6
	ds_bpermute_b32 v7, v1, v3
	v_cmp_gt_i32_e32 vcc_lo, 32, v2
	s_wait_dscnt 0x0
	s_wait_alu 0xfffd
	v_dual_cndmask_b32 v2, v6, v2 :: v_dual_add_f32 v7, v3, v7
	s_delay_alu instid0(VALU_DEP_1)
	v_lshlrev_b32_e32 v2, 2, v2
	v_xor_b32_e32 v3, 2, v6
	ds_bpermute_b32 v8, v2, v7
	v_cmp_gt_i32_e32 vcc_lo, 32, v3
	s_wait_alu 0xfffd
	v_cndmask_b32_e32 v3, v6, v3, vcc_lo
	v_cmp_gt_i32_e32 vcc_lo, 32, v9
	s_wait_alu 0xfffd
	v_cndmask_b32_e32 v6, v6, v9, vcc_lo
	v_cmp_eq_u32_e32 vcc_lo, 0, v4
	s_delay_alu instid0(VALU_DEP_2)
	v_lshlrev_b32_e32 v6, 2, v6
	v_lshlrev_b32_e32 v3, 2, v3
	s_wait_dscnt 0x0
	v_add_f32_e32 v7, v7, v8
	ds_bpermute_b32 v8, v3, v7
	s_wait_dscnt 0x0
	v_add_f32_e32 v7, v7, v8
	ds_bpermute_b32 v8, v6, v7
	s_and_saveexec_b32 s2, vcc_lo
	s_cbranch_execz .LBB101_7
; %bb.6:
	s_wait_dscnt 0x0
	v_dual_add_f32 v4, v7, v8 :: v_dual_mov_b32 v7, 0
	global_store_b32 v7, v4, s[0:1]
.LBB101_7:
	s_wait_alu 0xfffe
	s_or_b32 exec_lo, exec_lo, s2
	ds_bpermute_b32 v0, v0, v5
	s_wait_dscnt 0x0
	v_add_f32_e32 v0, v5, v0
	ds_bpermute_b32 v1, v1, v0
	s_wait_dscnt 0x0
	v_add_f32_e32 v0, v0, v1
	;; [unrolled: 3-line block ×4, first 2 shown]
	ds_bpermute_b32 v1, v6, v0
	s_and_b32 exec_lo, exec_lo, vcc_lo
	s_cbranch_execz .LBB101_9
; %bb.8:
	s_mov_b32 s7, 0
	s_wait_dscnt 0x0
	v_dual_add_f32 v0, v0, v1 :: v_dual_mov_b32 v1, 0
	s_lshl_b64 s[2:3], s[6:7], 2
	s_wait_alu 0xfffe
	s_add_nc_u64 s[0:1], s[0:1], s[2:3]
	global_store_b32 v1, v0, s[0:1]
.LBB101_9:
	s_endpgm
	.section	.rodata,"a",@progbits
	.p2align	6, 0x0
	.amdhsa_kernel _ZL13mul_mat_vec_qIL9ggml_type10ELi2ELb0ELb0EEvPKvS2_PKi31ggml_cuda_mm_fusion_args_devicePfj15HIP_vector_typeIjLj3EEjjjS8_jjjS8_jjjj
		.amdhsa_group_segment_fixed_size 0
		.amdhsa_private_segment_fixed_size 0
		.amdhsa_kernarg_size 144
		.amdhsa_user_sgpr_count 2
		.amdhsa_user_sgpr_dispatch_ptr 0
		.amdhsa_user_sgpr_queue_ptr 0
		.amdhsa_user_sgpr_kernarg_segment_ptr 1
		.amdhsa_user_sgpr_dispatch_id 0
		.amdhsa_user_sgpr_private_segment_size 0
		.amdhsa_wavefront_size32 1
		.amdhsa_uses_dynamic_stack 0
		.amdhsa_enable_private_segment 0
		.amdhsa_system_sgpr_workgroup_id_x 1
		.amdhsa_system_sgpr_workgroup_id_y 1
		.amdhsa_system_sgpr_workgroup_id_z 1
		.amdhsa_system_sgpr_workgroup_info 0
		.amdhsa_system_vgpr_workitem_id 1
		.amdhsa_next_free_vgpr 48
		.amdhsa_next_free_sgpr 28
		.amdhsa_reserve_vcc 1
		.amdhsa_float_round_mode_32 0
		.amdhsa_float_round_mode_16_64 0
		.amdhsa_float_denorm_mode_32 3
		.amdhsa_float_denorm_mode_16_64 3
		.amdhsa_fp16_overflow 0
		.amdhsa_workgroup_processor_mode 1
		.amdhsa_memory_ordered 1
		.amdhsa_forward_progress 1
		.amdhsa_inst_pref_size 15
		.amdhsa_round_robin_scheduling 0
		.amdhsa_exception_fp_ieee_invalid_op 0
		.amdhsa_exception_fp_denorm_src 0
		.amdhsa_exception_fp_ieee_div_zero 0
		.amdhsa_exception_fp_ieee_overflow 0
		.amdhsa_exception_fp_ieee_underflow 0
		.amdhsa_exception_fp_ieee_inexact 0
		.amdhsa_exception_int_div_zero 0
	.end_amdhsa_kernel
	.section	.text._ZL13mul_mat_vec_qIL9ggml_type10ELi2ELb0ELb0EEvPKvS2_PKi31ggml_cuda_mm_fusion_args_devicePfj15HIP_vector_typeIjLj3EEjjjS8_jjjS8_jjjj,"axG",@progbits,_ZL13mul_mat_vec_qIL9ggml_type10ELi2ELb0ELb0EEvPKvS2_PKi31ggml_cuda_mm_fusion_args_devicePfj15HIP_vector_typeIjLj3EEjjjS8_jjjS8_jjjj,comdat
.Lfunc_end101:
	.size	_ZL13mul_mat_vec_qIL9ggml_type10ELi2ELb0ELb0EEvPKvS2_PKi31ggml_cuda_mm_fusion_args_devicePfj15HIP_vector_typeIjLj3EEjjjS8_jjjS8_jjjj, .Lfunc_end101-_ZL13mul_mat_vec_qIL9ggml_type10ELi2ELb0ELb0EEvPKvS2_PKi31ggml_cuda_mm_fusion_args_devicePfj15HIP_vector_typeIjLj3EEjjjS8_jjjS8_jjjj
                                        ; -- End function
	.set _ZL13mul_mat_vec_qIL9ggml_type10ELi2ELb0ELb0EEvPKvS2_PKi31ggml_cuda_mm_fusion_args_devicePfj15HIP_vector_typeIjLj3EEjjjS8_jjjS8_jjjj.num_vgpr, 48
	.set _ZL13mul_mat_vec_qIL9ggml_type10ELi2ELb0ELb0EEvPKvS2_PKi31ggml_cuda_mm_fusion_args_devicePfj15HIP_vector_typeIjLj3EEjjjS8_jjjS8_jjjj.num_agpr, 0
	.set _ZL13mul_mat_vec_qIL9ggml_type10ELi2ELb0ELb0EEvPKvS2_PKi31ggml_cuda_mm_fusion_args_devicePfj15HIP_vector_typeIjLj3EEjjjS8_jjjS8_jjjj.numbered_sgpr, 28
	.set _ZL13mul_mat_vec_qIL9ggml_type10ELi2ELb0ELb0EEvPKvS2_PKi31ggml_cuda_mm_fusion_args_devicePfj15HIP_vector_typeIjLj3EEjjjS8_jjjS8_jjjj.num_named_barrier, 0
	.set _ZL13mul_mat_vec_qIL9ggml_type10ELi2ELb0ELb0EEvPKvS2_PKi31ggml_cuda_mm_fusion_args_devicePfj15HIP_vector_typeIjLj3EEjjjS8_jjjS8_jjjj.private_seg_size, 0
	.set _ZL13mul_mat_vec_qIL9ggml_type10ELi2ELb0ELb0EEvPKvS2_PKi31ggml_cuda_mm_fusion_args_devicePfj15HIP_vector_typeIjLj3EEjjjS8_jjjS8_jjjj.uses_vcc, 1
	.set _ZL13mul_mat_vec_qIL9ggml_type10ELi2ELb0ELb0EEvPKvS2_PKi31ggml_cuda_mm_fusion_args_devicePfj15HIP_vector_typeIjLj3EEjjjS8_jjjS8_jjjj.uses_flat_scratch, 0
	.set _ZL13mul_mat_vec_qIL9ggml_type10ELi2ELb0ELb0EEvPKvS2_PKi31ggml_cuda_mm_fusion_args_devicePfj15HIP_vector_typeIjLj3EEjjjS8_jjjS8_jjjj.has_dyn_sized_stack, 0
	.set _ZL13mul_mat_vec_qIL9ggml_type10ELi2ELb0ELb0EEvPKvS2_PKi31ggml_cuda_mm_fusion_args_devicePfj15HIP_vector_typeIjLj3EEjjjS8_jjjS8_jjjj.has_recursion, 0
	.set _ZL13mul_mat_vec_qIL9ggml_type10ELi2ELb0ELb0EEvPKvS2_PKi31ggml_cuda_mm_fusion_args_devicePfj15HIP_vector_typeIjLj3EEjjjS8_jjjS8_jjjj.has_indirect_call, 0
	.section	.AMDGPU.csdata,"",@progbits
; Kernel info:
; codeLenInByte = 1832
; TotalNumSgprs: 30
; NumVgprs: 48
; ScratchSize: 0
; MemoryBound: 0
; FloatMode: 240
; IeeeMode: 1
; LDSByteSize: 0 bytes/workgroup (compile time only)
; SGPRBlocks: 0
; VGPRBlocks: 5
; NumSGPRsForWavesPerEU: 30
; NumVGPRsForWavesPerEU: 48
; Occupancy: 16
; WaveLimiterHint : 0
; COMPUTE_PGM_RSRC2:SCRATCH_EN: 0
; COMPUTE_PGM_RSRC2:USER_SGPR: 2
; COMPUTE_PGM_RSRC2:TRAP_HANDLER: 0
; COMPUTE_PGM_RSRC2:TGID_X_EN: 1
; COMPUTE_PGM_RSRC2:TGID_Y_EN: 1
; COMPUTE_PGM_RSRC2:TGID_Z_EN: 1
; COMPUTE_PGM_RSRC2:TIDIG_COMP_CNT: 1
	.section	.text._ZL13mul_mat_vec_qIL9ggml_type10ELi3ELb0ELb0EEvPKvS2_PKi31ggml_cuda_mm_fusion_args_devicePfj15HIP_vector_typeIjLj3EEjjjS8_jjjS8_jjjj,"axG",@progbits,_ZL13mul_mat_vec_qIL9ggml_type10ELi3ELb0ELb0EEvPKvS2_PKi31ggml_cuda_mm_fusion_args_devicePfj15HIP_vector_typeIjLj3EEjjjS8_jjjS8_jjjj,comdat
	.globl	_ZL13mul_mat_vec_qIL9ggml_type10ELi3ELb0ELb0EEvPKvS2_PKi31ggml_cuda_mm_fusion_args_devicePfj15HIP_vector_typeIjLj3EEjjjS8_jjjS8_jjjj ; -- Begin function _ZL13mul_mat_vec_qIL9ggml_type10ELi3ELb0ELb0EEvPKvS2_PKi31ggml_cuda_mm_fusion_args_devicePfj15HIP_vector_typeIjLj3EEjjjS8_jjjS8_jjjj
	.p2align	8
	.type	_ZL13mul_mat_vec_qIL9ggml_type10ELi3ELb0ELb0EEvPKvS2_PKi31ggml_cuda_mm_fusion_args_devicePfj15HIP_vector_typeIjLj3EEjjjS8_jjjS8_jjjj,@function
_ZL13mul_mat_vec_qIL9ggml_type10ELi3ELb0ELb0EEvPKvS2_PKi31ggml_cuda_mm_fusion_args_devicePfj15HIP_vector_typeIjLj3EEjjjS8_jjjS8_jjjj: ; @_ZL13mul_mat_vec_qIL9ggml_type10ELi3ELb0ELb0EEvPKvS2_PKi31ggml_cuda_mm_fusion_args_devicePfj15HIP_vector_typeIjLj3EEjjjS8_jjjS8_jjjj
; %bb.0:
	s_clause 0x5
	s_load_b96 s[16:18], s[0:1], 0x80
	s_load_b32 s2, s[0:1], 0x40
	s_load_b128 s[4:7], s[0:1], 0x50
	s_load_b32 s23, s[0:1], 0x60
	s_load_b128 s[8:11], s[0:1], 0x68
	s_load_b32 s24, s[0:1], 0x78
	v_bfe_u32 v6, v0, 10, 10
	v_dual_mov_b32 v5, 0 :: v_dual_and_b32 v4, 0x3ff, v0
	v_mov_b32_e32 v7, 0
	v_mov_b32_e32 v9, 0
	s_and_b32 s19, ttmp7, 0xffff
	s_delay_alu instid0(VALU_DEP_3) | instskip(SKIP_2) | instid1(VALU_DEP_1)
	v_lshl_or_b32 v0, v6, 5, v4
	s_lshr_b32 s20, ttmp7, 16
	s_mov_b32 s21, exec_lo
	v_lshrrev_b32_e32 v8, 4, v0
	s_wait_kmcnt 0x0
	s_lshr_b32 s22, s2, 8
	s_delay_alu instid0(VALU_DEP_1) | instid1(SALU_CYCLE_1)
	v_cmpx_gt_u32_e64 s22, v8
	s_cbranch_execz .LBB102_4
; %bb.1:
	s_load_b128 s[12:15], s[0:1], 0x0
	v_lshl_add_u32 v0, v6, 5, v4
	v_bfe_u32 v3, v4, 3, 1
	s_mul_hi_u32 s7, s7, s19
	v_lshrrev_b32_e32 v2, 1, v4
	s_mul_hi_u32 s11, s11, s20
	v_lshrrev_b32_e32 v5, 4, v0
	v_mul_hi_u32_u24_e32 v1, 0x90, v3
	v_mul_u32_u24_e32 v0, 0x90, v3
	s_mul_i32 s2, s17, s20
	s_mov_b32 s3, 0
	s_add_co_i32 s7, s19, s7
	s_add_co_i32 s11, s20, s11
	s_mul_u64 s[26:27], s[2:3], 36
	s_mul_i32 s2, s9, s19
	s_lshr_b32 s7, s7, s23
	v_and_b32_e32 v9, 4, v2
	v_mad_co_u64_u32 v[2:3], null, 0x120, v5, v[0:1]
	s_lshr_b32 s11, s11, s24
	s_mul_u64 s[24:25], s[2:3], 36
	s_mul_i32 s2, s7, s8
	s_wait_kmcnt 0x0
	s_add_nc_u64 s[8:9], s[14:15], s[26:27]
	v_and_b32_e32 v7, 15, v4
	s_add_nc_u64 s[8:9], s[8:9], s[24:25]
	v_and_b32_e32 v15, 7, v4
	v_bfe_u32 v10, v4, 2, 1
	v_mad_co_u64_u32 v[0:1], null, v9, 36, s[8:9]
	v_lshlrev_b32_e32 v9, 3, v8
	v_add_co_u32 v2, vcc_lo, s8, v2
	s_mul_i32 s4, s4, ttmp9
	v_dual_mov_b32 v5, 0 :: v_dual_add_nc_u32 v12, s5, v9
	v_and_or_b32 v10, v4, 8, v10
	v_lshlrev_b32_e32 v11, 2, v15
	v_add_co_ci_u32_e64 v3, null, s9, v3, vcc_lo
	v_lshl_add_u32 v13, s5, 1, v9
	v_dual_mov_b32 v7, 0 :: v_dual_lshlrev_b32 v14, 2, v7
	v_lshlrev_b32_e32 v15, 2, v15
	v_mov_b32_e32 v9, 0
	s_mul_i32 s7, s11, s16
	s_add_co_i32 s2, s2, s4
	s_delay_alu instid0(SALU_CYCLE_1)
	s_add_co_i32 s2, s7, s2
.LBB102_2:                              ; =>This Inner Loop Header: Depth=1
	s_delay_alu instid0(SALU_CYCLE_1)
	v_add_nc_u32_e32 v22, s2, v8
	v_mad_co_u64_u32 v[18:19], null, v12, 36, v[0:1]
	v_add_co_u32 v16, vcc_lo, v2, v11
	v_mad_co_u64_u32 v[20:21], null, v13, 36, v[0:1]
	s_wait_alu 0xfffd
	v_add_co_ci_u32_e64 v17, null, 0, v3, vcc_lo
	v_mad_co_i64_i32 v[22:23], null, 0x54, v22, s[12:13]
	s_clause 0x6
	global_load_b32 v30, v[2:3], off
	global_load_b32 v31, v[2:3], off offset:36
	global_load_b32 v32, v[2:3], off offset:72
	;; [unrolled: 1-line block ×6, first 2 shown]
	v_add_co_u32 v16, vcc_lo, v18, v15
	s_wait_alu 0xfffd
	v_add_co_ci_u32_e64 v17, null, 0, v19, vcc_lo
	v_add_co_u32 v24, vcc_lo, v20, v15
	s_wait_alu 0xfffd
	v_add_co_ci_u32_e64 v25, null, 0, v21, vcc_lo
	;; [unrolled: 3-line block ×3, first 2 shown]
	v_add_co_u32 v28, vcc_lo, v22, v10
	s_clause 0x5
	global_load_b32 v37, v[18:19], off
	global_load_b32 v38, v[18:19], off offset:36
	global_load_b32 v39, v[18:19], off offset:72
	global_load_b32 v40, v[20:21], off
	global_load_b32 v41, v[20:21], off offset:36
	global_load_b32 v42, v[20:21], off offset:72
	s_wait_alu 0xfffd
	v_add_co_ci_u32_e64 v29, null, 0, v23, vcc_lo
	s_clause 0x7
	global_load_b32 v43, v[16:17], off offset:4
	global_load_b32 v44, v[16:17], off offset:40
	;; [unrolled: 1-line block ×8, first 2 shown]
	s_clause 0x5
	global_load_b32 v25, v[26:27], off offset:16
	global_load_u8 v26, v[28:29], off
	global_load_u8 v27, v[28:29], off offset:2
	global_load_u8 v48, v[28:29], off offset:4
	;; [unrolled: 1-line block ×3, first 2 shown]
	global_load_b32 v22, v[22:23], off offset:80
	global_load_b32 v23, v[2:3], off offset:108
	s_clause 0x1
	global_load_b32 v18, v[18:19], off offset:108
	global_load_b32 v19, v[20:21], off offset:108
	v_add_co_u32 v2, vcc_lo, 0x240, v2
	s_wait_alu 0xfffd
	v_add_co_ci_u32_e64 v3, null, 0, v3, vcc_lo
	v_add_nc_u32_e32 v12, 16, v12
	v_add_nc_u32_e32 v13, 16, v13
	s_wait_loadcnt 0x8
	v_and_b32_e32 v20, 0x3030303, v25
	v_lshrrev_b32_e32 v29, 2, v25
	v_lshrrev_b32_e32 v50, 4, v25
	;; [unrolled: 1-line block ×3, first 2 shown]
	s_wait_loadcnt 0x5
	v_and_b32_e32 v51, 15, v48
	s_wait_loadcnt 0x3
	v_lshrrev_b32_e32 v53, 16, v22
	v_lshrrev_b32_e32 v48, 4, v48
	v_and_b32_e32 v52, 15, v28
	v_lshrrev_b32_e32 v28, 4, v28
	v_and_b32_e32 v29, 0x3030303, v29
	v_cvt_f32_f16_e32 v53, v53
	v_and_b32_e32 v21, 15, v26
	v_lshrrev_b32_e32 v26, 4, v26
	v_and_b32_e32 v49, 15, v27
	v_lshrrev_b32_e32 v27, 4, v27
	v_and_b32_e32 v50, 0x3030303, v50
	v_and_b32_e32 v25, 0x3030303, v25
	v_mul_lo_u32 v26, 0x1010101, v26
	v_dot4_i32_iu8 v54, v20, v33, 0 neg_lo:[1,1,0]
	v_dot4_i32_iu8 v55, v20, v43, 0 neg_lo:[1,1,0]
	v_mul_lo_u32 v27, 0x1010101, v27
	v_mul_lo_u32 v48, 0x1010101, v48
	;; [unrolled: 1-line block ×3, first 2 shown]
	v_dot4_i32_iu8 v20, v20, v17, 0 neg_lo:[1,1,0]
	v_mul_lo_u32 v54, v21, v54
	v_dot4_i32_iu8 v56, v29, v34, 0 neg_lo:[1,1,0]
	v_dot4_i32_iu8 v57, v50, v35, 0 neg_lo:[1,1,0]
	v_dot4_i32_iu8 v58, v25, v36, 0 neg_lo:[1,1,0]
	v_mul_lo_u32 v55, v21, v55
	v_dot4_i32_iu8 v17, v26, v17, 0 neg_lo:[1,1,0]
	v_dot4_i32_iu8 v59, v29, v44, 0 neg_lo:[1,1,0]
	;; [unrolled: 4-line block ×3, first 2 shown]
	v_dot4_i32_iu8 v33, v26, v33, 0 neg_lo:[1,1,0]
	v_dot4_i32_iu8 v43, v26, v43, 0 neg_lo:[1,1,0]
	;; [unrolled: 1-line block ×11, first 2 shown]
	v_mul_lo_u32 v28, v49, v56
	v_mul_lo_u32 v46, v51, v57
	;; [unrolled: 1-line block ×3, first 2 shown]
	v_cvt_f32_i32_e32 v17, v17
	v_dot4_i32_iu8 v35, v48, v35, 0 neg_lo:[1,1,0]
	v_dot4_i32_iu8 v45, v48, v45, 0 neg_lo:[1,1,0]
	v_mul_lo_u32 v48, v49, v59
	v_mul_lo_u32 v50, v51, v60
	;; [unrolled: 1-line block ×4, first 2 shown]
	v_cvt_f32_i32_e32 v49, v54
	v_cvt_f32_i32_e32 v33, v33
	v_cvt_f32_i32_e32 v51, v55
	v_cvt_f32_i32_e32 v43, v43
	v_cvt_f32_i32_e32 v20, v20
	v_cvt_f32_i32_e32 v26, v26
	v_fma_mix_f32 v17, v40, v17, 0 op_sel_hi:[1,0,0]
	v_cvt_f32_i32_e32 v34, v34
	v_cvt_f32_i32_e32 v44, v44
	v_fma_mix_f32 v49, v30, v49, 0 op_sel_hi:[1,0,0]
	v_fma_mix_f32 v30, v30, v33, 0 op_sel_hi:[1,0,0]
	v_cvt_f32_i32_e32 v28, v28
	v_cvt_f32_i32_e32 v33, v46
	;; [unrolled: 1-line block ×3, first 2 shown]
	v_fma_mix_f32 v47, v37, v51, 0 op_sel_hi:[1,0,0]
	v_fma_mix_f32 v37, v37, v43, 0 op_sel_hi:[1,0,0]
	v_cvt_f32_i32_e32 v27, v27
	v_fma_mix_f32 v20, v40, v20, 0 op_sel_hi:[1,0,0]
	v_cvt_f32_i32_e32 v21, v21
	v_fma_mix_f32 v17, v41, v26, v17 op_sel_hi:[1,0,0]
	v_mul_lo_u32 v25, v52, v25
	v_cvt_f32_i32_e32 v35, v35
	v_cvt_f32_i32_e32 v45, v45
	;; [unrolled: 1-line block ×3, first 2 shown]
	v_fma_mix_f32 v28, v31, v28, v49 op_sel_hi:[1,0,0]
	v_fma_mix_f32 v30, v31, v34, v30 op_sel_hi:[1,0,0]
	;; [unrolled: 1-line block ×3, first 2 shown]
	v_mul_lo_u32 v56, v52, v61
	v_cvt_f32_i32_e32 v24, v24
	v_cvt_f32_i32_e32 v29, v29
	v_fma_mix_f32 v20, v41, v21, v20 op_sel_hi:[1,0,0]
	v_fma_mix_f32 v17, v42, v27, v17 op_sel_hi:[1,0,0]
	v_cvt_f32_i32_e32 v36, v36
	v_cvt_f32_i32_e32 v16, v16
	;; [unrolled: 1-line block ×3, first 2 shown]
	v_fma_mix_f32 v31, v38, v43, v47 op_sel_hi:[1,0,0]
	v_fma_mix_f32 v21, v32, v33, v28 op_sel_hi:[1,0,0]
	;; [unrolled: 1-line block ×4, first 2 shown]
	v_cvt_f32_i32_e32 v25, v25
	v_fma_mix_f32 v20, v42, v29, v20 op_sel_hi:[1,0,0]
	s_wait_loadcnt 0x0
	v_fma_mix_f32 v17, v19, v24, v17 op_sel_hi:[1,0,0]
	v_cvt_f32_i32_e32 v50, v56
	v_fma_mix_f32 v28, v39, v48, v31 op_sel_hi:[1,0,0]
	v_fma_mix_f32 v21, v23, v46, v21 op_sel_hi:[1,0,0]
	;; [unrolled: 1-line block ×5, first 2 shown]
	v_mul_f32_e32 v17, v17, v53
	v_fma_mix_f32 v18, v18, v50, v28 op_sel_hi:[1,0,0]
	v_mul_f32_e32 v20, v23, v53
	v_mul_f32_e32 v16, v16, v53
	s_delay_alu instid0(VALU_DEP_4) | instskip(SKIP_1) | instid1(VALU_DEP_4)
	v_fma_mix_f32 v17, v19, v22, -v17 op_sel_hi:[0,1,0]
	v_add_nc_u32_e32 v8, 2, v8
	v_fma_mix_f32 v20, v21, v22, -v20 op_sel_hi:[0,1,0]
	s_delay_alu instid0(VALU_DEP_4) | instskip(NEXT) | instid1(VALU_DEP_4)
	v_fma_mix_f32 v16, v18, v22, -v16 op_sel_hi:[0,1,0]
	v_add_f32_e32 v5, v5, v17
	s_delay_alu instid0(VALU_DEP_4) | instskip(NEXT) | instid1(VALU_DEP_4)
	v_cmp_le_u32_e32 vcc_lo, s22, v8
	v_add_f32_e32 v9, v9, v20
	s_delay_alu instid0(VALU_DEP_4)
	v_add_f32_e32 v7, v7, v16
	s_or_b32 s3, vcc_lo, s3
	s_wait_alu 0xfffe
	s_and_not1_b32 exec_lo, exec_lo, s3
	s_cbranch_execnz .LBB102_2
; %bb.3:
	s_or_b32 exec_lo, exec_lo, s3
.LBB102_4:
	s_delay_alu instid0(SALU_CYCLE_1)
	s_or_b32 exec_lo, exec_lo, s21
	s_mov_b32 s3, 0
	; wave barrier
	global_inv scope:SCOPE_SE
	s_mov_b32 s2, exec_lo
	v_cmpx_eq_u32_e32 0, v6
	s_cbranch_execz .LBB102_11
; %bb.5:
	v_mbcnt_lo_u32_b32 v6, -1, 0
	s_load_b64 s[0:1], s[0:1], 0x38
	s_mul_i32 s2, s10, s19
	s_mul_i32 s4, s18, s20
	s_wait_alu 0xfffe
	s_add_co_i32 s2, s2, ttmp9
	v_xor_b32_e32 v0, 16, v6
	v_xor_b32_e32 v1, 8, v6
	;; [unrolled: 1-line block ×3, first 2 shown]
	s_wait_alu 0xfffe
	s_add_co_i32 s2, s2, s4
	s_wait_alu 0xfffe
	s_lshl_b64 s[2:3], s[2:3], 2
	v_cmp_gt_i32_e32 vcc_lo, 32, v0
	s_wait_alu 0xfffd
	v_cndmask_b32_e32 v0, v6, v0, vcc_lo
	v_cmp_gt_i32_e32 vcc_lo, 32, v1
	s_wait_kmcnt 0x0
	s_wait_alu 0xfffe
	s_add_nc_u64 s[0:1], s[0:1], s[2:3]
	s_wait_alu 0xfffd
	v_cndmask_b32_e32 v1, v6, v1, vcc_lo
	s_delay_alu instid0(VALU_DEP_1)
	v_lshlrev_b32_e32 v1, 2, v1
	v_lshlrev_b32_e32 v0, 2, v0
	ds_bpermute_b32 v2, v0, v9
	s_wait_dscnt 0x0
	v_add_f32_e32 v3, v9, v2
	v_xor_b32_e32 v2, 4, v6
	ds_bpermute_b32 v8, v1, v3
	v_cmp_gt_i32_e32 vcc_lo, 32, v2
	s_wait_alu 0xfffd
	v_cndmask_b32_e32 v2, v6, v2, vcc_lo
	s_wait_dscnt 0x0
	v_add_f32_e32 v8, v3, v8
	v_xor_b32_e32 v3, 2, v6
	s_delay_alu instid0(VALU_DEP_1) | instskip(SKIP_3) | instid1(VALU_DEP_2)
	v_cmp_gt_i32_e32 vcc_lo, 32, v3
	s_wait_alu 0xfffd
	v_cndmask_b32_e32 v3, v6, v3, vcc_lo
	v_cmp_gt_i32_e32 vcc_lo, 32, v10
	v_lshlrev_b32_e32 v3, 2, v3
	v_lshlrev_b32_e32 v2, 2, v2
	s_wait_alu 0xfffd
	v_cndmask_b32_e32 v6, v6, v10, vcc_lo
	v_cmp_eq_u32_e32 vcc_lo, 0, v4
	ds_bpermute_b32 v9, v2, v8
	v_lshlrev_b32_e32 v6, 2, v6
	s_wait_dscnt 0x0
	v_add_f32_e32 v8, v8, v9
	ds_bpermute_b32 v9, v3, v8
	s_wait_dscnt 0x0
	v_add_f32_e32 v8, v8, v9
	ds_bpermute_b32 v9, v6, v8
	s_and_saveexec_b32 s2, vcc_lo
	s_cbranch_execz .LBB102_7
; %bb.6:
	s_wait_dscnt 0x0
	v_add_f32_e32 v4, v8, v9
	v_mov_b32_e32 v8, 0
	global_store_b32 v8, v4, s[0:1]
.LBB102_7:
	s_wait_alu 0xfffe
	s_or_b32 exec_lo, exec_lo, s2
	ds_bpermute_b32 v4, v0, v7
	s_wait_dscnt 0x0
	v_add_f32_e32 v4, v7, v4
	ds_bpermute_b32 v7, v1, v4
	s_wait_dscnt 0x0
	v_add_f32_e32 v4, v4, v7
	;; [unrolled: 3-line block ×4, first 2 shown]
	ds_bpermute_b32 v7, v6, v4
	s_and_saveexec_b32 s2, vcc_lo
	s_cbranch_execz .LBB102_9
; %bb.8:
	s_mov_b32 s7, 0
	s_wait_dscnt 0x0
	v_dual_add_f32 v4, v4, v7 :: v_dual_mov_b32 v7, 0
	s_lshl_b64 s[4:5], s[6:7], 2
	s_wait_alu 0xfffe
	s_add_nc_u64 s[4:5], s[0:1], s[4:5]
	global_store_b32 v7, v4, s[4:5]
.LBB102_9:
	s_wait_alu 0xfffe
	s_or_b32 exec_lo, exec_lo, s2
	ds_bpermute_b32 v0, v0, v5
	s_wait_dscnt 0x0
	v_add_f32_e32 v0, v5, v0
	ds_bpermute_b32 v1, v1, v0
	s_wait_dscnt 0x0
	v_add_f32_e32 v0, v0, v1
	;; [unrolled: 3-line block ×4, first 2 shown]
	ds_bpermute_b32 v1, v6, v0
	s_and_b32 exec_lo, exec_lo, vcc_lo
	s_cbranch_execz .LBB102_11
; %bb.10:
	s_lshl_b32 s2, s6, 1
	s_mov_b32 s3, 0
	s_wait_dscnt 0x0
	v_dual_add_f32 v0, v0, v1 :: v_dual_mov_b32 v1, 0
	s_wait_alu 0xfffe
	s_lshl_b64 s[2:3], s[2:3], 2
	s_wait_alu 0xfffe
	s_add_nc_u64 s[0:1], s[0:1], s[2:3]
	global_store_b32 v1, v0, s[0:1]
.LBB102_11:
	s_endpgm
	.section	.rodata,"a",@progbits
	.p2align	6, 0x0
	.amdhsa_kernel _ZL13mul_mat_vec_qIL9ggml_type10ELi3ELb0ELb0EEvPKvS2_PKi31ggml_cuda_mm_fusion_args_devicePfj15HIP_vector_typeIjLj3EEjjjS8_jjjS8_jjjj
		.amdhsa_group_segment_fixed_size 0
		.amdhsa_private_segment_fixed_size 0
		.amdhsa_kernarg_size 144
		.amdhsa_user_sgpr_count 2
		.amdhsa_user_sgpr_dispatch_ptr 0
		.amdhsa_user_sgpr_queue_ptr 0
		.amdhsa_user_sgpr_kernarg_segment_ptr 1
		.amdhsa_user_sgpr_dispatch_id 0
		.amdhsa_user_sgpr_private_segment_size 0
		.amdhsa_wavefront_size32 1
		.amdhsa_uses_dynamic_stack 0
		.amdhsa_enable_private_segment 0
		.amdhsa_system_sgpr_workgroup_id_x 1
		.amdhsa_system_sgpr_workgroup_id_y 1
		.amdhsa_system_sgpr_workgroup_id_z 1
		.amdhsa_system_sgpr_workgroup_info 0
		.amdhsa_system_vgpr_workitem_id 1
		.amdhsa_next_free_vgpr 62
		.amdhsa_next_free_sgpr 28
		.amdhsa_reserve_vcc 1
		.amdhsa_float_round_mode_32 0
		.amdhsa_float_round_mode_16_64 0
		.amdhsa_float_denorm_mode_32 3
		.amdhsa_float_denorm_mode_16_64 3
		.amdhsa_fp16_overflow 0
		.amdhsa_workgroup_processor_mode 1
		.amdhsa_memory_ordered 1
		.amdhsa_forward_progress 1
		.amdhsa_inst_pref_size 19
		.amdhsa_round_robin_scheduling 0
		.amdhsa_exception_fp_ieee_invalid_op 0
		.amdhsa_exception_fp_denorm_src 0
		.amdhsa_exception_fp_ieee_div_zero 0
		.amdhsa_exception_fp_ieee_overflow 0
		.amdhsa_exception_fp_ieee_underflow 0
		.amdhsa_exception_fp_ieee_inexact 0
		.amdhsa_exception_int_div_zero 0
	.end_amdhsa_kernel
	.section	.text._ZL13mul_mat_vec_qIL9ggml_type10ELi3ELb0ELb0EEvPKvS2_PKi31ggml_cuda_mm_fusion_args_devicePfj15HIP_vector_typeIjLj3EEjjjS8_jjjS8_jjjj,"axG",@progbits,_ZL13mul_mat_vec_qIL9ggml_type10ELi3ELb0ELb0EEvPKvS2_PKi31ggml_cuda_mm_fusion_args_devicePfj15HIP_vector_typeIjLj3EEjjjS8_jjjS8_jjjj,comdat
.Lfunc_end102:
	.size	_ZL13mul_mat_vec_qIL9ggml_type10ELi3ELb0ELb0EEvPKvS2_PKi31ggml_cuda_mm_fusion_args_devicePfj15HIP_vector_typeIjLj3EEjjjS8_jjjS8_jjjj, .Lfunc_end102-_ZL13mul_mat_vec_qIL9ggml_type10ELi3ELb0ELb0EEvPKvS2_PKi31ggml_cuda_mm_fusion_args_devicePfj15HIP_vector_typeIjLj3EEjjjS8_jjjS8_jjjj
                                        ; -- End function
	.set _ZL13mul_mat_vec_qIL9ggml_type10ELi3ELb0ELb0EEvPKvS2_PKi31ggml_cuda_mm_fusion_args_devicePfj15HIP_vector_typeIjLj3EEjjjS8_jjjS8_jjjj.num_vgpr, 62
	.set _ZL13mul_mat_vec_qIL9ggml_type10ELi3ELb0ELb0EEvPKvS2_PKi31ggml_cuda_mm_fusion_args_devicePfj15HIP_vector_typeIjLj3EEjjjS8_jjjS8_jjjj.num_agpr, 0
	.set _ZL13mul_mat_vec_qIL9ggml_type10ELi3ELb0ELb0EEvPKvS2_PKi31ggml_cuda_mm_fusion_args_devicePfj15HIP_vector_typeIjLj3EEjjjS8_jjjS8_jjjj.numbered_sgpr, 28
	.set _ZL13mul_mat_vec_qIL9ggml_type10ELi3ELb0ELb0EEvPKvS2_PKi31ggml_cuda_mm_fusion_args_devicePfj15HIP_vector_typeIjLj3EEjjjS8_jjjS8_jjjj.num_named_barrier, 0
	.set _ZL13mul_mat_vec_qIL9ggml_type10ELi3ELb0ELb0EEvPKvS2_PKi31ggml_cuda_mm_fusion_args_devicePfj15HIP_vector_typeIjLj3EEjjjS8_jjjS8_jjjj.private_seg_size, 0
	.set _ZL13mul_mat_vec_qIL9ggml_type10ELi3ELb0ELb0EEvPKvS2_PKi31ggml_cuda_mm_fusion_args_devicePfj15HIP_vector_typeIjLj3EEjjjS8_jjjS8_jjjj.uses_vcc, 1
	.set _ZL13mul_mat_vec_qIL9ggml_type10ELi3ELb0ELb0EEvPKvS2_PKi31ggml_cuda_mm_fusion_args_devicePfj15HIP_vector_typeIjLj3EEjjjS8_jjjS8_jjjj.uses_flat_scratch, 0
	.set _ZL13mul_mat_vec_qIL9ggml_type10ELi3ELb0ELb0EEvPKvS2_PKi31ggml_cuda_mm_fusion_args_devicePfj15HIP_vector_typeIjLj3EEjjjS8_jjjS8_jjjj.has_dyn_sized_stack, 0
	.set _ZL13mul_mat_vec_qIL9ggml_type10ELi3ELb0ELb0EEvPKvS2_PKi31ggml_cuda_mm_fusion_args_devicePfj15HIP_vector_typeIjLj3EEjjjS8_jjjS8_jjjj.has_recursion, 0
	.set _ZL13mul_mat_vec_qIL9ggml_type10ELi3ELb0ELb0EEvPKvS2_PKi31ggml_cuda_mm_fusion_args_devicePfj15HIP_vector_typeIjLj3EEjjjS8_jjjS8_jjjj.has_indirect_call, 0
	.section	.AMDGPU.csdata,"",@progbits
; Kernel info:
; codeLenInByte = 2312
; TotalNumSgprs: 30
; NumVgprs: 62
; ScratchSize: 0
; MemoryBound: 0
; FloatMode: 240
; IeeeMode: 1
; LDSByteSize: 0 bytes/workgroup (compile time only)
; SGPRBlocks: 0
; VGPRBlocks: 7
; NumSGPRsForWavesPerEU: 30
; NumVGPRsForWavesPerEU: 62
; Occupancy: 16
; WaveLimiterHint : 0
; COMPUTE_PGM_RSRC2:SCRATCH_EN: 0
; COMPUTE_PGM_RSRC2:USER_SGPR: 2
; COMPUTE_PGM_RSRC2:TRAP_HANDLER: 0
; COMPUTE_PGM_RSRC2:TGID_X_EN: 1
; COMPUTE_PGM_RSRC2:TGID_Y_EN: 1
; COMPUTE_PGM_RSRC2:TGID_Z_EN: 1
; COMPUTE_PGM_RSRC2:TIDIG_COMP_CNT: 1
	.section	.text._ZL13mul_mat_vec_qIL9ggml_type10ELi4ELb0ELb0EEvPKvS2_PKi31ggml_cuda_mm_fusion_args_devicePfj15HIP_vector_typeIjLj3EEjjjS8_jjjS8_jjjj,"axG",@progbits,_ZL13mul_mat_vec_qIL9ggml_type10ELi4ELb0ELb0EEvPKvS2_PKi31ggml_cuda_mm_fusion_args_devicePfj15HIP_vector_typeIjLj3EEjjjS8_jjjS8_jjjj,comdat
	.globl	_ZL13mul_mat_vec_qIL9ggml_type10ELi4ELb0ELb0EEvPKvS2_PKi31ggml_cuda_mm_fusion_args_devicePfj15HIP_vector_typeIjLj3EEjjjS8_jjjS8_jjjj ; -- Begin function _ZL13mul_mat_vec_qIL9ggml_type10ELi4ELb0ELb0EEvPKvS2_PKi31ggml_cuda_mm_fusion_args_devicePfj15HIP_vector_typeIjLj3EEjjjS8_jjjS8_jjjj
	.p2align	8
	.type	_ZL13mul_mat_vec_qIL9ggml_type10ELi4ELb0ELb0EEvPKvS2_PKi31ggml_cuda_mm_fusion_args_devicePfj15HIP_vector_typeIjLj3EEjjjS8_jjjS8_jjjj,@function
_ZL13mul_mat_vec_qIL9ggml_type10ELi4ELb0ELb0EEvPKvS2_PKi31ggml_cuda_mm_fusion_args_devicePfj15HIP_vector_typeIjLj3EEjjjS8_jjjS8_jjjj: ; @_ZL13mul_mat_vec_qIL9ggml_type10ELi4ELb0ELb0EEvPKvS2_PKi31ggml_cuda_mm_fusion_args_devicePfj15HIP_vector_typeIjLj3EEjjjS8_jjjS8_jjjj
; %bb.0:
	s_clause 0x5
	s_load_b96 s[16:18], s[0:1], 0x80
	s_load_b32 s2, s[0:1], 0x40
	s_load_b128 s[4:7], s[0:1], 0x50
	s_load_b32 s23, s[0:1], 0x60
	s_load_b128 s[8:11], s[0:1], 0x68
	s_load_b32 s24, s[0:1], 0x78
	v_bfe_u32 v8, v0, 10, 10
	v_dual_mov_b32 v7, 0 :: v_dual_and_b32 v6, 0x3ff, v0
	v_mov_b32_e32 v5, 0
	v_mov_b32_e32 v9, 0
	;; [unrolled: 1-line block ×3, first 2 shown]
	s_delay_alu instid0(VALU_DEP_4) | instskip(SKIP_3) | instid1(VALU_DEP_1)
	v_lshl_or_b32 v0, v8, 5, v6
	s_and_b32 s19, ttmp7, 0xffff
	s_lshr_b32 s20, ttmp7, 16
	s_mov_b32 s21, exec_lo
	v_lshrrev_b32_e32 v10, 4, v0
	s_wait_kmcnt 0x0
	s_lshr_b32 s22, s2, 8
	s_delay_alu instid0(VALU_DEP_1) | instid1(SALU_CYCLE_1)
	v_cmpx_gt_u32_e64 s22, v10
	s_cbranch_execz .LBB103_4
; %bb.1:
	s_load_b128 s[12:15], s[0:1], 0x0
	v_lshl_add_u32 v0, v8, 5, v6
	v_bfe_u32 v3, v6, 3, 1
	v_lshrrev_b32_e32 v2, 1, v6
	s_mul_hi_u32 s7, s7, s19
	s_mul_hi_u32 s11, s11, s20
	v_lshrrev_b32_e32 v4, 4, v0
	v_mul_hi_u32_u24_e32 v1, 0x90, v3
	v_mul_u32_u24_e32 v0, 0x90, v3
	s_mul_i32 s2, s17, s20
	s_mov_b32 s3, 0
	s_add_co_i32 s7, s19, s7
	v_and_b32_e32 v5, 4, v2
	v_mad_co_u64_u32 v[2:3], null, 0x120, v4, v[0:1]
	s_add_co_i32 s11, s20, s11
	s_mul_u64 s[26:27], s[2:3], 36
	s_mul_i32 s2, s9, s19
	s_lshr_b32 s7, s7, s23
	v_dual_mov_b32 v7, 0 :: v_dual_lshlrev_b32 v4, 3, v10
	s_lshr_b32 s11, s11, s24
	s_mul_u64 s[24:25], s[2:3], 36
	s_mul_i32 s2, s7, s8
	s_wait_kmcnt 0x0
	s_add_nc_u64 s[8:9], s[14:15], s[26:27]
	v_and_b32_e32 v9, 15, v6
	s_add_nc_u64 s[8:9], s[8:9], s[24:25]
	v_and_b32_e32 v11, 7, v6
	v_bfe_u32 v12, v6, 2, 1
	v_mad_co_u64_u32 v[0:1], null, v5, 36, s[8:9]
	v_add_nc_u32_e32 v14, s5, v4
	v_lshl_add_u32 v15, s5, 1, v4
	v_mad_co_u64_u32 v[4:5], null, s5, 3, v[4:5]
	v_add_co_u32 v2, vcc_lo, s8, v2
	s_mul_i32 s4, s4, ttmp9
	v_and_or_b32 v12, v6, 8, v12
	v_lshlrev_b32_e32 v13, 2, v11
	v_add_co_ci_u32_e64 v3, null, s9, v3, vcc_lo
	v_dual_mov_b32 v9, 0 :: v_dual_lshlrev_b32 v16, 2, v9
	v_lshlrev_b32_e32 v17, 2, v11
	v_mov_b32_e32 v5, 0
	v_mov_b32_e32 v11, 0
	s_mul_i32 s7, s11, s16
	s_wait_alu 0xfffe
	s_add_co_i32 s2, s2, s4
	s_delay_alu instid0(SALU_CYCLE_1)
	s_add_co_i32 s2, s7, s2
.LBB103_2:                              ; =>This Inner Loop Header: Depth=1
	v_mad_co_u64_u32 v[20:21], null, v14, 36, v[0:1]
	v_add_nc_u32_e32 v26, s2, v10
	v_add_co_u32 v18, vcc_lo, v2, v13
	v_mad_co_u64_u32 v[22:23], null, v15, 36, v[0:1]
	s_wait_alu 0xfffd
	v_add_co_ci_u32_e64 v19, null, 0, v3, vcc_lo
	v_mad_co_u64_u32 v[24:25], null, v4, 36, v[0:1]
	v_mad_co_i64_i32 v[26:27], null, 0x54, v26, s[12:13]
	s_clause 0x7
	global_load_b32 v36, v[2:3], off
	global_load_b32 v37, v[2:3], off offset:36
	global_load_b32 v38, v[2:3], off offset:72
	;; [unrolled: 1-line block ×7, first 2 shown]
	v_add_co_u32 v18, vcc_lo, v20, v17
	s_wait_alu 0xfffd
	v_add_co_ci_u32_e64 v19, null, 0, v21, vcc_lo
	v_add_co_u32 v28, vcc_lo, v22, v17
	s_wait_alu 0xfffd
	v_add_co_ci_u32_e64 v29, null, 0, v23, vcc_lo
	;; [unrolled: 3-line block ×4, first 2 shown]
	v_add_co_u32 v34, vcc_lo, v26, v12
	s_clause 0x8
	global_load_b32 v44, v[20:21], off
	global_load_b32 v45, v[20:21], off offset:36
	global_load_b32 v46, v[20:21], off offset:72
	global_load_b32 v47, v[22:23], off
	global_load_b32 v48, v[22:23], off offset:36
	global_load_b32 v49, v[22:23], off offset:72
	global_load_b32 v50, v[24:25], off
	global_load_b32 v51, v[24:25], off offset:36
	global_load_b32 v52, v[24:25], off offset:72
	s_wait_alu 0xfffd
	v_add_co_ci_u32_e64 v35, null, 0, v27, vcc_lo
	s_clause 0xb
	global_load_b32 v53, v[18:19], off offset:4
	global_load_b32 v54, v[18:19], off offset:40
	;; [unrolled: 1-line block ×12, first 2 shown]
	s_clause 0x5
	global_load_b32 v31, v[32:33], off offset:16
	global_load_u8 v32, v[34:35], off
	global_load_u8 v33, v[34:35], off offset:2
	global_load_u8 v60, v[34:35], off offset:4
	;; [unrolled: 1-line block ×3, first 2 shown]
	global_load_b32 v26, v[26:27], off offset:80
	s_clause 0x2
	global_load_b32 v20, v[20:21], off offset:108
	global_load_b32 v21, v[22:23], off offset:108
	;; [unrolled: 1-line block ×3, first 2 shown]
	v_add_co_u32 v2, vcc_lo, 0x240, v2
	s_wait_alu 0xfffd
	v_add_co_ci_u32_e64 v3, null, 0, v3, vcc_lo
	v_add_nc_u32_e32 v15, 16, v15
	v_add_nc_u32_e32 v4, 16, v4
	s_wait_loadcnt 0x8
	v_and_b32_e32 v23, 0x3030303, v31
	s_wait_loadcnt 0x7
	v_and_b32_e32 v24, 15, v32
	v_lshrrev_b32_e32 v25, 4, v32
	v_lshrrev_b32_e32 v27, 2, v31
	s_wait_loadcnt 0x6
	v_and_b32_e32 v32, 15, v33
	s_wait_loadcnt 0x3
	v_lshrrev_b32_e32 v63, 16, v26
	v_lshrrev_b32_e32 v33, 4, v33
	v_and_b32_e32 v62, 15, v34
	v_lshrrev_b32_e32 v34, 4, v34
	v_lshrrev_b32_e32 v35, 4, v31
	v_cvt_f32_f16_e32 v63, v63
	v_and_b32_e32 v61, 15, v60
	v_lshrrev_b32_e32 v60, 4, v60
	v_lshrrev_b32_e32 v31, 6, v31
	v_mul_lo_u32 v25, 0x1010101, v25
	v_and_b32_e32 v27, 0x3030303, v27
	v_mul_lo_u32 v33, 0x1010101, v33
	v_mul_lo_u32 v60, 0x1010101, v60
	;; [unrolled: 1-line block ×3, first 2 shown]
	v_dot4_i32_iu8 v64, v23, v40, 0 neg_lo:[1,1,0]
	v_and_b32_e32 v35, 0x3030303, v35
	v_and_b32_e32 v31, 0x3030303, v31
	v_dot4_i32_iu8 v65, v23, v53, 0 neg_lo:[1,1,0]
	v_dot4_i32_iu8 v66, v23, v19, 0 neg_lo:[1,1,0]
	;; [unrolled: 1-line block ×3, first 2 shown]
	v_mul_lo_u32 v64, v24, v64
	v_dot4_i32_iu8 v67, v27, v41, 0 neg_lo:[1,1,0]
	v_dot4_i32_iu8 v68, v35, v42, 0 neg_lo:[1,1,0]
	;; [unrolled: 1-line block ×3, first 2 shown]
	v_mul_lo_u32 v65, v24, v65
	v_dot4_i32_iu8 v70, v27, v54, 0 neg_lo:[1,1,0]
	v_dot4_i32_iu8 v71, v35, v55, 0 neg_lo:[1,1,0]
	v_mul_lo_u32 v66, v24, v66
	v_dot4_i32_iu8 v73, v27, v56, 0 neg_lo:[1,1,0]
	v_dot4_i32_iu8 v74, v35, v57, 0 neg_lo:[1,1,0]
	;; [unrolled: 3-line block ×3, first 2 shown]
	v_dot4_i32_iu8 v35, v25, v40, 0 neg_lo:[1,1,0]
	v_dot4_i32_iu8 v40, v33, v41, 0 neg_lo:[1,1,0]
	;; [unrolled: 1-line block ×11, first 2 shown]
	v_mul_lo_u32 v34, v32, v67
	v_dot4_i32_iu8 v53, v33, v54, 0 neg_lo:[1,1,0]
	v_dot4_i32_iu8 v54, v60, v55, 0 neg_lo:[1,1,0]
	;; [unrolled: 1-line block ×8, first 2 shown]
	v_mul_lo_u32 v57, v61, v68
	v_mul_lo_u32 v59, v32, v70
	;; [unrolled: 1-line block ×4, first 2 shown]
	v_cvt_f32_i32_e32 v32, v64
	v_cvt_f32_i32_e32 v35, v35
	;; [unrolled: 1-line block ×7, first 2 shown]
	v_fma_mix_f32 v32, v36, v32, 0 op_sel_hi:[1,0,0]
	v_fma_mix_f32 v35, v36, v35, 0 op_sel_hi:[1,0,0]
	v_cvt_f32_i32_e32 v34, v34
	v_fma_mix_f32 v43, v44, v43, 0 op_sel_hi:[1,0,0]
	v_cvt_f32_i32_e32 v41, v41
	v_cvt_f32_i32_e32 v54, v54
	;; [unrolled: 1-line block ×3, first 2 shown]
	v_fma_mix_f32 v23, v50, v23, 0 op_sel_hi:[1,0,0]
	v_fma_mix_f32 v25, v50, v25, 0 op_sel_hi:[1,0,0]
	v_cvt_f32_i32_e32 v24, v24
	v_fma_mix_f32 v32, v37, v34, v32 op_sel_hi:[1,0,0]
	v_fma_mix_f32 v34, v37, v40, v35 op_sel_hi:[1,0,0]
	;; [unrolled: 1-line block ×3, first 2 shown]
	v_cvt_f32_i32_e32 v18, v18
	v_fma_mix_f32 v23, v51, v24, v23 op_sel_hi:[1,0,0]
	v_fma_mix_f32 v24, v51, v29, v25 op_sel_hi:[1,0,0]
	;; [unrolled: 1-line block ×4, first 2 shown]
	v_mul_lo_u32 v58, v62, v69
	v_mul_lo_u32 v67, v62, v72
	v_mul_lo_u32 v70, v62, v75
	v_mul_lo_u32 v31, v62, v31
	s_wait_loadcnt 0x2
	v_fma_mix_f32 v18, v20, v18, v34 op_sel_hi:[1,0,0]
	v_cvt_f32_i32_e32 v62, v66
	v_cvt_f32_i32_e32 v19, v19
	;; [unrolled: 1-line block ×4, first 2 shown]
	v_mul_f32_e32 v18, v18, v63
	v_mul_lo_u32 v60, v61, v71
	v_mul_lo_u32 v69, v61, v74
	;; [unrolled: 1-line block ×3, first 2 shown]
	v_cvt_f32_i32_e32 v61, v65
	v_cvt_f32_i32_e32 v57, v58
	v_fma_mix_f32 v19, v47, v19, 0 op_sel_hi:[1,0,0]
	v_cvt_f32_i32_e32 v56, v56
	v_cvt_f32_i32_e32 v33, v33
	v_fma_mix_f32 v58, v44, v61, 0 op_sel_hi:[1,0,0]
	v_cvt_f32_i32_e32 v44, v59
	v_fma_mix_f32 v61, v47, v62, 0 op_sel_hi:[1,0,0]
	v_cvt_f32_i32_e32 v47, v68
	v_cvt_f32_i32_e32 v59, v60
	;; [unrolled: 1-line block ×3, first 2 shown]
	v_fma_mix_f32 v35, v45, v44, v58 op_sel_hi:[1,0,0]
	v_fma_mix_f32 v19, v48, v55, v19 op_sel_hi:[1,0,0]
	v_fma_mix_f32 v40, v48, v47, v61 op_sel_hi:[1,0,0]
	v_cvt_f32_i32_e32 v42, v42
	v_cvt_f32_i32_e32 v28, v28
	;; [unrolled: 1-line block ×6, first 2 shown]
	v_fma_mix_f32 v25, v38, v36, v32 op_sel_hi:[1,0,0]
	v_fma_mix_f32 v32, v46, v59, v35 op_sel_hi:[1,0,0]
	;; [unrolled: 1-line block ×5, first 2 shown]
	v_cvt_f32_i32_e32 v31, v31
	v_fma_mix_f32 v23, v52, v27, v23 op_sel_hi:[1,0,0]
	v_fma_mix_f32 v27, v39, v42, v29 op_sel_hi:[1,0,0]
	v_fma_mix_f32 v29, v20, v60, v32 op_sel_hi:[1,0,0]
	s_wait_loadcnt 0x1
	v_fma_mix_f32 v20, v21, v64, v35 op_sel_hi:[1,0,0]
	v_fma_mix_f32 v19, v21, v28, v19 op_sel_hi:[1,0,0]
	s_wait_loadcnt 0x0
	v_fma_mix_f32 v21, v22, v30, v24 op_sel_hi:[1,0,0]
	v_add_nc_u32_e32 v10, 2, v10
	v_add_nc_u32_e32 v14, 16, v14
	v_fma_mix_f32 v25, v39, v57, v25 op_sel_hi:[1,0,0]
	v_fma_mix_f32 v22, v22, v31, v23 op_sel_hi:[1,0,0]
	v_mul_f32_e32 v23, v27, v63
	v_mul_f32_e32 v19, v19, v63
	;; [unrolled: 1-line block ×3, first 2 shown]
	v_fma_mix_f32 v18, v29, v26, -v18 op_sel_hi:[0,1,0]
	v_cmp_le_u32_e32 vcc_lo, s22, v10
	v_fma_mix_f32 v23, v25, v26, -v23 op_sel_hi:[0,1,0]
	v_fma_mix_f32 v19, v20, v26, -v19 op_sel_hi:[0,1,0]
	;; [unrolled: 1-line block ×3, first 2 shown]
	v_add_f32_e32 v9, v9, v18
	s_or_b32 s3, vcc_lo, s3
	v_add_f32_e32 v11, v11, v23
	v_add_f32_e32 v5, v5, v19
	;; [unrolled: 1-line block ×3, first 2 shown]
	s_wait_alu 0xfffe
	s_and_not1_b32 exec_lo, exec_lo, s3
	s_cbranch_execnz .LBB103_2
; %bb.3:
	s_or_b32 exec_lo, exec_lo, s3
.LBB103_4:
	s_delay_alu instid0(SALU_CYCLE_1)
	s_or_b32 exec_lo, exec_lo, s21
	s_mov_b32 s3, 0
	; wave barrier
	global_inv scope:SCOPE_SE
	s_mov_b32 s2, exec_lo
	v_cmpx_eq_u32_e32 0, v8
	s_cbranch_execz .LBB103_13
; %bb.5:
	v_mbcnt_lo_u32_b32 v4, -1, 0
	s_load_b64 s[0:1], s[0:1], 0x38
	s_mul_i32 s2, s10, s19
	s_mul_i32 s4, s18, s20
	s_wait_alu 0xfffe
	s_add_co_i32 s2, s2, ttmp9
	v_xor_b32_e32 v0, 16, v4
	v_xor_b32_e32 v1, 8, v4
	s_wait_alu 0xfffe
	s_add_co_i32 s2, s2, s4
	s_wait_alu 0xfffe
	s_lshl_b64 s[2:3], s[2:3], 2
	v_cmp_gt_i32_e32 vcc_lo, 32, v0
	s_wait_alu 0xfffd
	v_cndmask_b32_e32 v0, v4, v0, vcc_lo
	v_cmp_gt_i32_e32 vcc_lo, 32, v1
	s_wait_alu 0xfffd
	v_cndmask_b32_e32 v1, v4, v1, vcc_lo
	s_wait_kmcnt 0x0
	s_wait_alu 0xfffe
	s_add_nc_u64 s[0:1], s[0:1], s[2:3]
	s_delay_alu instid0(VALU_DEP_1)
	v_lshlrev_b32_e32 v1, 2, v1
	v_lshlrev_b32_e32 v0, 2, v0
	ds_bpermute_b32 v2, v0, v11
	s_wait_dscnt 0x0
	v_add_f32_e32 v3, v11, v2
	v_xor_b32_e32 v2, 4, v4
	v_xor_b32_e32 v11, 1, v4
	ds_bpermute_b32 v8, v1, v3
	v_cmp_gt_i32_e32 vcc_lo, 32, v2
	s_wait_alu 0xfffd
	v_cndmask_b32_e32 v2, v4, v2, vcc_lo
	s_wait_dscnt 0x0
	v_add_f32_e32 v8, v3, v8
	v_xor_b32_e32 v3, 2, v4
	s_delay_alu instid0(VALU_DEP_1) | instskip(SKIP_3) | instid1(VALU_DEP_2)
	v_cmp_gt_i32_e32 vcc_lo, 32, v3
	s_wait_alu 0xfffd
	v_cndmask_b32_e32 v3, v4, v3, vcc_lo
	v_cmp_gt_i32_e32 vcc_lo, 32, v11
	v_lshlrev_b32_e32 v3, 2, v3
	v_lshlrev_b32_e32 v2, 2, v2
	s_wait_alu 0xfffd
	v_cndmask_b32_e32 v4, v4, v11, vcc_lo
	v_cmp_eq_u32_e32 vcc_lo, 0, v6
	ds_bpermute_b32 v10, v2, v8
	v_lshlrev_b32_e32 v4, 2, v4
	s_wait_dscnt 0x0
	v_add_f32_e32 v8, v8, v10
	ds_bpermute_b32 v10, v3, v8
	s_wait_dscnt 0x0
	v_add_f32_e32 v8, v8, v10
	ds_bpermute_b32 v10, v4, v8
	s_and_saveexec_b32 s2, vcc_lo
	s_cbranch_execz .LBB103_7
; %bb.6:
	s_wait_dscnt 0x0
	v_add_f32_e32 v6, v8, v10
	v_mov_b32_e32 v8, 0
	global_store_b32 v8, v6, s[0:1]
.LBB103_7:
	s_wait_alu 0xfffe
	s_or_b32 exec_lo, exec_lo, s2
	ds_bpermute_b32 v6, v0, v9
	s_wait_dscnt 0x0
	v_add_f32_e32 v6, v9, v6
	ds_bpermute_b32 v8, v1, v6
	s_wait_dscnt 0x0
	v_add_f32_e32 v6, v6, v8
	ds_bpermute_b32 v8, v2, v6
	s_wait_dscnt 0x0
	v_add_f32_e32 v6, v6, v8
	ds_bpermute_b32 v8, v3, v6
	s_wait_dscnt 0x0
	v_add_f32_e32 v6, v6, v8
	ds_bpermute_b32 v8, v4, v6
	s_and_saveexec_b32 s2, vcc_lo
	s_cbranch_execz .LBB103_9
; %bb.8:
	s_mov_b32 s7, 0
	s_wait_dscnt 0x0
	v_add_f32_e32 v6, v6, v8
	v_mov_b32_e32 v8, 0
	s_lshl_b64 s[4:5], s[6:7], 2
	s_wait_alu 0xfffe
	s_add_nc_u64 s[4:5], s[0:1], s[4:5]
	global_store_b32 v8, v6, s[4:5]
.LBB103_9:
	s_wait_alu 0xfffe
	s_or_b32 exec_lo, exec_lo, s2
	ds_bpermute_b32 v6, v0, v5
	s_wait_dscnt 0x0
	v_add_f32_e32 v5, v5, v6
	ds_bpermute_b32 v6, v1, v5
	s_wait_dscnt 0x0
	v_add_f32_e32 v5, v5, v6
	;; [unrolled: 3-line block ×4, first 2 shown]
	ds_bpermute_b32 v6, v4, v5
	s_and_saveexec_b32 s2, vcc_lo
	s_cbranch_execz .LBB103_11
; %bb.10:
	s_lshl_b32 s4, s6, 1
	s_mov_b32 s5, 0
	s_wait_dscnt 0x0
	v_dual_add_f32 v5, v5, v6 :: v_dual_mov_b32 v6, 0
	s_wait_alu 0xfffe
	s_lshl_b64 s[4:5], s[4:5], 2
	s_wait_alu 0xfffe
	s_add_nc_u64 s[4:5], s[0:1], s[4:5]
	global_store_b32 v6, v5, s[4:5]
.LBB103_11:
	s_wait_alu 0xfffe
	s_or_b32 exec_lo, exec_lo, s2
	ds_bpermute_b32 v0, v0, v7
	s_wait_dscnt 0x0
	v_add_f32_e32 v0, v7, v0
	ds_bpermute_b32 v1, v1, v0
	s_wait_dscnt 0x0
	v_add_f32_e32 v0, v0, v1
	;; [unrolled: 3-line block ×4, first 2 shown]
	ds_bpermute_b32 v1, v4, v0
	s_and_b32 exec_lo, exec_lo, vcc_lo
	s_cbranch_execz .LBB103_13
; %bb.12:
	s_mul_i32 s2, s6, 3
	s_mov_b32 s3, 0
	s_wait_dscnt 0x0
	v_dual_add_f32 v0, v0, v1 :: v_dual_mov_b32 v1, 0
	s_wait_alu 0xfffe
	s_lshl_b64 s[2:3], s[2:3], 2
	s_wait_alu 0xfffe
	s_add_nc_u64 s[0:1], s[0:1], s[2:3]
	global_store_b32 v1, v0, s[0:1]
.LBB103_13:
	s_endpgm
	.section	.rodata,"a",@progbits
	.p2align	6, 0x0
	.amdhsa_kernel _ZL13mul_mat_vec_qIL9ggml_type10ELi4ELb0ELb0EEvPKvS2_PKi31ggml_cuda_mm_fusion_args_devicePfj15HIP_vector_typeIjLj3EEjjjS8_jjjS8_jjjj
		.amdhsa_group_segment_fixed_size 0
		.amdhsa_private_segment_fixed_size 0
		.amdhsa_kernarg_size 144
		.amdhsa_user_sgpr_count 2
		.amdhsa_user_sgpr_dispatch_ptr 0
		.amdhsa_user_sgpr_queue_ptr 0
		.amdhsa_user_sgpr_kernarg_segment_ptr 1
		.amdhsa_user_sgpr_dispatch_id 0
		.amdhsa_user_sgpr_private_segment_size 0
		.amdhsa_wavefront_size32 1
		.amdhsa_uses_dynamic_stack 0
		.amdhsa_enable_private_segment 0
		.amdhsa_system_sgpr_workgroup_id_x 1
		.amdhsa_system_sgpr_workgroup_id_y 1
		.amdhsa_system_sgpr_workgroup_id_z 1
		.amdhsa_system_sgpr_workgroup_info 0
		.amdhsa_system_vgpr_workitem_id 1
		.amdhsa_next_free_vgpr 76
		.amdhsa_next_free_sgpr 28
		.amdhsa_reserve_vcc 1
		.amdhsa_float_round_mode_32 0
		.amdhsa_float_round_mode_16_64 0
		.amdhsa_float_denorm_mode_32 3
		.amdhsa_float_denorm_mode_16_64 3
		.amdhsa_fp16_overflow 0
		.amdhsa_workgroup_processor_mode 1
		.amdhsa_memory_ordered 1
		.amdhsa_forward_progress 1
		.amdhsa_inst_pref_size 22
		.amdhsa_round_robin_scheduling 0
		.amdhsa_exception_fp_ieee_invalid_op 0
		.amdhsa_exception_fp_denorm_src 0
		.amdhsa_exception_fp_ieee_div_zero 0
		.amdhsa_exception_fp_ieee_overflow 0
		.amdhsa_exception_fp_ieee_underflow 0
		.amdhsa_exception_fp_ieee_inexact 0
		.amdhsa_exception_int_div_zero 0
	.end_amdhsa_kernel
	.section	.text._ZL13mul_mat_vec_qIL9ggml_type10ELi4ELb0ELb0EEvPKvS2_PKi31ggml_cuda_mm_fusion_args_devicePfj15HIP_vector_typeIjLj3EEjjjS8_jjjS8_jjjj,"axG",@progbits,_ZL13mul_mat_vec_qIL9ggml_type10ELi4ELb0ELb0EEvPKvS2_PKi31ggml_cuda_mm_fusion_args_devicePfj15HIP_vector_typeIjLj3EEjjjS8_jjjS8_jjjj,comdat
.Lfunc_end103:
	.size	_ZL13mul_mat_vec_qIL9ggml_type10ELi4ELb0ELb0EEvPKvS2_PKi31ggml_cuda_mm_fusion_args_devicePfj15HIP_vector_typeIjLj3EEjjjS8_jjjS8_jjjj, .Lfunc_end103-_ZL13mul_mat_vec_qIL9ggml_type10ELi4ELb0ELb0EEvPKvS2_PKi31ggml_cuda_mm_fusion_args_devicePfj15HIP_vector_typeIjLj3EEjjjS8_jjjS8_jjjj
                                        ; -- End function
	.set _ZL13mul_mat_vec_qIL9ggml_type10ELi4ELb0ELb0EEvPKvS2_PKi31ggml_cuda_mm_fusion_args_devicePfj15HIP_vector_typeIjLj3EEjjjS8_jjjS8_jjjj.num_vgpr, 76
	.set _ZL13mul_mat_vec_qIL9ggml_type10ELi4ELb0ELb0EEvPKvS2_PKi31ggml_cuda_mm_fusion_args_devicePfj15HIP_vector_typeIjLj3EEjjjS8_jjjS8_jjjj.num_agpr, 0
	.set _ZL13mul_mat_vec_qIL9ggml_type10ELi4ELb0ELb0EEvPKvS2_PKi31ggml_cuda_mm_fusion_args_devicePfj15HIP_vector_typeIjLj3EEjjjS8_jjjS8_jjjj.numbered_sgpr, 28
	.set _ZL13mul_mat_vec_qIL9ggml_type10ELi4ELb0ELb0EEvPKvS2_PKi31ggml_cuda_mm_fusion_args_devicePfj15HIP_vector_typeIjLj3EEjjjS8_jjjS8_jjjj.num_named_barrier, 0
	.set _ZL13mul_mat_vec_qIL9ggml_type10ELi4ELb0ELb0EEvPKvS2_PKi31ggml_cuda_mm_fusion_args_devicePfj15HIP_vector_typeIjLj3EEjjjS8_jjjS8_jjjj.private_seg_size, 0
	.set _ZL13mul_mat_vec_qIL9ggml_type10ELi4ELb0ELb0EEvPKvS2_PKi31ggml_cuda_mm_fusion_args_devicePfj15HIP_vector_typeIjLj3EEjjjS8_jjjS8_jjjj.uses_vcc, 1
	.set _ZL13mul_mat_vec_qIL9ggml_type10ELi4ELb0ELb0EEvPKvS2_PKi31ggml_cuda_mm_fusion_args_devicePfj15HIP_vector_typeIjLj3EEjjjS8_jjjS8_jjjj.uses_flat_scratch, 0
	.set _ZL13mul_mat_vec_qIL9ggml_type10ELi4ELb0ELb0EEvPKvS2_PKi31ggml_cuda_mm_fusion_args_devicePfj15HIP_vector_typeIjLj3EEjjjS8_jjjS8_jjjj.has_dyn_sized_stack, 0
	.set _ZL13mul_mat_vec_qIL9ggml_type10ELi4ELb0ELb0EEvPKvS2_PKi31ggml_cuda_mm_fusion_args_devicePfj15HIP_vector_typeIjLj3EEjjjS8_jjjS8_jjjj.has_recursion, 0
	.set _ZL13mul_mat_vec_qIL9ggml_type10ELi4ELb0ELb0EEvPKvS2_PKi31ggml_cuda_mm_fusion_args_devicePfj15HIP_vector_typeIjLj3EEjjjS8_jjjS8_jjjj.has_indirect_call, 0
	.section	.AMDGPU.csdata,"",@progbits
; Kernel info:
; codeLenInByte = 2796
; TotalNumSgprs: 30
; NumVgprs: 76
; ScratchSize: 0
; MemoryBound: 0
; FloatMode: 240
; IeeeMode: 1
; LDSByteSize: 0 bytes/workgroup (compile time only)
; SGPRBlocks: 0
; VGPRBlocks: 9
; NumSGPRsForWavesPerEU: 30
; NumVGPRsForWavesPerEU: 76
; Occupancy: 16
; WaveLimiterHint : 0
; COMPUTE_PGM_RSRC2:SCRATCH_EN: 0
; COMPUTE_PGM_RSRC2:USER_SGPR: 2
; COMPUTE_PGM_RSRC2:TRAP_HANDLER: 0
; COMPUTE_PGM_RSRC2:TGID_X_EN: 1
; COMPUTE_PGM_RSRC2:TGID_Y_EN: 1
; COMPUTE_PGM_RSRC2:TGID_Z_EN: 1
; COMPUTE_PGM_RSRC2:TIDIG_COMP_CNT: 1
	.section	.text._ZL13mul_mat_vec_qIL9ggml_type10ELi5ELb0ELb0EEvPKvS2_PKi31ggml_cuda_mm_fusion_args_devicePfj15HIP_vector_typeIjLj3EEjjjS8_jjjS8_jjjj,"axG",@progbits,_ZL13mul_mat_vec_qIL9ggml_type10ELi5ELb0ELb0EEvPKvS2_PKi31ggml_cuda_mm_fusion_args_devicePfj15HIP_vector_typeIjLj3EEjjjS8_jjjS8_jjjj,comdat
	.globl	_ZL13mul_mat_vec_qIL9ggml_type10ELi5ELb0ELb0EEvPKvS2_PKi31ggml_cuda_mm_fusion_args_devicePfj15HIP_vector_typeIjLj3EEjjjS8_jjjS8_jjjj ; -- Begin function _ZL13mul_mat_vec_qIL9ggml_type10ELi5ELb0ELb0EEvPKvS2_PKi31ggml_cuda_mm_fusion_args_devicePfj15HIP_vector_typeIjLj3EEjjjS8_jjjS8_jjjj
	.p2align	8
	.type	_ZL13mul_mat_vec_qIL9ggml_type10ELi5ELb0ELb0EEvPKvS2_PKi31ggml_cuda_mm_fusion_args_devicePfj15HIP_vector_typeIjLj3EEjjjS8_jjjS8_jjjj,@function
_ZL13mul_mat_vec_qIL9ggml_type10ELi5ELb0ELb0EEvPKvS2_PKi31ggml_cuda_mm_fusion_args_devicePfj15HIP_vector_typeIjLj3EEjjjS8_jjjS8_jjjj: ; @_ZL13mul_mat_vec_qIL9ggml_type10ELi5ELb0ELb0EEvPKvS2_PKi31ggml_cuda_mm_fusion_args_devicePfj15HIP_vector_typeIjLj3EEjjjS8_jjjS8_jjjj
; %bb.0:
	s_clause 0x5
	s_load_b96 s[16:18], s[0:1], 0x80
	s_load_b32 s2, s[0:1], 0x40
	s_load_b128 s[4:7], s[0:1], 0x50
	s_load_b32 s23, s[0:1], 0x60
	s_load_b128 s[8:11], s[0:1], 0x68
	s_load_b32 s24, s[0:1], 0x78
	v_bfe_u32 v9, v0, 10, 10
	v_dual_mov_b32 v6, 0 :: v_dual_and_b32 v7, 0x3ff, v0
	v_dual_mov_b32 v5, 0 :: v_dual_mov_b32 v8, 0
	v_mov_b32_e32 v10, 0
	s_delay_alu instid0(VALU_DEP_3)
	v_lshl_or_b32 v0, v9, 5, v7
	v_mov_b32_e32 v12, 0
	s_and_b32 s19, ttmp7, 0xffff
	s_lshr_b32 s20, ttmp7, 16
	s_mov_b32 s21, exec_lo
	v_lshrrev_b32_e32 v11, 4, v0
	s_wait_kmcnt 0x0
	s_lshr_b32 s22, s2, 8
	s_delay_alu instid0(VALU_DEP_1) | instid1(SALU_CYCLE_1)
	v_cmpx_gt_u32_e64 s22, v11
	s_cbranch_execz .LBB104_4
; %bb.1:
	s_load_b128 s[12:15], s[0:1], 0x0
	v_lshl_add_u32 v0, v9, 5, v7
	v_bfe_u32 v3, v7, 3, 1
	v_lshrrev_b32_e32 v2, 1, v7
	s_mul_hi_u32 s7, s7, s19
	v_bfe_u32 v8, v7, 2, 1
	v_lshrrev_b32_e32 v4, 4, v0
	v_mul_hi_u32_u24_e32 v1, 0x90, v3
	v_mul_u32_u24_e32 v0, 0x90, v3
	s_mul_hi_u32 s11, s11, s20
	s_mul_i32 s2, s17, s20
	s_mov_b32 s3, 0
	s_add_co_i32 s7, s19, s7
	v_dual_mov_b32 v6, 0 :: v_dual_and_b32 v5, 4, v2
	v_mad_co_u64_u32 v[2:3], null, 0x120, v4, v[0:1]
	s_add_co_i32 s11, s20, s11
	s_mul_u64 s[26:27], s[2:3], 36
	s_mul_i32 s2, s9, s19
	s_lshr_b32 s7, s7, s23
	v_and_or_b32 v13, v7, 8, v8
	v_lshlrev_b32_e32 v8, 3, v11
	s_lshr_b32 s11, s11, s24
	s_mul_u64 s[24:25], s[2:3], 36
	s_mul_i32 s2, s7, s8
	s_wait_kmcnt 0x0
	s_add_nc_u64 s[8:9], s[14:15], s[26:27]
	v_and_b32_e32 v10, 15, v7
	s_add_nc_u64 s[8:9], s[8:9], s[24:25]
	v_and_b32_e32 v12, 7, v7
	v_mad_co_u64_u32 v[0:1], null, v5, 36, s[8:9]
	v_mad_co_u64_u32 v[4:5], null, s5, 3, v[8:9]
	v_add_co_u32 v2, vcc_lo, s8, v2
	s_mul_i32 s4, s4, ttmp9
	v_lshlrev_b32_e32 v14, 2, v12
	v_add_co_ci_u32_e64 v3, null, s9, v3, vcc_lo
	v_add_nc_u32_e32 v15, s5, v8
	v_lshl_add_u32 v16, s5, 1, v8
	v_lshl_add_u32 v17, s5, 2, v8
	v_lshlrev_b32_e32 v19, 2, v12
	v_dual_mov_b32 v5, 0 :: v_dual_lshlrev_b32 v18, 2, v10
	v_mov_b32_e32 v8, 0
	v_mov_b32_e32 v10, 0
	;; [unrolled: 1-line block ×3, first 2 shown]
	s_mul_i32 s7, s11, s16
	s_wait_alu 0xfffe
	s_add_co_i32 s2, s2, s4
	s_delay_alu instid0(SALU_CYCLE_1)
	s_add_co_i32 s2, s7, s2
.LBB104_2:                              ; =>This Inner Loop Header: Depth=1
	v_mad_co_u64_u32 v[22:23], null, v15, 36, v[0:1]
	v_add_co_u32 v20, vcc_lo, v2, v14
	v_mad_co_u64_u32 v[24:25], null, v16, 36, v[0:1]
	v_add_nc_u32_e32 v30, s2, v11
	s_wait_alu 0xfffd
	v_add_co_ci_u32_e64 v21, null, 0, v3, vcc_lo
	v_mad_co_u64_u32 v[26:27], null, v4, 36, v[0:1]
	v_mad_co_u64_u32 v[28:29], null, v17, 36, v[0:1]
	s_clause 0x3
	global_load_b32 v42, v[2:3], off
	global_load_b32 v43, v[2:3], off offset:36
	global_load_b32 v44, v[2:3], off offset:72
	;; [unrolled: 1-line block ×3, first 2 shown]
	v_mad_co_i64_i32 v[30:31], null, 0x54, v30, s[12:13]
	s_clause 0x3
	global_load_b32 v46, v[20:21], off offset:4
	global_load_b32 v47, v[20:21], off offset:40
	;; [unrolled: 1-line block ×4, first 2 shown]
	v_add_co_u32 v20, vcc_lo, v22, v19
	s_wait_alu 0xfffd
	v_add_co_ci_u32_e64 v21, null, 0, v23, vcc_lo
	v_add_co_u32 v32, vcc_lo, v24, v19
	s_wait_alu 0xfffd
	v_add_co_ci_u32_e64 v33, null, 0, v25, vcc_lo
	;; [unrolled: 3-line block ×5, first 2 shown]
	v_add_co_u32 v40, vcc_lo, v30, v13
	s_clause 0xb
	global_load_b32 v50, v[22:23], off
	global_load_b32 v51, v[22:23], off offset:36
	global_load_b32 v52, v[22:23], off offset:72
	global_load_b32 v53, v[24:25], off
	global_load_b32 v54, v[24:25], off offset:36
	global_load_b32 v55, v[24:25], off offset:72
	;; [unrolled: 3-line block ×4, first 2 shown]
	s_wait_alu 0xfffd
	v_add_co_ci_u32_e64 v41, null, 0, v31, vcc_lo
	s_clause 0x10
	global_load_b32 v62, v[20:21], off offset:4
	global_load_b32 v63, v[20:21], off offset:40
	;; [unrolled: 1-line block ×17, first 2 shown]
	s_clause 0x5
	global_load_b32 v37, v[38:39], off offset:16
	global_load_u8 v38, v[40:41], off
	global_load_u8 v39, v[40:41], off offset:2
	global_load_u8 v70, v[40:41], off offset:4
	;; [unrolled: 1-line block ×3, first 2 shown]
	global_load_b32 v30, v[30:31], off offset:80
	s_clause 0x2
	global_load_b32 v24, v[24:25], off offset:108
	global_load_b32 v25, v[26:27], off offset:108
	;; [unrolled: 1-line block ×3, first 2 shown]
	v_add_co_u32 v2, vcc_lo, 0x240, v2
	s_wait_alu 0xfffd
	v_add_co_ci_u32_e64 v3, null, 0, v3, vcc_lo
	v_add_nc_u32_e32 v4, 16, v4
	s_wait_loadcnt 0x8
	v_and_b32_e32 v27, 0x3030303, v37
	s_wait_loadcnt 0x7
	v_and_b32_e32 v28, 15, v38
	v_lshrrev_b32_e32 v29, 4, v38
	v_lshrrev_b32_e32 v31, 2, v37
	s_wait_loadcnt 0x6
	v_and_b32_e32 v38, 15, v39
	s_wait_loadcnt 0x3
	v_lshrrev_b32_e32 v73, 16, v30
	v_lshrrev_b32_e32 v39, 4, v39
	;; [unrolled: 1-line block ×4, first 2 shown]
	v_and_b32_e32 v72, 15, v40
	v_lshrrev_b32_e32 v40, 4, v40
	v_cvt_f32_f16_e32 v73, v73
	v_and_b32_e32 v71, 15, v70
	v_lshrrev_b32_e32 v70, 4, v70
	v_mul_lo_u32 v29, 0x1010101, v29
	v_and_b32_e32 v31, 0x3030303, v31
	v_mul_lo_u32 v39, 0x1010101, v39
	v_and_b32_e32 v41, 0x3030303, v41
	;; [unrolled: 2-line block ×3, first 2 shown]
	v_mul_lo_u32 v40, 0x1010101, v40
	v_dot4_i32_iu8 v74, v27, v46, 0 neg_lo:[1,1,0]
	v_dot4_i32_iu8 v75, v27, v62, 0 neg_lo:[1,1,0]
	;; [unrolled: 1-line block ×5, first 2 shown]
	v_mul_lo_u32 v74, v28, v74
	v_dot4_i32_iu8 v78, v31, v47, 0 neg_lo:[1,1,0]
	v_dot4_i32_iu8 v79, v41, v48, 0 neg_lo:[1,1,0]
	;; [unrolled: 1-line block ×3, first 2 shown]
	v_mul_lo_u32 v75, v28, v75
	v_dot4_i32_iu8 v81, v31, v63, 0 neg_lo:[1,1,0]
	v_dot4_i32_iu8 v82, v41, v64, 0 neg_lo:[1,1,0]
	v_mul_lo_u32 v76, v28, v76
	v_dot4_i32_iu8 v84, v31, v23, 0 neg_lo:[1,1,0]
	v_mul_lo_u32 v77, v28, v77
	v_dot4_i32_iu8 v87, v31, v66, 0 neg_lo:[1,1,0]
	v_mul_lo_u32 v27, v28, v27
	v_dot4_i32_iu8 v28, v31, v68, 0 neg_lo:[1,1,0]
	v_dot4_i32_iu8 v83, v37, v20, 0 neg_lo:[1,1,0]
	;; [unrolled: 1-line block ×28, first 2 shown]
	v_mul_lo_u32 v40, v38, v78
	v_mul_lo_u32 v67, v71, v79
	;; [unrolled: 1-line block ×15, first 2 shown]
	v_cvt_f32_i32_e32 v38, v74
	v_cvt_f32_i32_e32 v41, v41
	v_cvt_f32_i32_e32 v71, v75
	v_cvt_f32_i32_e32 v49, v49
	v_cvt_f32_i32_e32 v72, v76
	v_cvt_f32_i32_e32 v22, v22
	v_cvt_f32_i32_e32 v74, v77
	v_cvt_f32_i32_e32 v33, v33
	v_cvt_f32_i32_e32 v27, v27
	v_cvt_f32_i32_e32 v29, v29
	v_cvt_f32_i32_e32 v46, v46
	v_cvt_f32_i32_e32 v62, v62
	v_cvt_f32_i32_e32 v23, v23
	v_cvt_f32_i32_e32 v65, v65
	v_cvt_f32_i32_e32 v35, v35
	v_fma_mix_f32 v38, v42, v38, 0 op_sel_hi:[1,0,0]
	v_fma_mix_f32 v41, v42, v41, 0 op_sel_hi:[1,0,0]
	v_cvt_f32_i32_e32 v40, v40
	v_cvt_f32_i32_e32 v42, v67
	;; [unrolled: 1-line block ×3, first 2 shown]
	v_fma_mix_f32 v68, v50, v71, 0 op_sel_hi:[1,0,0]
	v_fma_mix_f32 v49, v50, v49, 0 op_sel_hi:[1,0,0]
	v_cvt_f32_i32_e32 v50, v69
	v_fma_mix_f32 v71, v53, v72, 0 op_sel_hi:[1,0,0]
	v_fma_mix_f32 v22, v53, v22, 0 op_sel_hi:[1,0,0]
	v_cvt_f32_i32_e32 v53, v79
	;; [unrolled: 3-line block ×4, first 2 shown]
	v_cvt_f32_i32_e32 v47, v47
	v_cvt_f32_i32_e32 v63, v63
	;; [unrolled: 1-line block ×9, first 2 shown]
	v_fma_mix_f32 v38, v43, v40, v38 op_sel_hi:[1,0,0]
	v_fma_mix_f32 v40, v43, v46, v41 op_sel_hi:[1,0,0]
	;; [unrolled: 1-line block ×10, first 2 shown]
	v_cvt_f32_i32_e32 v48, v48
	v_cvt_f32_i32_e32 v20, v20
	;; [unrolled: 1-line block ×9, first 2 shown]
	v_fma_mix_f32 v29, v44, v42, v38 op_sel_hi:[1,0,0]
	v_fma_mix_f32 v35, v44, v47, v40 op_sel_hi:[1,0,0]
	;; [unrolled: 1-line block ×13, first 2 shown]
	s_wait_loadcnt 0x2
	v_fma_mix_f32 v21, v24, v75, v41 op_sel_hi:[1,0,0]
	v_fma_mix_f32 v22, v24, v32, v22 op_sel_hi:[1,0,0]
	s_wait_loadcnt 0x1
	v_fma_mix_f32 v23, v25, v77, v23 op_sel_hi:[1,0,0]
	v_fma_mix_f32 v24, v25, v34, v33 op_sel_hi:[1,0,0]
	;; [unrolled: 3-line block ×3, first 2 shown]
	v_dual_mul_f32 v20, v20, v73 :: v_dual_add_nc_u32 v11, 2, v11
	v_dual_mul_f32 v22, v22, v73 :: v_dual_add_nc_u32 v15, 16, v15
	v_fma_mix_f32 v29, v45, v67, v29 op_sel_hi:[1,0,0]
	v_mul_f32_e32 v27, v31, v73
	v_mul_f32_e32 v24, v24, v73
	;; [unrolled: 1-line block ×3, first 2 shown]
	v_fma_mix_f32 v20, v35, v30, -v20 op_sel_hi:[0,1,0]
	v_fma_mix_f32 v21, v21, v30, -v22 op_sel_hi:[0,1,0]
	;; [unrolled: 1-line block ×5, first 2 shown]
	v_cmp_le_u32_e32 vcc_lo, s22, v11
	v_add_nc_u32_e32 v16, 16, v16
	v_dual_add_f32 v12, v12, v27 :: v_dual_add_nc_u32 v17, 16, v17
	v_add_f32_e32 v10, v10, v20
	v_dual_add_f32 v8, v8, v21 :: v_dual_add_f32 v5, v5, v22
	v_add_f32_e32 v6, v6, v23
	s_or_b32 s3, vcc_lo, s3
	s_wait_alu 0xfffe
	s_and_not1_b32 exec_lo, exec_lo, s3
	s_cbranch_execnz .LBB104_2
; %bb.3:
	s_or_b32 exec_lo, exec_lo, s3
.LBB104_4:
	s_delay_alu instid0(SALU_CYCLE_1)
	s_or_b32 exec_lo, exec_lo, s21
	s_mov_b32 s3, 0
	; wave barrier
	global_inv scope:SCOPE_SE
	s_mov_b32 s2, exec_lo
	v_cmpx_eq_u32_e32 0, v9
	s_cbranch_execz .LBB104_15
; %bb.5:
	v_mbcnt_lo_u32_b32 v4, -1, 0
	s_load_b64 s[0:1], s[0:1], 0x38
	s_mul_i32 s2, s10, s19
	s_mul_i32 s4, s18, s20
	s_wait_alu 0xfffe
	s_add_co_i32 s2, s2, ttmp9
	v_xor_b32_e32 v0, 16, v4
	v_xor_b32_e32 v1, 8, v4
	s_wait_alu 0xfffe
	s_add_co_i32 s2, s2, s4
	s_wait_alu 0xfffe
	s_lshl_b64 s[2:3], s[2:3], 2
	v_cmp_gt_i32_e32 vcc_lo, 32, v0
	s_wait_alu 0xfffd
	v_cndmask_b32_e32 v0, v4, v0, vcc_lo
	v_cmp_gt_i32_e32 vcc_lo, 32, v1
	s_wait_alu 0xfffd
	v_cndmask_b32_e32 v1, v4, v1, vcc_lo
	s_wait_kmcnt 0x0
	s_wait_alu 0xfffe
	s_add_nc_u64 s[0:1], s[0:1], s[2:3]
	s_delay_alu instid0(VALU_DEP_1)
	v_lshlrev_b32_e32 v1, 2, v1
	v_lshlrev_b32_e32 v0, 2, v0
	ds_bpermute_b32 v2, v0, v12
	s_wait_dscnt 0x0
	v_add_f32_e32 v3, v12, v2
	v_xor_b32_e32 v2, 4, v4
	v_xor_b32_e32 v12, 1, v4
	ds_bpermute_b32 v9, v1, v3
	v_cmp_gt_i32_e32 vcc_lo, 32, v2
	s_wait_dscnt 0x0
	s_wait_alu 0xfffd
	v_dual_cndmask_b32 v2, v4, v2 :: v_dual_add_f32 v9, v3, v9
	s_delay_alu instid0(VALU_DEP_1)
	v_lshlrev_b32_e32 v2, 2, v2
	v_xor_b32_e32 v3, 2, v4
	ds_bpermute_b32 v11, v2, v9
	v_cmp_gt_i32_e32 vcc_lo, 32, v3
	s_wait_alu 0xfffd
	v_cndmask_b32_e32 v3, v4, v3, vcc_lo
	v_cmp_gt_i32_e32 vcc_lo, 32, v12
	s_wait_alu 0xfffd
	v_cndmask_b32_e32 v4, v4, v12, vcc_lo
	v_cmp_eq_u32_e32 vcc_lo, 0, v7
	s_delay_alu instid0(VALU_DEP_2)
	v_lshlrev_b32_e32 v4, 2, v4
	v_lshlrev_b32_e32 v3, 2, v3
	s_wait_dscnt 0x0
	v_add_f32_e32 v9, v9, v11
	ds_bpermute_b32 v11, v3, v9
	s_wait_dscnt 0x0
	v_add_f32_e32 v9, v9, v11
	ds_bpermute_b32 v11, v4, v9
	s_and_saveexec_b32 s2, vcc_lo
	s_cbranch_execz .LBB104_7
; %bb.6:
	s_wait_dscnt 0x0
	v_add_f32_e32 v7, v9, v11
	v_mov_b32_e32 v9, 0
	global_store_b32 v9, v7, s[0:1]
.LBB104_7:
	s_wait_alu 0xfffe
	s_or_b32 exec_lo, exec_lo, s2
	ds_bpermute_b32 v7, v0, v10
	s_wait_dscnt 0x0
	v_add_f32_e32 v7, v10, v7
	ds_bpermute_b32 v9, v1, v7
	s_wait_dscnt 0x0
	v_add_f32_e32 v7, v7, v9
	;; [unrolled: 3-line block ×4, first 2 shown]
	ds_bpermute_b32 v9, v4, v7
	s_and_saveexec_b32 s2, vcc_lo
	s_cbranch_execz .LBB104_9
; %bb.8:
	s_mov_b32 s7, 0
	s_wait_dscnt 0x0
	v_add_f32_e32 v7, v7, v9
	v_mov_b32_e32 v9, 0
	s_lshl_b64 s[4:5], s[6:7], 2
	s_wait_alu 0xfffe
	s_add_nc_u64 s[4:5], s[0:1], s[4:5]
	global_store_b32 v9, v7, s[4:5]
.LBB104_9:
	s_wait_alu 0xfffe
	s_or_b32 exec_lo, exec_lo, s2
	ds_bpermute_b32 v7, v0, v8
	s_wait_dscnt 0x0
	v_add_f32_e32 v7, v8, v7
	ds_bpermute_b32 v8, v1, v7
	s_wait_dscnt 0x0
	v_add_f32_e32 v7, v7, v8
	;; [unrolled: 3-line block ×4, first 2 shown]
	ds_bpermute_b32 v8, v4, v7
	s_and_saveexec_b32 s2, vcc_lo
	s_cbranch_execz .LBB104_11
; %bb.10:
	s_lshl_b32 s4, s6, 1
	s_mov_b32 s5, 0
	s_wait_dscnt 0x0
	v_dual_add_f32 v7, v7, v8 :: v_dual_mov_b32 v8, 0
	s_wait_alu 0xfffe
	s_lshl_b64 s[4:5], s[4:5], 2
	s_wait_alu 0xfffe
	s_add_nc_u64 s[4:5], s[0:1], s[4:5]
	global_store_b32 v8, v7, s[4:5]
.LBB104_11:
	s_wait_alu 0xfffe
	s_or_b32 exec_lo, exec_lo, s2
	ds_bpermute_b32 v7, v0, v5
	s_wait_dscnt 0x0
	v_add_f32_e32 v5, v5, v7
	ds_bpermute_b32 v7, v1, v5
	s_wait_dscnt 0x0
	v_add_f32_e32 v5, v5, v7
	ds_bpermute_b32 v7, v2, v5
	s_wait_dscnt 0x0
	v_add_f32_e32 v5, v5, v7
	ds_bpermute_b32 v7, v3, v5
	s_wait_dscnt 0x0
	v_add_f32_e32 v5, v5, v7
	ds_bpermute_b32 v7, v4, v5
	s_and_saveexec_b32 s2, vcc_lo
	s_cbranch_execz .LBB104_13
; %bb.12:
	s_mul_i32 s4, s6, 3
	s_mov_b32 s5, 0
	s_wait_dscnt 0x0
	v_add_f32_e32 v5, v5, v7
	v_mov_b32_e32 v7, 0
	s_wait_alu 0xfffe
	s_lshl_b64 s[4:5], s[4:5], 2
	s_wait_alu 0xfffe
	s_add_nc_u64 s[4:5], s[0:1], s[4:5]
	global_store_b32 v7, v5, s[4:5]
.LBB104_13:
	s_wait_alu 0xfffe
	s_or_b32 exec_lo, exec_lo, s2
	ds_bpermute_b32 v0, v0, v6
	s_wait_dscnt 0x0
	v_add_f32_e32 v0, v6, v0
	ds_bpermute_b32 v1, v1, v0
	s_wait_dscnt 0x0
	v_add_f32_e32 v0, v0, v1
	;; [unrolled: 3-line block ×4, first 2 shown]
	ds_bpermute_b32 v1, v4, v0
	s_and_b32 exec_lo, exec_lo, vcc_lo
	s_cbranch_execz .LBB104_15
; %bb.14:
	s_lshl_b32 s2, s6, 2
	s_mov_b32 s3, 0
	s_wait_dscnt 0x0
	v_dual_add_f32 v0, v0, v1 :: v_dual_mov_b32 v1, 0
	s_wait_alu 0xfffe
	s_lshl_b64 s[2:3], s[2:3], 2
	s_wait_alu 0xfffe
	s_add_nc_u64 s[0:1], s[0:1], s[2:3]
	global_store_b32 v1, v0, s[0:1]
.LBB104_15:
	s_endpgm
	.section	.rodata,"a",@progbits
	.p2align	6, 0x0
	.amdhsa_kernel _ZL13mul_mat_vec_qIL9ggml_type10ELi5ELb0ELb0EEvPKvS2_PKi31ggml_cuda_mm_fusion_args_devicePfj15HIP_vector_typeIjLj3EEjjjS8_jjjS8_jjjj
		.amdhsa_group_segment_fixed_size 0
		.amdhsa_private_segment_fixed_size 0
		.amdhsa_kernarg_size 144
		.amdhsa_user_sgpr_count 2
		.amdhsa_user_sgpr_dispatch_ptr 0
		.amdhsa_user_sgpr_queue_ptr 0
		.amdhsa_user_sgpr_kernarg_segment_ptr 1
		.amdhsa_user_sgpr_dispatch_id 0
		.amdhsa_user_sgpr_private_segment_size 0
		.amdhsa_wavefront_size32 1
		.amdhsa_uses_dynamic_stack 0
		.amdhsa_enable_private_segment 0
		.amdhsa_system_sgpr_workgroup_id_x 1
		.amdhsa_system_sgpr_workgroup_id_y 1
		.amdhsa_system_sgpr_workgroup_id_z 1
		.amdhsa_system_sgpr_workgroup_info 0
		.amdhsa_system_vgpr_workitem_id 1
		.amdhsa_next_free_vgpr 90
		.amdhsa_next_free_sgpr 28
		.amdhsa_reserve_vcc 1
		.amdhsa_float_round_mode_32 0
		.amdhsa_float_round_mode_16_64 0
		.amdhsa_float_denorm_mode_32 3
		.amdhsa_float_denorm_mode_16_64 3
		.amdhsa_fp16_overflow 0
		.amdhsa_workgroup_processor_mode 1
		.amdhsa_memory_ordered 1
		.amdhsa_forward_progress 1
		.amdhsa_inst_pref_size 26
		.amdhsa_round_robin_scheduling 0
		.amdhsa_exception_fp_ieee_invalid_op 0
		.amdhsa_exception_fp_denorm_src 0
		.amdhsa_exception_fp_ieee_div_zero 0
		.amdhsa_exception_fp_ieee_overflow 0
		.amdhsa_exception_fp_ieee_underflow 0
		.amdhsa_exception_fp_ieee_inexact 0
		.amdhsa_exception_int_div_zero 0
	.end_amdhsa_kernel
	.section	.text._ZL13mul_mat_vec_qIL9ggml_type10ELi5ELb0ELb0EEvPKvS2_PKi31ggml_cuda_mm_fusion_args_devicePfj15HIP_vector_typeIjLj3EEjjjS8_jjjS8_jjjj,"axG",@progbits,_ZL13mul_mat_vec_qIL9ggml_type10ELi5ELb0ELb0EEvPKvS2_PKi31ggml_cuda_mm_fusion_args_devicePfj15HIP_vector_typeIjLj3EEjjjS8_jjjS8_jjjj,comdat
.Lfunc_end104:
	.size	_ZL13mul_mat_vec_qIL9ggml_type10ELi5ELb0ELb0EEvPKvS2_PKi31ggml_cuda_mm_fusion_args_devicePfj15HIP_vector_typeIjLj3EEjjjS8_jjjS8_jjjj, .Lfunc_end104-_ZL13mul_mat_vec_qIL9ggml_type10ELi5ELb0ELb0EEvPKvS2_PKi31ggml_cuda_mm_fusion_args_devicePfj15HIP_vector_typeIjLj3EEjjjS8_jjjS8_jjjj
                                        ; -- End function
	.set _ZL13mul_mat_vec_qIL9ggml_type10ELi5ELb0ELb0EEvPKvS2_PKi31ggml_cuda_mm_fusion_args_devicePfj15HIP_vector_typeIjLj3EEjjjS8_jjjS8_jjjj.num_vgpr, 90
	.set _ZL13mul_mat_vec_qIL9ggml_type10ELi5ELb0ELb0EEvPKvS2_PKi31ggml_cuda_mm_fusion_args_devicePfj15HIP_vector_typeIjLj3EEjjjS8_jjjS8_jjjj.num_agpr, 0
	.set _ZL13mul_mat_vec_qIL9ggml_type10ELi5ELb0ELb0EEvPKvS2_PKi31ggml_cuda_mm_fusion_args_devicePfj15HIP_vector_typeIjLj3EEjjjS8_jjjS8_jjjj.numbered_sgpr, 28
	.set _ZL13mul_mat_vec_qIL9ggml_type10ELi5ELb0ELb0EEvPKvS2_PKi31ggml_cuda_mm_fusion_args_devicePfj15HIP_vector_typeIjLj3EEjjjS8_jjjS8_jjjj.num_named_barrier, 0
	.set _ZL13mul_mat_vec_qIL9ggml_type10ELi5ELb0ELb0EEvPKvS2_PKi31ggml_cuda_mm_fusion_args_devicePfj15HIP_vector_typeIjLj3EEjjjS8_jjjS8_jjjj.private_seg_size, 0
	.set _ZL13mul_mat_vec_qIL9ggml_type10ELi5ELb0ELb0EEvPKvS2_PKi31ggml_cuda_mm_fusion_args_devicePfj15HIP_vector_typeIjLj3EEjjjS8_jjjS8_jjjj.uses_vcc, 1
	.set _ZL13mul_mat_vec_qIL9ggml_type10ELi5ELb0ELb0EEvPKvS2_PKi31ggml_cuda_mm_fusion_args_devicePfj15HIP_vector_typeIjLj3EEjjjS8_jjjS8_jjjj.uses_flat_scratch, 0
	.set _ZL13mul_mat_vec_qIL9ggml_type10ELi5ELb0ELb0EEvPKvS2_PKi31ggml_cuda_mm_fusion_args_devicePfj15HIP_vector_typeIjLj3EEjjjS8_jjjS8_jjjj.has_dyn_sized_stack, 0
	.set _ZL13mul_mat_vec_qIL9ggml_type10ELi5ELb0ELb0EEvPKvS2_PKi31ggml_cuda_mm_fusion_args_devicePfj15HIP_vector_typeIjLj3EEjjjS8_jjjS8_jjjj.has_recursion, 0
	.set _ZL13mul_mat_vec_qIL9ggml_type10ELi5ELb0ELb0EEvPKvS2_PKi31ggml_cuda_mm_fusion_args_devicePfj15HIP_vector_typeIjLj3EEjjjS8_jjjS8_jjjj.has_indirect_call, 0
	.section	.AMDGPU.csdata,"",@progbits
; Kernel info:
; codeLenInByte = 3292
; TotalNumSgprs: 30
; NumVgprs: 90
; ScratchSize: 0
; MemoryBound: 0
; FloatMode: 240
; IeeeMode: 1
; LDSByteSize: 0 bytes/workgroup (compile time only)
; SGPRBlocks: 0
; VGPRBlocks: 11
; NumSGPRsForWavesPerEU: 30
; NumVGPRsForWavesPerEU: 90
; Occupancy: 16
; WaveLimiterHint : 0
; COMPUTE_PGM_RSRC2:SCRATCH_EN: 0
; COMPUTE_PGM_RSRC2:USER_SGPR: 2
; COMPUTE_PGM_RSRC2:TRAP_HANDLER: 0
; COMPUTE_PGM_RSRC2:TGID_X_EN: 1
; COMPUTE_PGM_RSRC2:TGID_Y_EN: 1
; COMPUTE_PGM_RSRC2:TGID_Z_EN: 1
; COMPUTE_PGM_RSRC2:TIDIG_COMP_CNT: 1
	.section	.text._ZL13mul_mat_vec_qIL9ggml_type10ELi6ELb0ELb0EEvPKvS2_PKi31ggml_cuda_mm_fusion_args_devicePfj15HIP_vector_typeIjLj3EEjjjS8_jjjS8_jjjj,"axG",@progbits,_ZL13mul_mat_vec_qIL9ggml_type10ELi6ELb0ELb0EEvPKvS2_PKi31ggml_cuda_mm_fusion_args_devicePfj15HIP_vector_typeIjLj3EEjjjS8_jjjS8_jjjj,comdat
	.globl	_ZL13mul_mat_vec_qIL9ggml_type10ELi6ELb0ELb0EEvPKvS2_PKi31ggml_cuda_mm_fusion_args_devicePfj15HIP_vector_typeIjLj3EEjjjS8_jjjS8_jjjj ; -- Begin function _ZL13mul_mat_vec_qIL9ggml_type10ELi6ELb0ELb0EEvPKvS2_PKi31ggml_cuda_mm_fusion_args_devicePfj15HIP_vector_typeIjLj3EEjjjS8_jjjS8_jjjj
	.p2align	8
	.type	_ZL13mul_mat_vec_qIL9ggml_type10ELi6ELb0ELb0EEvPKvS2_PKi31ggml_cuda_mm_fusion_args_devicePfj15HIP_vector_typeIjLj3EEjjjS8_jjjS8_jjjj,@function
_ZL13mul_mat_vec_qIL9ggml_type10ELi6ELb0ELb0EEvPKvS2_PKi31ggml_cuda_mm_fusion_args_devicePfj15HIP_vector_typeIjLj3EEjjjS8_jjjS8_jjjj: ; @_ZL13mul_mat_vec_qIL9ggml_type10ELi6ELb0ELb0EEvPKvS2_PKi31ggml_cuda_mm_fusion_args_devicePfj15HIP_vector_typeIjLj3EEjjjS8_jjjS8_jjjj
; %bb.0:
	s_clause 0x5
	s_load_b96 s[16:18], s[0:1], 0x80
	s_load_b32 s2, s[0:1], 0x40
	s_load_b128 s[4:7], s[0:1], 0x50
	s_load_b32 s23, s[0:1], 0x60
	s_load_b128 s[8:11], s[0:1], 0x68
	s_load_b32 s24, s[0:1], 0x78
	v_bfe_u32 v11, v0, 10, 10
	v_dual_mov_b32 v7, 0 :: v_dual_and_b32 v8, 0x3ff, v0
	v_dual_mov_b32 v6, 0 :: v_dual_mov_b32 v9, 0
	v_mov_b32_e32 v10, 0
	s_delay_alu instid0(VALU_DEP_3)
	v_lshl_or_b32 v0, v11, 5, v8
	v_mov_b32_e32 v12, 0
	v_mov_b32_e32 v14, 0
	s_and_b32 s19, ttmp7, 0xffff
	s_lshr_b32 s20, ttmp7, 16
	v_lshrrev_b32_e32 v13, 4, v0
	s_mov_b32 s21, exec_lo
	s_wait_kmcnt 0x0
	s_lshr_b32 s22, s2, 8
	s_delay_alu instid0(VALU_DEP_1) | instid1(SALU_CYCLE_1)
	v_cmpx_gt_u32_e64 s22, v13
	s_cbranch_execz .LBB105_4
; %bb.1:
	s_load_b128 s[12:15], s[0:1], 0x0
	v_lshl_add_u32 v0, v11, 5, v8
	v_bfe_u32 v3, v8, 3, 1
	v_lshrrev_b32_e32 v2, 1, v8
	s_mul_hi_u32 s7, s7, s19
	v_bfe_u32 v6, v8, 2, 1
	v_lshrrev_b32_e32 v4, 4, v0
	v_mul_hi_u32_u24_e32 v1, 0x90, v3
	v_mul_u32_u24_e32 v0, 0x90, v3
	s_mul_hi_u32 s11, s11, s20
	s_mul_i32 s2, s17, s20
	s_mov_b32 s3, 0
	s_add_co_i32 s7, s19, s7
	s_add_co_i32 s11, s20, s11
	s_mul_u64 s[26:27], s[2:3], 36
	s_mul_i32 s2, s9, s19
	s_lshr_b32 s7, s7, s23
	v_and_b32_e32 v5, 4, v2
	v_mad_co_u64_u32 v[2:3], null, 0x120, v4, v[0:1]
	v_dual_mov_b32 v7, 0 :: v_dual_and_b32 v10, 7, v8
	v_and_or_b32 v15, v8, 8, v6
	v_lshlrev_b32_e32 v6, 3, v13
	s_lshr_b32 s11, s11, s24
	s_mul_u64 s[24:25], s[2:3], 36
	s_mul_i32 s2, s7, s8
	s_wait_kmcnt 0x0
	s_add_nc_u64 s[8:9], s[14:15], s[26:27]
	v_and_b32_e32 v9, 15, v8
	s_add_nc_u64 s[8:9], s[8:9], s[24:25]
	v_lshlrev_b32_e32 v16, 2, v10
	v_dual_mov_b32 v14, 0 :: v_dual_lshlrev_b32 v21, 2, v10
	v_mov_b32_e32 v10, 0
	v_mad_co_u64_u32 v[0:1], null, v5, 36, s[8:9]
	v_mad_co_u64_u32 v[4:5], null, s5, 3, v[6:7]
	v_dual_mov_b32 v12, 0 :: v_dual_add_nc_u32 v17, s5, v6
	v_lshl_add_u32 v18, s5, 1, v6
	v_lshl_add_u32 v19, s5, 2, v6
	v_mad_co_u64_u32 v[5:6], null, s5, 5, v[6:7]
	v_add_co_u32 v2, vcc_lo, s8, v2
	s_mul_i32 s4, s4, ttmp9
	v_add_co_ci_u32_e64 v3, null, s9, v3, vcc_lo
	v_mov_b32_e32 v6, 0
	v_dual_mov_b32 v9, 0 :: v_dual_lshlrev_b32 v20, 2, v9
	s_mul_i32 s7, s11, s16
	s_wait_alu 0xfffe
	s_add_co_i32 s2, s2, s4
	s_delay_alu instid0(SALU_CYCLE_1)
	s_add_co_i32 s2, s7, s2
.LBB105_2:                              ; =>This Inner Loop Header: Depth=1
	v_mad_co_u64_u32 v[24:25], null, v17, 36, v[0:1]
	v_add_co_u32 v22, vcc_lo, v2, v16
	v_mad_co_u64_u32 v[26:27], null, v18, 36, v[0:1]
	s_wait_alu 0xfffd
	v_add_co_ci_u32_e64 v23, null, 0, v3, vcc_lo
	v_mad_co_u64_u32 v[28:29], null, v4, 36, v[0:1]
	v_add_nc_u32_e32 v34, s2, v13
	v_mad_co_u64_u32 v[30:31], null, v19, 36, v[0:1]
	v_mad_co_u64_u32 v[32:33], null, v5, 36, v[0:1]
	s_clause 0x3
	global_load_b32 v48, v[22:23], off offset:4
	global_load_b32 v49, v[22:23], off offset:40
	;; [unrolled: 1-line block ×4, first 2 shown]
	v_add_co_u32 v22, vcc_lo, v24, v21
	v_mad_co_i64_i32 v[34:35], null, 0x54, v34, s[12:13]
	s_wait_alu 0xfffd
	v_add_co_ci_u32_e64 v23, null, 0, v25, vcc_lo
	v_add_co_u32 v36, vcc_lo, v26, v21
	s_wait_alu 0xfffd
	v_add_co_ci_u32_e64 v37, null, 0, v27, vcc_lo
	v_add_co_u32 v38, vcc_lo, v28, v21
	s_wait_alu 0xfffd
	v_add_co_ci_u32_e64 v39, null, 0, v29, vcc_lo
	v_add_co_u32 v40, vcc_lo, v30, v21
	s_wait_alu 0xfffd
	v_add_co_ci_u32_e64 v41, null, 0, v31, vcc_lo
	v_add_co_u32 v42, vcc_lo, v32, v21
	s_wait_alu 0xfffd
	v_add_co_ci_u32_e64 v43, null, 0, v33, vcc_lo
	v_add_co_u32 v44, vcc_lo, v34, v20
	s_wait_alu 0xfffd
	v_add_co_ci_u32_e64 v45, null, 0, v35, vcc_lo
	v_add_co_u32 v46, vcc_lo, v34, v15
	s_clause 0xe
	global_load_b32 v52, v[24:25], off
	global_load_b32 v53, v[24:25], off offset:36
	global_load_b32 v54, v[24:25], off offset:72
	global_load_b32 v55, v[26:27], off
	global_load_b32 v56, v[26:27], off offset:36
	global_load_b32 v57, v[26:27], off offset:72
	;; [unrolled: 3-line block ×5, first 2 shown]
	s_wait_alu 0xfffd
	v_add_co_ci_u32_e64 v47, null, 0, v35, vcc_lo
	s_clause 0x18
	global_load_b32 v67, v[22:23], off offset:4
	global_load_b32 v68, v[22:23], off offset:40
	global_load_b32 v69, v[22:23], off offset:76
	global_load_b32 v22, v[22:23], off offset:112
	global_load_b32 v23, v[24:25], off offset:108
	global_load_b32 v24, v[36:37], off offset:4
	global_load_b32 v25, v[36:37], off offset:40
	global_load_b32 v70, v[36:37], off offset:76
	global_load_b32 v36, v[36:37], off offset:112
	global_load_b32 v26, v[26:27], off offset:108
	global_load_b32 v27, v[38:39], off offset:4
	global_load_b32 v37, v[38:39], off offset:40
	global_load_b32 v71, v[38:39], off offset:76
	global_load_b32 v38, v[38:39], off offset:112
	global_load_b32 v28, v[28:29], off offset:108
	global_load_b32 v29, v[40:41], off offset:4
	global_load_b32 v39, v[40:41], off offset:40
	global_load_b32 v72, v[40:41], off offset:76
	global_load_b32 v40, v[40:41], off offset:112
	global_load_b32 v30, v[30:31], off offset:108
	global_load_b32 v31, v[42:43], off offset:4
	global_load_b32 v41, v[42:43], off offset:40
	global_load_b32 v73, v[42:43], off offset:76
	global_load_b32 v42, v[42:43], off offset:112
	global_load_b32 v32, v[32:33], off offset:108
	s_clause 0x5
	global_load_b32 v33, v[44:45], off offset:16
	global_load_u8 v43, v[46:47], off
	global_load_u8 v44, v[46:47], off offset:2
	global_load_u8 v45, v[46:47], off offset:4
	;; [unrolled: 1-line block ×3, first 2 shown]
	global_load_b32 v34, v[34:35], off offset:80
	v_add_nc_u32_e32 v18, 16, v18
	v_add_nc_u32_e32 v4, 16, v4
	s_wait_loadcnt 0x5
	v_and_b32_e32 v35, 0x3030303, v33
	s_wait_loadcnt 0x4
	v_and_b32_e32 v47, 15, v43
	v_lshrrev_b32_e32 v43, 4, v43
	s_wait_loadcnt 0x3
	v_lshrrev_b32_e32 v75, 4, v44
	s_wait_loadcnt 0x2
	v_lshrrev_b32_e32 v77, 4, v45
	v_lshrrev_b32_e32 v74, 2, v33
	;; [unrolled: 1-line block ×4, first 2 shown]
	s_wait_loadcnt 0x1
	v_lshrrev_b32_e32 v78, 4, v46
	v_mul_lo_u32 v43, 0x1010101, v43
	v_mul_lo_u32 v75, 0x1010101, v75
	;; [unrolled: 1-line block ×3, first 2 shown]
	v_and_b32_e32 v74, 0x3030303, v74
	v_and_b32_e32 v76, 0x3030303, v76
	;; [unrolled: 1-line block ×3, first 2 shown]
	v_dot4_i32_iu8 v79, v35, v48, 0 neg_lo:[1,1,0]
	v_dot4_i32_iu8 v80, v35, v67, 0 neg_lo:[1,1,0]
	;; [unrolled: 1-line block ×6, first 2 shown]
	v_mul_lo_u32 v78, 0x1010101, v78
	v_mul_lo_u32 v79, v47, v79
	v_dot4_i32_iu8 v84, v74, v49, 0 neg_lo:[1,1,0]
	v_dot4_i32_iu8 v85, v76, v50, 0 neg_lo:[1,1,0]
	;; [unrolled: 1-line block ×3, first 2 shown]
	v_mul_lo_u32 v80, v47, v80
	v_dot4_i32_iu8 v87, v74, v68, 0 neg_lo:[1,1,0]
	v_dot4_i32_iu8 v88, v76, v69, 0 neg_lo:[1,1,0]
	v_mul_lo_u32 v81, v47, v81
	v_dot4_i32_iu8 v89, v74, v25, 0 neg_lo:[1,1,0]
	v_dot4_i32_iu8 v90, v76, v70, 0 neg_lo:[1,1,0]
	v_mul_lo_u32 v82, v47, v82
	v_dot4_i32_iu8 v91, v74, v37, 0 neg_lo:[1,1,0]
	v_mul_lo_u32 v83, v47, v83
	v_mul_lo_u32 v35, v47, v35
	v_dot4_i32_iu8 v47, v76, v71, 0 neg_lo:[1,1,0]
	v_dot4_i32_iu8 v48, v43, v48, 0 neg_lo:[1,1,0]
	;; [unrolled: 1-line block ×28, first 2 shown]
	v_and_b32_e32 v44, 15, v44
	v_and_b32_e32 v45, 15, v45
	v_and_b32_e32 v46, 15, v46
	v_dot4_i32_iu8 v51, v78, v51, 0 neg_lo:[1,1,0]
	v_dot4_i32_iu8 v22, v78, v22, 0 neg_lo:[1,1,0]
	;; [unrolled: 1-line block ×6, first 2 shown]
	v_mul_lo_u32 v78, v44, v84
	v_mul_lo_u32 v84, v44, v87
	;; [unrolled: 1-line block ×18, first 2 shown]
	s_clause 0x3
	global_load_b32 v46, v[2:3], off
	global_load_b32 v92, v[2:3], off offset:36
	global_load_b32 v93, v[2:3], off offset:72
	;; [unrolled: 1-line block ×3, first 2 shown]
	v_cvt_f32_i32_e32 v79, v79
	v_cvt_f32_i32_e32 v48, v48
	;; [unrolled: 1-line block ×8, first 2 shown]
	v_fma_mix_f32 v24, v55, v24, 0 op_sel_hi:[1,0,0]
	v_fma_mix_f32 v27, v58, v27, 0 op_sel_hi:[1,0,0]
	v_cvt_f32_i32_e32 v68, v68
	v_cvt_f32_i32_e32 v25, v25
	;; [unrolled: 1-line block ×6, first 2 shown]
	v_fma_mix_f32 v29, v61, v29, 0 op_sel_hi:[1,0,0]
	v_cvt_f32_i32_e32 v43, v43
	v_fma_mix_f32 v31, v64, v31, 0 op_sel_hi:[1,0,0]
	v_cvt_f32_i32_e32 v50, v50
	v_cvt_f32_i32_e32 v69, v69
	;; [unrolled: 1-line block ×8, first 2 shown]
	v_fma_mix_f32 v35, v64, v35, 0 op_sel_hi:[1,0,0]
	v_cvt_f32_i32_e32 v44, v44
	v_fma_mix_f32 v24, v56, v25, v24 op_sel_hi:[1,0,0]
	v_fma_mix_f32 v27, v59, v37, v27 op_sel_hi:[1,0,0]
	;; [unrolled: 1-line block ×4, first 2 shown]
	v_cvt_f32_i32_e32 v51, v51
	v_cvt_f32_i32_e32 v22, v22
	v_cvt_f32_i32_e32 v36, v36
	v_cvt_f32_i32_e32 v38, v38
	v_cvt_f32_i32_e32 v40, v40
	v_cvt_f32_i32_e32 v42, v42
	v_cvt_f32_i32_e32 v74, v74
	v_cvt_f32_i32_e32 v77, v77
	v_cvt_f32_i32_e32 v45, v45
	v_fma_mix_f32 v35, v65, v44, v35 op_sel_hi:[1,0,0]
	v_fma_mix_f32 v24, v57, v70, v24 op_sel_hi:[1,0,0]
	v_fma_mix_f32 v27, v60, v71, v27 op_sel_hi:[1,0,0]
	v_fma_mix_f32 v29, v63, v72, v29 op_sel_hi:[1,0,0]
	v_fma_mix_f32 v31, v66, v73, v31 op_sel_hi:[1,0,0]
	v_cvt_f32_i32_e32 v76, v76
	v_cvt_f32_i32_e32 v33, v33
	v_fma_mix_f32 v35, v66, v45, v35 op_sel_hi:[1,0,0]
	v_fma_mix_f32 v24, v26, v36, v24 op_sel_hi:[1,0,0]
	v_add_co_u32 v2, vcc_lo, 0x240, v2
	s_wait_alu 0xfffd
	v_add_co_ci_u32_e64 v3, null, 0, v3, vcc_lo
	s_wait_loadcnt 0x3
	v_fma_mix_f32 v79, v46, v79, 0 op_sel_hi:[1,0,0]
	v_fma_mix_f32 v46, v46, v48, 0 op_sel_hi:[1,0,0]
	v_cvt_f32_i32_e32 v48, v80
	v_cvt_f32_i32_e32 v80, v83
	;; [unrolled: 1-line block ×4, first 2 shown]
	s_wait_loadcnt 0x2
	v_fma_mix_f32 v46, v92, v49, v46 op_sel_hi:[1,0,0]
	v_fma_mix_f32 v48, v52, v48, 0 op_sel_hi:[1,0,0]
	;; [unrolled: 1-line block ×3, first 2 shown]
	v_cvt_f32_i32_e32 v67, v81
	v_cvt_f32_i32_e32 v81, v84
	v_fma_mix_f32 v80, v61, v80, 0 op_sel_hi:[1,0,0]
	v_cvt_f32_i32_e32 v84, v88
	v_cvt_f32_i32_e32 v61, v75
	v_fma_mix_f32 v67, v55, v67, 0 op_sel_hi:[1,0,0]
	v_cvt_f32_i32_e32 v55, v82
	v_cvt_f32_i32_e32 v82, v85
	;; [unrolled: 1-line block ×4, first 2 shown]
	v_fma_mix_f32 v48, v53, v81, v48 op_sel_hi:[1,0,0]
	v_fma_mix_f32 v55, v58, v55, 0 op_sel_hi:[1,0,0]
	;; [unrolled: 1-line block ×5, first 2 shown]
	v_lshrrev_b32_e32 v58, 16, v34
	v_fma_mix_f32 v25, v59, v86, v55 op_sel_hi:[1,0,0]
	v_cvt_f32_i32_e32 v75, v91
	v_fma_mix_f32 v64, v92, v78, v79 op_sel_hi:[1,0,0]
	s_wait_loadcnt 0x1
	v_fma_mix_f32 v41, v93, v50, v46 op_sel_hi:[1,0,0]
	v_fma_mix_f32 v43, v54, v82, v48 op_sel_hi:[1,0,0]
	;; [unrolled: 1-line block ×6, first 2 shown]
	v_cvt_f32_f16_e32 v58, v58
	v_fma_mix_f32 v39, v93, v74, v64 op_sel_hi:[1,0,0]
	s_wait_loadcnt 0x0
	v_fma_mix_f32 v41, v94, v51, v41 op_sel_hi:[1,0,0]
	v_fma_mix_f32 v43, v23, v77, v43 op_sel_hi:[1,0,0]
	;; [unrolled: 1-line block ×9, first 2 shown]
	v_add_nc_u32_e32 v13, 2, v13
	v_fma_mix_f32 v39, v94, v76, v39 op_sel_hi:[1,0,0]
	v_fma_mix_f32 v29, v32, v33, v35 op_sel_hi:[1,0,0]
	v_mul_f32_e32 v31, v41, v58
	v_mul_f32_e32 v22, v22, v58
	;; [unrolled: 1-line block ×6, first 2 shown]
	v_fma_mix_f32 v31, v39, v34, -v31 op_sel_hi:[0,1,0]
	v_fma_mix_f32 v22, v43, v34, -v22 op_sel_hi:[0,1,0]
	;; [unrolled: 1-line block ×6, first 2 shown]
	v_cmp_le_u32_e32 vcc_lo, s22, v13
	v_dual_add_f32 v14, v14, v31 :: v_dual_add_nc_u32 v17, 16, v17
	v_dual_add_f32 v12, v12, v22 :: v_dual_add_nc_u32 v19, 16, v19
	;; [unrolled: 1-line block ×3, first 2 shown]
	v_dual_add_f32 v9, v9, v24 :: v_dual_add_f32 v6, v6, v25
	v_add_f32_e32 v7, v7, v26
	s_or_b32 s3, vcc_lo, s3
	s_wait_alu 0xfffe
	s_and_not1_b32 exec_lo, exec_lo, s3
	s_cbranch_execnz .LBB105_2
; %bb.3:
	s_or_b32 exec_lo, exec_lo, s3
.LBB105_4:
	s_delay_alu instid0(SALU_CYCLE_1)
	s_or_b32 exec_lo, exec_lo, s21
	s_mov_b32 s3, 0
	; wave barrier
	global_inv scope:SCOPE_SE
	s_mov_b32 s2, exec_lo
	v_cmpx_eq_u32_e32 0, v11
	s_cbranch_execz .LBB105_17
; %bb.5:
	v_mbcnt_lo_u32_b32 v4, -1, 0
	s_load_b64 s[0:1], s[0:1], 0x38
	s_mul_i32 s2, s10, s19
	s_mul_i32 s4, s18, s20
	s_wait_alu 0xfffe
	s_add_co_i32 s2, s2, ttmp9
	v_xor_b32_e32 v0, 16, v4
	v_xor_b32_e32 v1, 8, v4
	;; [unrolled: 1-line block ×3, first 2 shown]
	s_wait_alu 0xfffe
	s_add_co_i32 s2, s2, s4
	s_wait_alu 0xfffe
	s_lshl_b64 s[2:3], s[2:3], 2
	v_cmp_gt_i32_e32 vcc_lo, 32, v0
	s_wait_alu 0xfffd
	v_cndmask_b32_e32 v0, v4, v0, vcc_lo
	v_cmp_gt_i32_e32 vcc_lo, 32, v1
	s_wait_kmcnt 0x0
	s_wait_alu 0xfffe
	s_add_nc_u64 s[0:1], s[0:1], s[2:3]
	s_wait_alu 0xfffd
	v_cndmask_b32_e32 v1, v4, v1, vcc_lo
	s_delay_alu instid0(VALU_DEP_1)
	v_lshlrev_b32_e32 v1, 2, v1
	v_lshlrev_b32_e32 v0, 2, v0
	ds_bpermute_b32 v2, v0, v14
	s_wait_dscnt 0x0
	v_add_f32_e32 v3, v14, v2
	v_xor_b32_e32 v2, 4, v4
	ds_bpermute_b32 v5, v1, v3
	v_cmp_gt_i32_e32 vcc_lo, 32, v2
	s_wait_dscnt 0x0
	s_wait_alu 0xfffd
	v_dual_cndmask_b32 v2, v4, v2 :: v_dual_add_f32 v5, v3, v5
	s_delay_alu instid0(VALU_DEP_1)
	v_lshlrev_b32_e32 v2, 2, v2
	v_xor_b32_e32 v3, 2, v4
	ds_bpermute_b32 v11, v2, v5
	v_cmp_gt_i32_e32 vcc_lo, 32, v3
	s_wait_alu 0xfffd
	v_cndmask_b32_e32 v3, v4, v3, vcc_lo
	v_cmp_gt_i32_e32 vcc_lo, 32, v13
	s_wait_alu 0xfffd
	v_cndmask_b32_e32 v4, v4, v13, vcc_lo
	v_cmp_eq_u32_e32 vcc_lo, 0, v8
	s_delay_alu instid0(VALU_DEP_2)
	v_lshlrev_b32_e32 v4, 2, v4
	v_lshlrev_b32_e32 v3, 2, v3
	s_wait_dscnt 0x0
	v_add_f32_e32 v5, v5, v11
	ds_bpermute_b32 v11, v3, v5
	s_wait_dscnt 0x0
	v_add_f32_e32 v5, v5, v11
	ds_bpermute_b32 v11, v4, v5
	s_and_saveexec_b32 s2, vcc_lo
	s_cbranch_execz .LBB105_7
; %bb.6:
	s_wait_dscnt 0x0
	v_dual_add_f32 v5, v5, v11 :: v_dual_mov_b32 v8, 0
	global_store_b32 v8, v5, s[0:1]
.LBB105_7:
	s_wait_alu 0xfffe
	s_or_b32 exec_lo, exec_lo, s2
	ds_bpermute_b32 v5, v0, v12
	s_wait_dscnt 0x0
	v_add_f32_e32 v5, v12, v5
	ds_bpermute_b32 v8, v1, v5
	s_wait_dscnt 0x0
	v_add_f32_e32 v5, v5, v8
	;; [unrolled: 3-line block ×4, first 2 shown]
	ds_bpermute_b32 v8, v4, v5
	s_and_saveexec_b32 s2, vcc_lo
	s_cbranch_execz .LBB105_9
; %bb.8:
	s_mov_b32 s7, 0
	s_wait_dscnt 0x0
	v_dual_add_f32 v5, v5, v8 :: v_dual_mov_b32 v8, 0
	s_lshl_b64 s[4:5], s[6:7], 2
	s_wait_alu 0xfffe
	s_add_nc_u64 s[4:5], s[0:1], s[4:5]
	global_store_b32 v8, v5, s[4:5]
.LBB105_9:
	s_wait_alu 0xfffe
	s_or_b32 exec_lo, exec_lo, s2
	ds_bpermute_b32 v5, v0, v10
	s_wait_dscnt 0x0
	v_add_f32_e32 v5, v10, v5
	ds_bpermute_b32 v8, v1, v5
	s_wait_dscnt 0x0
	v_add_f32_e32 v5, v5, v8
	;; [unrolled: 3-line block ×4, first 2 shown]
	ds_bpermute_b32 v8, v4, v5
	s_and_saveexec_b32 s2, vcc_lo
	s_cbranch_execz .LBB105_11
; %bb.10:
	s_lshl_b32 s4, s6, 1
	s_mov_b32 s5, 0
	s_wait_dscnt 0x0
	v_dual_add_f32 v5, v5, v8 :: v_dual_mov_b32 v8, 0
	s_wait_alu 0xfffe
	s_lshl_b64 s[4:5], s[4:5], 2
	s_wait_alu 0xfffe
	s_add_nc_u64 s[4:5], s[0:1], s[4:5]
	global_store_b32 v8, v5, s[4:5]
.LBB105_11:
	s_wait_alu 0xfffe
	s_or_b32 exec_lo, exec_lo, s2
	ds_bpermute_b32 v5, v0, v9
	s_wait_dscnt 0x0
	v_add_f32_e32 v5, v9, v5
	ds_bpermute_b32 v8, v1, v5
	s_wait_dscnt 0x0
	v_add_f32_e32 v5, v5, v8
	ds_bpermute_b32 v8, v2, v5
	s_wait_dscnt 0x0
	v_add_f32_e32 v5, v5, v8
	ds_bpermute_b32 v8, v3, v5
	s_wait_dscnt 0x0
	v_add_f32_e32 v5, v5, v8
	ds_bpermute_b32 v8, v4, v5
	s_and_saveexec_b32 s2, vcc_lo
	s_cbranch_execz .LBB105_13
; %bb.12:
	s_mul_i32 s4, s6, 3
	s_mov_b32 s5, 0
	s_wait_dscnt 0x0
	v_dual_add_f32 v5, v5, v8 :: v_dual_mov_b32 v8, 0
	s_wait_alu 0xfffe
	s_lshl_b64 s[4:5], s[4:5], 2
	s_wait_alu 0xfffe
	s_add_nc_u64 s[4:5], s[0:1], s[4:5]
	global_store_b32 v8, v5, s[4:5]
.LBB105_13:
	s_wait_alu 0xfffe
	s_or_b32 exec_lo, exec_lo, s2
	ds_bpermute_b32 v5, v0, v6
	s_wait_dscnt 0x0
	v_add_f32_e32 v5, v6, v5
	ds_bpermute_b32 v6, v1, v5
	s_wait_dscnt 0x0
	v_add_f32_e32 v5, v5, v6
	;; [unrolled: 3-line block ×4, first 2 shown]
	ds_bpermute_b32 v6, v4, v5
	s_and_saveexec_b32 s2, vcc_lo
	s_cbranch_execz .LBB105_15
; %bb.14:
	s_lshl_b32 s4, s6, 2
	s_mov_b32 s5, 0
	s_wait_dscnt 0x0
	v_dual_add_f32 v5, v5, v6 :: v_dual_mov_b32 v6, 0
	s_wait_alu 0xfffe
	s_lshl_b64 s[4:5], s[4:5], 2
	s_wait_alu 0xfffe
	s_add_nc_u64 s[4:5], s[0:1], s[4:5]
	global_store_b32 v6, v5, s[4:5]
.LBB105_15:
	s_wait_alu 0xfffe
	s_or_b32 exec_lo, exec_lo, s2
	ds_bpermute_b32 v0, v0, v7
	s_wait_dscnt 0x0
	v_add_f32_e32 v0, v7, v0
	ds_bpermute_b32 v1, v1, v0
	s_wait_dscnt 0x0
	v_add_f32_e32 v0, v0, v1
	;; [unrolled: 3-line block ×4, first 2 shown]
	ds_bpermute_b32 v1, v4, v0
	s_and_b32 exec_lo, exec_lo, vcc_lo
	s_cbranch_execz .LBB105_17
; %bb.16:
	s_mul_i32 s2, s6, 5
	s_mov_b32 s3, 0
	s_wait_dscnt 0x0
	v_dual_add_f32 v0, v0, v1 :: v_dual_mov_b32 v1, 0
	s_wait_alu 0xfffe
	s_lshl_b64 s[2:3], s[2:3], 2
	s_wait_alu 0xfffe
	s_add_nc_u64 s[0:1], s[0:1], s[2:3]
	global_store_b32 v1, v0, s[0:1]
.LBB105_17:
	s_endpgm
	.section	.rodata,"a",@progbits
	.p2align	6, 0x0
	.amdhsa_kernel _ZL13mul_mat_vec_qIL9ggml_type10ELi6ELb0ELb0EEvPKvS2_PKi31ggml_cuda_mm_fusion_args_devicePfj15HIP_vector_typeIjLj3EEjjjS8_jjjS8_jjjj
		.amdhsa_group_segment_fixed_size 0
		.amdhsa_private_segment_fixed_size 0
		.amdhsa_kernarg_size 144
		.amdhsa_user_sgpr_count 2
		.amdhsa_user_sgpr_dispatch_ptr 0
		.amdhsa_user_sgpr_queue_ptr 0
		.amdhsa_user_sgpr_kernarg_segment_ptr 1
		.amdhsa_user_sgpr_dispatch_id 0
		.amdhsa_user_sgpr_private_segment_size 0
		.amdhsa_wavefront_size32 1
		.amdhsa_uses_dynamic_stack 0
		.amdhsa_enable_private_segment 0
		.amdhsa_system_sgpr_workgroup_id_x 1
		.amdhsa_system_sgpr_workgroup_id_y 1
		.amdhsa_system_sgpr_workgroup_id_z 1
		.amdhsa_system_sgpr_workgroup_info 0
		.amdhsa_system_vgpr_workitem_id 1
		.amdhsa_next_free_vgpr 95
		.amdhsa_next_free_sgpr 28
		.amdhsa_reserve_vcc 1
		.amdhsa_float_round_mode_32 0
		.amdhsa_float_round_mode_16_64 0
		.amdhsa_float_denorm_mode_32 3
		.amdhsa_float_denorm_mode_16_64 3
		.amdhsa_fp16_overflow 0
		.amdhsa_workgroup_processor_mode 1
		.amdhsa_memory_ordered 1
		.amdhsa_forward_progress 1
		.amdhsa_inst_pref_size 30
		.amdhsa_round_robin_scheduling 0
		.amdhsa_exception_fp_ieee_invalid_op 0
		.amdhsa_exception_fp_denorm_src 0
		.amdhsa_exception_fp_ieee_div_zero 0
		.amdhsa_exception_fp_ieee_overflow 0
		.amdhsa_exception_fp_ieee_underflow 0
		.amdhsa_exception_fp_ieee_inexact 0
		.amdhsa_exception_int_div_zero 0
	.end_amdhsa_kernel
	.section	.text._ZL13mul_mat_vec_qIL9ggml_type10ELi6ELb0ELb0EEvPKvS2_PKi31ggml_cuda_mm_fusion_args_devicePfj15HIP_vector_typeIjLj3EEjjjS8_jjjS8_jjjj,"axG",@progbits,_ZL13mul_mat_vec_qIL9ggml_type10ELi6ELb0ELb0EEvPKvS2_PKi31ggml_cuda_mm_fusion_args_devicePfj15HIP_vector_typeIjLj3EEjjjS8_jjjS8_jjjj,comdat
.Lfunc_end105:
	.size	_ZL13mul_mat_vec_qIL9ggml_type10ELi6ELb0ELb0EEvPKvS2_PKi31ggml_cuda_mm_fusion_args_devicePfj15HIP_vector_typeIjLj3EEjjjS8_jjjS8_jjjj, .Lfunc_end105-_ZL13mul_mat_vec_qIL9ggml_type10ELi6ELb0ELb0EEvPKvS2_PKi31ggml_cuda_mm_fusion_args_devicePfj15HIP_vector_typeIjLj3EEjjjS8_jjjS8_jjjj
                                        ; -- End function
	.set _ZL13mul_mat_vec_qIL9ggml_type10ELi6ELb0ELb0EEvPKvS2_PKi31ggml_cuda_mm_fusion_args_devicePfj15HIP_vector_typeIjLj3EEjjjS8_jjjS8_jjjj.num_vgpr, 95
	.set _ZL13mul_mat_vec_qIL9ggml_type10ELi6ELb0ELb0EEvPKvS2_PKi31ggml_cuda_mm_fusion_args_devicePfj15HIP_vector_typeIjLj3EEjjjS8_jjjS8_jjjj.num_agpr, 0
	.set _ZL13mul_mat_vec_qIL9ggml_type10ELi6ELb0ELb0EEvPKvS2_PKi31ggml_cuda_mm_fusion_args_devicePfj15HIP_vector_typeIjLj3EEjjjS8_jjjS8_jjjj.numbered_sgpr, 28
	.set _ZL13mul_mat_vec_qIL9ggml_type10ELi6ELb0ELb0EEvPKvS2_PKi31ggml_cuda_mm_fusion_args_devicePfj15HIP_vector_typeIjLj3EEjjjS8_jjjS8_jjjj.num_named_barrier, 0
	.set _ZL13mul_mat_vec_qIL9ggml_type10ELi6ELb0ELb0EEvPKvS2_PKi31ggml_cuda_mm_fusion_args_devicePfj15HIP_vector_typeIjLj3EEjjjS8_jjjS8_jjjj.private_seg_size, 0
	.set _ZL13mul_mat_vec_qIL9ggml_type10ELi6ELb0ELb0EEvPKvS2_PKi31ggml_cuda_mm_fusion_args_devicePfj15HIP_vector_typeIjLj3EEjjjS8_jjjS8_jjjj.uses_vcc, 1
	.set _ZL13mul_mat_vec_qIL9ggml_type10ELi6ELb0ELb0EEvPKvS2_PKi31ggml_cuda_mm_fusion_args_devicePfj15HIP_vector_typeIjLj3EEjjjS8_jjjS8_jjjj.uses_flat_scratch, 0
	.set _ZL13mul_mat_vec_qIL9ggml_type10ELi6ELb0ELb0EEvPKvS2_PKi31ggml_cuda_mm_fusion_args_devicePfj15HIP_vector_typeIjLj3EEjjjS8_jjjS8_jjjj.has_dyn_sized_stack, 0
	.set _ZL13mul_mat_vec_qIL9ggml_type10ELi6ELb0ELb0EEvPKvS2_PKi31ggml_cuda_mm_fusion_args_devicePfj15HIP_vector_typeIjLj3EEjjjS8_jjjS8_jjjj.has_recursion, 0
	.set _ZL13mul_mat_vec_qIL9ggml_type10ELi6ELb0ELb0EEvPKvS2_PKi31ggml_cuda_mm_fusion_args_devicePfj15HIP_vector_typeIjLj3EEjjjS8_jjjS8_jjjj.has_indirect_call, 0
	.section	.AMDGPU.csdata,"",@progbits
; Kernel info:
; codeLenInByte = 3784
; TotalNumSgprs: 30
; NumVgprs: 95
; ScratchSize: 0
; MemoryBound: 0
; FloatMode: 240
; IeeeMode: 1
; LDSByteSize: 0 bytes/workgroup (compile time only)
; SGPRBlocks: 0
; VGPRBlocks: 11
; NumSGPRsForWavesPerEU: 30
; NumVGPRsForWavesPerEU: 95
; Occupancy: 16
; WaveLimiterHint : 0
; COMPUTE_PGM_RSRC2:SCRATCH_EN: 0
; COMPUTE_PGM_RSRC2:USER_SGPR: 2
; COMPUTE_PGM_RSRC2:TRAP_HANDLER: 0
; COMPUTE_PGM_RSRC2:TGID_X_EN: 1
; COMPUTE_PGM_RSRC2:TGID_Y_EN: 1
; COMPUTE_PGM_RSRC2:TGID_Z_EN: 1
; COMPUTE_PGM_RSRC2:TIDIG_COMP_CNT: 1
	.section	.text._ZL13mul_mat_vec_qIL9ggml_type10ELi7ELb0ELb0EEvPKvS2_PKi31ggml_cuda_mm_fusion_args_devicePfj15HIP_vector_typeIjLj3EEjjjS8_jjjS8_jjjj,"axG",@progbits,_ZL13mul_mat_vec_qIL9ggml_type10ELi7ELb0ELb0EEvPKvS2_PKi31ggml_cuda_mm_fusion_args_devicePfj15HIP_vector_typeIjLj3EEjjjS8_jjjS8_jjjj,comdat
	.globl	_ZL13mul_mat_vec_qIL9ggml_type10ELi7ELb0ELb0EEvPKvS2_PKi31ggml_cuda_mm_fusion_args_devicePfj15HIP_vector_typeIjLj3EEjjjS8_jjjS8_jjjj ; -- Begin function _ZL13mul_mat_vec_qIL9ggml_type10ELi7ELb0ELb0EEvPKvS2_PKi31ggml_cuda_mm_fusion_args_devicePfj15HIP_vector_typeIjLj3EEjjjS8_jjjS8_jjjj
	.p2align	8
	.type	_ZL13mul_mat_vec_qIL9ggml_type10ELi7ELb0ELb0EEvPKvS2_PKi31ggml_cuda_mm_fusion_args_devicePfj15HIP_vector_typeIjLj3EEjjjS8_jjjS8_jjjj,@function
_ZL13mul_mat_vec_qIL9ggml_type10ELi7ELb0ELb0EEvPKvS2_PKi31ggml_cuda_mm_fusion_args_devicePfj15HIP_vector_typeIjLj3EEjjjS8_jjjS8_jjjj: ; @_ZL13mul_mat_vec_qIL9ggml_type10ELi7ELb0ELb0EEvPKvS2_PKi31ggml_cuda_mm_fusion_args_devicePfj15HIP_vector_typeIjLj3EEjjjS8_jjjS8_jjjj
; %bb.0:
	s_clause 0x5
	s_load_b96 s[16:18], s[0:1], 0x80
	s_load_b32 s2, s[0:1], 0x40
	s_load_b128 s[4:7], s[0:1], 0x50
	s_load_b32 s23, s[0:1], 0x60
	s_load_b128 s[8:11], s[0:1], 0x68
	s_load_b32 s24, s[0:1], 0x78
	v_bfe_u32 v10, v0, 10, 10
	v_dual_mov_b32 v4, 0 :: v_dual_and_b32 v7, 0x3ff, v0
	v_dual_mov_b32 v5, 0 :: v_dual_mov_b32 v6, 0
	v_dual_mov_b32 v8, 0 :: v_dual_mov_b32 v9, 0
	s_delay_alu instid0(VALU_DEP_3)
	v_lshl_or_b32 v0, v10, 5, v7
	v_mov_b32_e32 v11, 0
	v_mov_b32_e32 v13, 0
	s_and_b32 s19, ttmp7, 0xffff
	s_lshr_b32 s20, ttmp7, 16
	v_lshrrev_b32_e32 v12, 4, v0
	s_mov_b32 s21, exec_lo
	s_wait_kmcnt 0x0
	s_lshr_b32 s22, s2, 8
	s_delay_alu instid0(VALU_DEP_1) | instid1(SALU_CYCLE_1)
	v_cmpx_gt_u32_e64 s22, v12
	s_cbranch_execz .LBB106_4
; %bb.1:
	s_load_b128 s[12:15], s[0:1], 0x0
	v_lshl_add_u32 v0, v10, 5, v7
	v_bfe_u32 v3, v7, 3, 1
	v_lshrrev_b32_e32 v2, 1, v7
	s_mul_hi_u32 s7, s7, s19
	s_mul_hi_u32 s11, s11, s20
	v_lshrrev_b32_e32 v4, 4, v0
	v_mul_hi_u32_u24_e32 v1, 0x90, v3
	v_mul_u32_u24_e32 v0, 0x90, v3
	s_mul_i32 s2, s17, s20
	s_mov_b32 s3, 0
	s_add_co_i32 s7, s19, s7
	s_add_co_i32 s11, s20, s11
	v_and_b32_e32 v6, 4, v2
	v_mad_co_u64_u32 v[2:3], null, 0x120, v4, v[0:1]
	s_mul_u64 s[26:27], s[2:3], 36
	s_mul_i32 s2, s9, s19
	s_lshr_b32 s7, s7, s23
	s_lshr_b32 s9, s11, s24
	v_dual_mov_b32 v4, 0 :: v_dual_and_b32 v5, 15, v7
	s_mul_u64 s[24:25], s[2:3], 36
	s_mul_i32 s2, s7, s8
	s_mul_i32 s7, s9, s16
	s_wait_kmcnt 0x0
	s_add_nc_u64 s[8:9], s[14:15], s[26:27]
	v_bfe_u32 v8, v7, 2, 1
	s_add_nc_u64 s[8:9], s[8:9], s[24:25]
	v_and_b32_e32 v9, 7, v7
	v_lshlrev_b32_e32 v17, 2, v5
	v_mov_b32_e32 v5, 0
	v_mad_co_u64_u32 v[0:1], null, v6, 36, s[8:9]
	v_add_co_u32 v2, vcc_lo, s8, v2
	s_mul_i32 s4, s4, ttmp9
	v_and_or_b32 v14, v7, 8, v8
	v_add_co_ci_u32_e64 v3, null, s9, v3, vcc_lo
	v_lshlrev_b32_e32 v16, 3, v12
	v_dual_mov_b32 v6, 0 :: v_dual_lshlrev_b32 v15, 2, v9
	v_mov_b32_e32 v8, 0
	v_dual_mov_b32 v11, 0 :: v_dual_lshlrev_b32 v18, 2, v9
	v_mov_b32_e32 v9, 0
	v_mov_b32_e32 v13, 0
	s_add_co_i32 s2, s2, s4
	s_lshl_b32 s4, s5, 1
	s_add_co_i32 s2, s7, s2
	s_mul_i32 s7, s5, 3
	s_lshl_b32 s8, s5, 2
	s_mul_i32 s9, s5, 5
	s_mul_i32 s11, s5, 6
.LBB106_2:                              ; =>This Inner Loop Header: Depth=1
	v_add_nc_u32_e32 v19, s2, v12
	v_add_nc_u32_e32 v12, 2, v12
	s_delay_alu instid0(VALU_DEP_2) | instskip(NEXT) | instid1(VALU_DEP_1)
	v_mad_co_i64_i32 v[19:20], null, 0x54, v19, s[12:13]
	v_add_co_u32 v21, vcc_lo, v19, v17
	s_wait_alu 0xfffd
	s_delay_alu instid0(VALU_DEP_2)
	v_add_co_ci_u32_e64 v22, null, 0, v20, vcc_lo
	global_load_b32 v23, v[21:22], off offset:16
	v_add_co_u32 v21, vcc_lo, v19, v14
	s_wait_alu 0xfffd
	v_add_co_ci_u32_e64 v22, null, 0, v20, vcc_lo
	s_clause 0x1
	global_load_b32 v19, v[19:20], off offset:80
	global_load_u8 v20, v[21:22], off
	v_add_co_u32 v33, vcc_lo, v2, v15
	s_wait_alu 0xfffd
	v_add_co_ci_u32_e64 v34, null, 0, v3, vcc_lo
	s_wait_loadcnt 0x2
	v_lshrrev_b32_e32 v24, 2, v23
	v_and_b32_e32 v32, 0x3030303, v23
	s_delay_alu instid0(VALU_DEP_2) | instskip(SKIP_4) | instid1(VALU_DEP_3)
	v_and_b32_e32 v28, 0x3030303, v24
	v_lshrrev_b32_e32 v24, 4, v23
	s_wait_loadcnt 0x0
	v_and_b32_e32 v31, 15, v20
	v_lshrrev_b32_e32 v20, 4, v20
	v_and_b32_e32 v25, 0x3030303, v24
	s_delay_alu instid0(VALU_DEP_2) | instskip(SKIP_4) | instid1(VALU_DEP_1)
	v_mul_lo_u32 v30, 0x1010101, v20
	global_load_u8 v20, v[21:22], off offset:2
	s_wait_loadcnt 0x0
	v_and_b32_e32 v29, 15, v20
	v_lshrrev_b32_e32 v20, 4, v20
	v_mul_lo_u32 v27, 0x1010101, v20
	global_load_u8 v20, v[21:22], off offset:4
	s_wait_loadcnt 0x0
	v_and_b32_e32 v26, 15, v20
	v_lshrrev_b32_e32 v20, 4, v20
	s_delay_alu instid0(VALU_DEP_1)
	v_mul_lo_u32 v24, 0x1010101, v20
	global_load_u8 v20, v[21:22], off offset:6
	s_clause 0x7
	global_load_b32 v35, v[33:34], off offset:4
	global_load_b32 v36, v[2:3], off
	global_load_b32 v37, v[33:34], off offset:40
	global_load_b32 v38, v[2:3], off offset:36
	;; [unrolled: 1-line block ×6, first 2 shown]
	v_lshrrev_b32_e32 v21, 6, v23
	s_delay_alu instid0(VALU_DEP_1) | instskip(SKIP_3) | instid1(VALU_DEP_2)
	v_and_b32_e32 v22, 0x3030303, v21
	s_wait_loadcnt 0x7
	v_dot4_i32_iu8 v41, v32, v35, 0 neg_lo:[1,1,0]
	v_dot4_i32_iu8 v35, v30, v35, 0 neg_lo:[1,1,0]
	v_mul_lo_u32 v41, v31, v41
	s_delay_alu instid0(VALU_DEP_2) | instskip(SKIP_3) | instid1(VALU_DEP_3)
	v_cvt_f32_i32_e32 v35, v35
	v_and_b32_e32 v23, 15, v20
	v_lshrrev_b32_e32 v20, 4, v20
	s_wait_loadcnt 0x6
	v_fma_mix_f32 v35, v36, v35, 0 op_sel_hi:[1,0,0]
	v_cvt_f32_i32_e32 v41, v41
	s_delay_alu instid0(VALU_DEP_3) | instskip(SKIP_1) | instid1(VALU_DEP_3)
	v_mul_lo_u32 v21, 0x1010101, v20
	v_lshrrev_b32_e32 v20, 16, v19
	v_fma_mix_f32 v41, v36, v41, 0 op_sel_hi:[1,0,0]
	s_wait_loadcnt 0x5
	v_dot4_i32_iu8 v36, v28, v37, 0 neg_lo:[1,1,0]
	v_dot4_i32_iu8 v37, v27, v37, 0 neg_lo:[1,1,0]
	v_cvt_f32_f16_e32 v20, v20
	s_delay_alu instid0(VALU_DEP_3) | instskip(NEXT) | instid1(VALU_DEP_3)
	v_mul_lo_u32 v36, v29, v36
	v_cvt_f32_i32_e32 v37, v37
	s_wait_loadcnt 0x4
	s_delay_alu instid0(VALU_DEP_1) | instskip(SKIP_2) | instid1(VALU_DEP_4)
	v_fma_mix_f32 v35, v38, v37, v35 op_sel_hi:[1,0,0]
	s_wait_loadcnt 0x3
	v_dot4_i32_iu8 v37, v25, v39, 0 neg_lo:[1,1,0]
	v_cvt_f32_i32_e32 v36, v36
	s_delay_alu instid0(VALU_DEP_2) | instskip(NEXT) | instid1(VALU_DEP_2)
	v_mul_lo_u32 v37, v26, v37
	v_fma_mix_f32 v36, v38, v36, v41 op_sel_hi:[1,0,0]
	s_delay_alu instid0(VALU_DEP_2) | instskip(SKIP_1) | instid1(VALU_DEP_1)
	v_cvt_f32_i32_e32 v37, v37
	s_wait_loadcnt 0x2
	v_fma_mix_f32 v36, v40, v37, v36 op_sel_hi:[1,0,0]
	v_dot4_i32_iu8 v37, v24, v39, 0 neg_lo:[1,1,0]
	s_delay_alu instid0(VALU_DEP_1) | instskip(NEXT) | instid1(VALU_DEP_1)
	v_cvt_f32_i32_e32 v37, v37
	v_fma_mix_f32 v35, v40, v37, v35 op_sel_hi:[1,0,0]
	s_wait_loadcnt 0x1
	v_dot4_i32_iu8 v37, v22, v33, 0 neg_lo:[1,1,0]
	v_dot4_i32_iu8 v33, v21, v33, 0 neg_lo:[1,1,0]
	s_delay_alu instid0(VALU_DEP_2) | instskip(NEXT) | instid1(VALU_DEP_2)
	v_mul_lo_u32 v37, v23, v37
	v_cvt_f32_i32_e32 v33, v33
	s_wait_loadcnt 0x0
	s_delay_alu instid0(VALU_DEP_1) | instskip(NEXT) | instid1(VALU_DEP_3)
	v_fma_mix_f32 v33, v34, v33, v35 op_sel_hi:[1,0,0]
	v_cvt_f32_i32_e32 v37, v37
	s_delay_alu instid0(VALU_DEP_2) | instskip(NEXT) | instid1(VALU_DEP_2)
	v_mul_f32_e32 v33, v33, v20
	v_fma_mix_f32 v36, v34, v37, v36 op_sel_hi:[1,0,0]
	s_delay_alu instid0(VALU_DEP_1) | instskip(NEXT) | instid1(VALU_DEP_1)
	v_fma_mix_f32 v33, v36, v19, -v33 op_sel_hi:[0,1,0]
	v_add_f32_e32 v13, v13, v33
	v_add_nc_u32_e32 v33, s5, v16
	s_delay_alu instid0(VALU_DEP_1) | instskip(NEXT) | instid1(VALU_DEP_1)
	v_mad_co_u64_u32 v[33:34], null, v33, 36, v[0:1]
	v_add_co_u32 v35, vcc_lo, v33, v18
	s_wait_alu 0xfffd
	s_delay_alu instid0(VALU_DEP_2)
	v_add_co_ci_u32_e64 v36, null, 0, v34, vcc_lo
	s_clause 0x7
	global_load_b32 v37, v[35:36], off offset:4
	global_load_b32 v38, v[33:34], off
	global_load_b32 v39, v[35:36], off offset:40
	global_load_b32 v40, v[33:34], off offset:36
	;; [unrolled: 1-line block ×6, first 2 shown]
	s_wait_loadcnt 0x7
	v_dot4_i32_iu8 v34, v32, v37, 0 neg_lo:[1,1,0]
	v_dot4_i32_iu8 v36, v30, v37, 0 neg_lo:[1,1,0]
	s_wait_loadcnt 0x5
	v_dot4_i32_iu8 v37, v28, v39, 0 neg_lo:[1,1,0]
	s_delay_alu instid0(VALU_DEP_3) | instskip(NEXT) | instid1(VALU_DEP_3)
	v_mul_lo_u32 v34, v31, v34
	v_cvt_f32_i32_e32 v36, v36
	s_delay_alu instid0(VALU_DEP_3) | instskip(NEXT) | instid1(VALU_DEP_2)
	v_mul_lo_u32 v37, v29, v37
	v_fma_mix_f32 v36, v38, v36, 0 op_sel_hi:[1,0,0]
	s_delay_alu instid0(VALU_DEP_4) | instskip(NEXT) | instid1(VALU_DEP_3)
	v_cvt_f32_i32_e32 v34, v34
	v_cvt_f32_i32_e32 v37, v37
	s_delay_alu instid0(VALU_DEP_2) | instskip(SKIP_1) | instid1(VALU_DEP_1)
	v_fma_mix_f32 v34, v38, v34, 0 op_sel_hi:[1,0,0]
	s_wait_loadcnt 0x4
	v_fma_mix_f32 v34, v40, v37, v34 op_sel_hi:[1,0,0]
	v_dot4_i32_iu8 v37, v27, v39, 0 neg_lo:[1,1,0]
	s_delay_alu instid0(VALU_DEP_1) | instskip(NEXT) | instid1(VALU_DEP_1)
	v_cvt_f32_i32_e32 v37, v37
	v_fma_mix_f32 v36, v40, v37, v36 op_sel_hi:[1,0,0]
	s_wait_loadcnt 0x3
	v_dot4_i32_iu8 v37, v25, v41, 0 neg_lo:[1,1,0]
	s_delay_alu instid0(VALU_DEP_1) | instskip(NEXT) | instid1(VALU_DEP_1)
	v_mul_lo_u32 v37, v26, v37
	v_cvt_f32_i32_e32 v37, v37
	s_wait_loadcnt 0x2
	s_delay_alu instid0(VALU_DEP_1) | instskip(SKIP_1) | instid1(VALU_DEP_1)
	v_fma_mix_f32 v34, v42, v37, v34 op_sel_hi:[1,0,0]
	v_dot4_i32_iu8 v37, v24, v41, 0 neg_lo:[1,1,0]
	v_cvt_f32_i32_e32 v37, v37
	s_delay_alu instid0(VALU_DEP_1) | instskip(SKIP_3) | instid1(VALU_DEP_2)
	v_fma_mix_f32 v36, v42, v37, v36 op_sel_hi:[1,0,0]
	s_wait_loadcnt 0x1
	v_dot4_i32_iu8 v37, v22, v35, 0 neg_lo:[1,1,0]
	v_dot4_i32_iu8 v35, v21, v35, 0 neg_lo:[1,1,0]
	v_mul_lo_u32 v37, v23, v37
	s_delay_alu instid0(VALU_DEP_2) | instskip(NEXT) | instid1(VALU_DEP_2)
	v_cvt_f32_i32_e32 v35, v35
	v_cvt_f32_i32_e32 v37, v37
	s_wait_loadcnt 0x0
	s_delay_alu instid0(VALU_DEP_1) | instskip(NEXT) | instid1(VALU_DEP_3)
	v_fma_mix_f32 v34, v33, v37, v34 op_sel_hi:[1,0,0]
	v_fma_mix_f32 v33, v33, v35, v36 op_sel_hi:[1,0,0]
	s_delay_alu instid0(VALU_DEP_1) | instskip(NEXT) | instid1(VALU_DEP_1)
	v_mul_f32_e32 v33, v33, v20
	v_fma_mix_f32 v33, v34, v19, -v33 op_sel_hi:[0,1,0]
	s_delay_alu instid0(VALU_DEP_1) | instskip(SKIP_1) | instid1(VALU_DEP_1)
	v_add_f32_e32 v11, v11, v33
	v_add_nc_u32_e32 v33, s4, v16
	v_mad_co_u64_u32 v[33:34], null, v33, 36, v[0:1]
	s_delay_alu instid0(VALU_DEP_1) | instskip(SKIP_1) | instid1(VALU_DEP_2)
	v_add_co_u32 v35, vcc_lo, v33, v18
	s_wait_alu 0xfffd
	v_add_co_ci_u32_e64 v36, null, 0, v34, vcc_lo
	s_clause 0x7
	global_load_b32 v37, v[35:36], off offset:4
	global_load_b32 v38, v[33:34], off
	global_load_b32 v39, v[35:36], off offset:40
	global_load_b32 v40, v[33:34], off offset:36
	global_load_b32 v41, v[35:36], off offset:76
	global_load_b32 v42, v[33:34], off offset:72
	global_load_b32 v35, v[35:36], off offset:112
	global_load_b32 v33, v[33:34], off offset:108
	s_wait_loadcnt 0x7
	v_dot4_i32_iu8 v34, v32, v37, 0 neg_lo:[1,1,0]
	v_dot4_i32_iu8 v36, v30, v37, 0 neg_lo:[1,1,0]
	s_wait_loadcnt 0x5
	v_dot4_i32_iu8 v37, v28, v39, 0 neg_lo:[1,1,0]
	s_delay_alu instid0(VALU_DEP_3) | instskip(NEXT) | instid1(VALU_DEP_3)
	v_mul_lo_u32 v34, v31, v34
	v_cvt_f32_i32_e32 v36, v36
	s_delay_alu instid0(VALU_DEP_3) | instskip(NEXT) | instid1(VALU_DEP_2)
	v_mul_lo_u32 v37, v29, v37
	v_fma_mix_f32 v36, v38, v36, 0 op_sel_hi:[1,0,0]
	s_delay_alu instid0(VALU_DEP_4) | instskip(NEXT) | instid1(VALU_DEP_3)
	v_cvt_f32_i32_e32 v34, v34
	v_cvt_f32_i32_e32 v37, v37
	s_delay_alu instid0(VALU_DEP_2) | instskip(SKIP_1) | instid1(VALU_DEP_1)
	v_fma_mix_f32 v34, v38, v34, 0 op_sel_hi:[1,0,0]
	s_wait_loadcnt 0x4
	v_fma_mix_f32 v34, v40, v37, v34 op_sel_hi:[1,0,0]
	v_dot4_i32_iu8 v37, v27, v39, 0 neg_lo:[1,1,0]
	s_delay_alu instid0(VALU_DEP_1) | instskip(NEXT) | instid1(VALU_DEP_1)
	v_cvt_f32_i32_e32 v37, v37
	v_fma_mix_f32 v36, v40, v37, v36 op_sel_hi:[1,0,0]
	s_wait_loadcnt 0x3
	v_dot4_i32_iu8 v37, v25, v41, 0 neg_lo:[1,1,0]
	s_delay_alu instid0(VALU_DEP_1) | instskip(NEXT) | instid1(VALU_DEP_1)
	v_mul_lo_u32 v37, v26, v37
	v_cvt_f32_i32_e32 v37, v37
	s_wait_loadcnt 0x2
	s_delay_alu instid0(VALU_DEP_1) | instskip(SKIP_1) | instid1(VALU_DEP_1)
	v_fma_mix_f32 v34, v42, v37, v34 op_sel_hi:[1,0,0]
	v_dot4_i32_iu8 v37, v24, v41, 0 neg_lo:[1,1,0]
	v_cvt_f32_i32_e32 v37, v37
	s_delay_alu instid0(VALU_DEP_1) | instskip(SKIP_3) | instid1(VALU_DEP_2)
	v_fma_mix_f32 v36, v42, v37, v36 op_sel_hi:[1,0,0]
	s_wait_loadcnt 0x1
	v_dot4_i32_iu8 v37, v22, v35, 0 neg_lo:[1,1,0]
	v_dot4_i32_iu8 v35, v21, v35, 0 neg_lo:[1,1,0]
	v_mul_lo_u32 v37, v23, v37
	s_delay_alu instid0(VALU_DEP_2) | instskip(NEXT) | instid1(VALU_DEP_2)
	v_cvt_f32_i32_e32 v35, v35
	v_cvt_f32_i32_e32 v37, v37
	s_wait_loadcnt 0x0
	s_delay_alu instid0(VALU_DEP_1) | instskip(NEXT) | instid1(VALU_DEP_3)
	v_fma_mix_f32 v34, v33, v37, v34 op_sel_hi:[1,0,0]
	v_fma_mix_f32 v33, v33, v35, v36 op_sel_hi:[1,0,0]
	s_delay_alu instid0(VALU_DEP_1) | instskip(NEXT) | instid1(VALU_DEP_1)
	v_mul_f32_e32 v33, v33, v20
	v_fma_mix_f32 v33, v34, v19, -v33 op_sel_hi:[0,1,0]
	s_delay_alu instid0(VALU_DEP_1) | instskip(SKIP_1) | instid1(VALU_DEP_1)
	v_add_f32_e32 v9, v9, v33
	v_add_nc_u32_e32 v33, s7, v16
	v_mad_co_u64_u32 v[33:34], null, v33, 36, v[0:1]
	s_delay_alu instid0(VALU_DEP_1) | instskip(SKIP_1) | instid1(VALU_DEP_2)
	v_add_co_u32 v35, vcc_lo, v33, v18
	s_wait_alu 0xfffd
	v_add_co_ci_u32_e64 v36, null, 0, v34, vcc_lo
	s_clause 0x7
	global_load_b32 v37, v[35:36], off offset:4
	global_load_b32 v38, v[33:34], off
	global_load_b32 v39, v[35:36], off offset:40
	global_load_b32 v40, v[33:34], off offset:36
	;; [unrolled: 1-line block ×6, first 2 shown]
	s_wait_loadcnt 0x7
	v_dot4_i32_iu8 v34, v32, v37, 0 neg_lo:[1,1,0]
	v_dot4_i32_iu8 v36, v30, v37, 0 neg_lo:[1,1,0]
	s_wait_loadcnt 0x5
	v_dot4_i32_iu8 v37, v28, v39, 0 neg_lo:[1,1,0]
	s_delay_alu instid0(VALU_DEP_3) | instskip(NEXT) | instid1(VALU_DEP_3)
	v_mul_lo_u32 v34, v31, v34
	v_cvt_f32_i32_e32 v36, v36
	s_delay_alu instid0(VALU_DEP_3) | instskip(NEXT) | instid1(VALU_DEP_2)
	v_mul_lo_u32 v37, v29, v37
	v_fma_mix_f32 v36, v38, v36, 0 op_sel_hi:[1,0,0]
	s_delay_alu instid0(VALU_DEP_4) | instskip(NEXT) | instid1(VALU_DEP_3)
	v_cvt_f32_i32_e32 v34, v34
	v_cvt_f32_i32_e32 v37, v37
	s_delay_alu instid0(VALU_DEP_2) | instskip(SKIP_1) | instid1(VALU_DEP_1)
	v_fma_mix_f32 v34, v38, v34, 0 op_sel_hi:[1,0,0]
	s_wait_loadcnt 0x4
	v_fma_mix_f32 v34, v40, v37, v34 op_sel_hi:[1,0,0]
	v_dot4_i32_iu8 v37, v27, v39, 0 neg_lo:[1,1,0]
	s_delay_alu instid0(VALU_DEP_1) | instskip(NEXT) | instid1(VALU_DEP_1)
	v_cvt_f32_i32_e32 v37, v37
	v_fma_mix_f32 v36, v40, v37, v36 op_sel_hi:[1,0,0]
	s_wait_loadcnt 0x3
	v_dot4_i32_iu8 v37, v25, v41, 0 neg_lo:[1,1,0]
	s_delay_alu instid0(VALU_DEP_1) | instskip(NEXT) | instid1(VALU_DEP_1)
	v_mul_lo_u32 v37, v26, v37
	v_cvt_f32_i32_e32 v37, v37
	s_wait_loadcnt 0x2
	s_delay_alu instid0(VALU_DEP_1) | instskip(SKIP_1) | instid1(VALU_DEP_1)
	v_fma_mix_f32 v34, v42, v37, v34 op_sel_hi:[1,0,0]
	v_dot4_i32_iu8 v37, v24, v41, 0 neg_lo:[1,1,0]
	v_cvt_f32_i32_e32 v37, v37
	s_delay_alu instid0(VALU_DEP_1) | instskip(SKIP_3) | instid1(VALU_DEP_2)
	v_fma_mix_f32 v36, v42, v37, v36 op_sel_hi:[1,0,0]
	s_wait_loadcnt 0x1
	v_dot4_i32_iu8 v37, v22, v35, 0 neg_lo:[1,1,0]
	v_dot4_i32_iu8 v35, v21, v35, 0 neg_lo:[1,1,0]
	v_mul_lo_u32 v37, v23, v37
	s_delay_alu instid0(VALU_DEP_2) | instskip(NEXT) | instid1(VALU_DEP_2)
	v_cvt_f32_i32_e32 v35, v35
	v_cvt_f32_i32_e32 v37, v37
	s_wait_loadcnt 0x0
	s_delay_alu instid0(VALU_DEP_1) | instskip(NEXT) | instid1(VALU_DEP_3)
	v_fma_mix_f32 v34, v33, v37, v34 op_sel_hi:[1,0,0]
	v_fma_mix_f32 v33, v33, v35, v36 op_sel_hi:[1,0,0]
	s_delay_alu instid0(VALU_DEP_1) | instskip(NEXT) | instid1(VALU_DEP_1)
	v_mul_f32_e32 v33, v33, v20
	v_fma_mix_f32 v33, v34, v19, -v33 op_sel_hi:[0,1,0]
	s_wait_alu 0xfffe
	s_delay_alu instid0(VALU_DEP_1) | instskip(NEXT) | instid1(VALU_DEP_1)
	v_dual_add_f32 v8, v8, v33 :: v_dual_add_nc_u32 v33, s8, v16
	v_mad_co_u64_u32 v[33:34], null, v33, 36, v[0:1]
	s_delay_alu instid0(VALU_DEP_1) | instskip(SKIP_1) | instid1(VALU_DEP_2)
	v_add_co_u32 v35, vcc_lo, v33, v18
	s_wait_alu 0xfffd
	v_add_co_ci_u32_e64 v36, null, 0, v34, vcc_lo
	s_clause 0x7
	global_load_b32 v37, v[35:36], off offset:4
	global_load_b32 v38, v[33:34], off
	global_load_b32 v39, v[35:36], off offset:40
	global_load_b32 v40, v[33:34], off offset:36
	;; [unrolled: 1-line block ×6, first 2 shown]
	s_wait_loadcnt 0x7
	v_dot4_i32_iu8 v34, v32, v37, 0 neg_lo:[1,1,0]
	v_dot4_i32_iu8 v36, v30, v37, 0 neg_lo:[1,1,0]
	s_wait_loadcnt 0x5
	v_dot4_i32_iu8 v37, v28, v39, 0 neg_lo:[1,1,0]
	s_delay_alu instid0(VALU_DEP_3) | instskip(NEXT) | instid1(VALU_DEP_3)
	v_mul_lo_u32 v34, v31, v34
	v_cvt_f32_i32_e32 v36, v36
	s_delay_alu instid0(VALU_DEP_3) | instskip(NEXT) | instid1(VALU_DEP_2)
	v_mul_lo_u32 v37, v29, v37
	v_fma_mix_f32 v36, v38, v36, 0 op_sel_hi:[1,0,0]
	s_delay_alu instid0(VALU_DEP_4) | instskip(NEXT) | instid1(VALU_DEP_3)
	v_cvt_f32_i32_e32 v34, v34
	v_cvt_f32_i32_e32 v37, v37
	s_delay_alu instid0(VALU_DEP_2) | instskip(SKIP_1) | instid1(VALU_DEP_1)
	v_fma_mix_f32 v34, v38, v34, 0 op_sel_hi:[1,0,0]
	s_wait_loadcnt 0x4
	v_fma_mix_f32 v34, v40, v37, v34 op_sel_hi:[1,0,0]
	v_dot4_i32_iu8 v37, v27, v39, 0 neg_lo:[1,1,0]
	s_delay_alu instid0(VALU_DEP_1) | instskip(NEXT) | instid1(VALU_DEP_1)
	v_cvt_f32_i32_e32 v37, v37
	v_fma_mix_f32 v36, v40, v37, v36 op_sel_hi:[1,0,0]
	s_wait_loadcnt 0x3
	v_dot4_i32_iu8 v37, v25, v41, 0 neg_lo:[1,1,0]
	s_delay_alu instid0(VALU_DEP_1) | instskip(NEXT) | instid1(VALU_DEP_1)
	v_mul_lo_u32 v37, v26, v37
	v_cvt_f32_i32_e32 v37, v37
	s_wait_loadcnt 0x2
	s_delay_alu instid0(VALU_DEP_1) | instskip(SKIP_1) | instid1(VALU_DEP_1)
	v_fma_mix_f32 v34, v42, v37, v34 op_sel_hi:[1,0,0]
	v_dot4_i32_iu8 v37, v24, v41, 0 neg_lo:[1,1,0]
	v_cvt_f32_i32_e32 v37, v37
	s_delay_alu instid0(VALU_DEP_1) | instskip(SKIP_3) | instid1(VALU_DEP_2)
	v_fma_mix_f32 v36, v42, v37, v36 op_sel_hi:[1,0,0]
	s_wait_loadcnt 0x1
	v_dot4_i32_iu8 v37, v22, v35, 0 neg_lo:[1,1,0]
	v_dot4_i32_iu8 v35, v21, v35, 0 neg_lo:[1,1,0]
	v_mul_lo_u32 v37, v23, v37
	s_delay_alu instid0(VALU_DEP_2) | instskip(NEXT) | instid1(VALU_DEP_2)
	v_cvt_f32_i32_e32 v35, v35
	v_cvt_f32_i32_e32 v37, v37
	s_wait_loadcnt 0x0
	s_delay_alu instid0(VALU_DEP_1) | instskip(NEXT) | instid1(VALU_DEP_3)
	v_fma_mix_f32 v34, v33, v37, v34 op_sel_hi:[1,0,0]
	v_fma_mix_f32 v33, v33, v35, v36 op_sel_hi:[1,0,0]
	s_delay_alu instid0(VALU_DEP_1) | instskip(NEXT) | instid1(VALU_DEP_1)
	v_mul_f32_e32 v33, v33, v20
	v_fma_mix_f32 v33, v34, v19, -v33 op_sel_hi:[0,1,0]
	s_delay_alu instid0(VALU_DEP_1) | instskip(NEXT) | instid1(VALU_DEP_1)
	v_dual_add_f32 v6, v6, v33 :: v_dual_add_nc_u32 v33, s9, v16
	v_mad_co_u64_u32 v[33:34], null, v33, 36, v[0:1]
	s_delay_alu instid0(VALU_DEP_1) | instskip(SKIP_1) | instid1(VALU_DEP_2)
	v_add_co_u32 v35, vcc_lo, v33, v18
	s_wait_alu 0xfffd
	v_add_co_ci_u32_e64 v36, null, 0, v34, vcc_lo
	s_clause 0x7
	global_load_b32 v37, v[35:36], off offset:4
	global_load_b32 v38, v[33:34], off
	global_load_b32 v39, v[35:36], off offset:40
	global_load_b32 v40, v[33:34], off offset:36
	;; [unrolled: 1-line block ×6, first 2 shown]
	s_wait_loadcnt 0x7
	v_dot4_i32_iu8 v34, v32, v37, 0 neg_lo:[1,1,0]
	v_dot4_i32_iu8 v36, v30, v37, 0 neg_lo:[1,1,0]
	s_wait_loadcnt 0x5
	v_dot4_i32_iu8 v37, v28, v39, 0 neg_lo:[1,1,0]
	s_delay_alu instid0(VALU_DEP_3) | instskip(NEXT) | instid1(VALU_DEP_3)
	v_mul_lo_u32 v34, v31, v34
	v_cvt_f32_i32_e32 v36, v36
	s_delay_alu instid0(VALU_DEP_3) | instskip(NEXT) | instid1(VALU_DEP_2)
	v_mul_lo_u32 v37, v29, v37
	v_fma_mix_f32 v36, v38, v36, 0 op_sel_hi:[1,0,0]
	s_delay_alu instid0(VALU_DEP_4) | instskip(NEXT) | instid1(VALU_DEP_3)
	v_cvt_f32_i32_e32 v34, v34
	v_cvt_f32_i32_e32 v37, v37
	s_delay_alu instid0(VALU_DEP_2) | instskip(SKIP_1) | instid1(VALU_DEP_1)
	v_fma_mix_f32 v34, v38, v34, 0 op_sel_hi:[1,0,0]
	s_wait_loadcnt 0x4
	v_fma_mix_f32 v34, v40, v37, v34 op_sel_hi:[1,0,0]
	v_dot4_i32_iu8 v37, v27, v39, 0 neg_lo:[1,1,0]
	s_delay_alu instid0(VALU_DEP_1) | instskip(NEXT) | instid1(VALU_DEP_1)
	v_cvt_f32_i32_e32 v37, v37
	v_fma_mix_f32 v36, v40, v37, v36 op_sel_hi:[1,0,0]
	s_wait_loadcnt 0x3
	v_dot4_i32_iu8 v37, v25, v41, 0 neg_lo:[1,1,0]
	s_delay_alu instid0(VALU_DEP_1) | instskip(NEXT) | instid1(VALU_DEP_1)
	v_mul_lo_u32 v37, v26, v37
	v_cvt_f32_i32_e32 v37, v37
	s_wait_loadcnt 0x2
	s_delay_alu instid0(VALU_DEP_1) | instskip(SKIP_1) | instid1(VALU_DEP_1)
	v_fma_mix_f32 v34, v42, v37, v34 op_sel_hi:[1,0,0]
	v_dot4_i32_iu8 v37, v24, v41, 0 neg_lo:[1,1,0]
	v_cvt_f32_i32_e32 v37, v37
	s_delay_alu instid0(VALU_DEP_1) | instskip(SKIP_3) | instid1(VALU_DEP_2)
	v_fma_mix_f32 v36, v42, v37, v36 op_sel_hi:[1,0,0]
	s_wait_loadcnt 0x1
	v_dot4_i32_iu8 v37, v22, v35, 0 neg_lo:[1,1,0]
	v_dot4_i32_iu8 v35, v21, v35, 0 neg_lo:[1,1,0]
	v_mul_lo_u32 v37, v23, v37
	s_delay_alu instid0(VALU_DEP_2) | instskip(NEXT) | instid1(VALU_DEP_2)
	v_cvt_f32_i32_e32 v35, v35
	v_cvt_f32_i32_e32 v37, v37
	s_wait_loadcnt 0x0
	s_delay_alu instid0(VALU_DEP_1) | instskip(NEXT) | instid1(VALU_DEP_3)
	v_fma_mix_f32 v34, v33, v37, v34 op_sel_hi:[1,0,0]
	v_fma_mix_f32 v33, v33, v35, v36 op_sel_hi:[1,0,0]
	s_delay_alu instid0(VALU_DEP_1) | instskip(NEXT) | instid1(VALU_DEP_1)
	v_mul_f32_e32 v33, v33, v20
	v_fma_mix_f32 v33, v34, v19, -v33 op_sel_hi:[0,1,0]
	s_delay_alu instid0(VALU_DEP_1) | instskip(SKIP_2) | instid1(VALU_DEP_2)
	v_add_f32_e32 v5, v5, v33
	v_add_nc_u32_e32 v33, s11, v16
	v_add_nc_u32_e32 v16, 16, v16
	v_mad_co_u64_u32 v[33:34], null, v33, 36, v[0:1]
	s_delay_alu instid0(VALU_DEP_1) | instskip(SKIP_1) | instid1(VALU_DEP_2)
	v_add_co_u32 v35, vcc_lo, v33, v18
	s_wait_alu 0xfffd
	v_add_co_ci_u32_e64 v36, null, 0, v34, vcc_lo
	s_clause 0x7
	global_load_b32 v37, v[35:36], off offset:4
	global_load_b32 v38, v[33:34], off
	global_load_b32 v39, v[35:36], off offset:40
	global_load_b32 v40, v[33:34], off offset:36
	;; [unrolled: 1-line block ×6, first 2 shown]
	v_add_co_u32 v2, vcc_lo, 0x240, v2
	s_wait_alu 0xfffd
	v_add_co_ci_u32_e64 v3, null, 0, v3, vcc_lo
	v_cmp_le_u32_e32 vcc_lo, s22, v12
	s_or_b32 s3, vcc_lo, s3
	s_wait_loadcnt 0x7
	v_dot4_i32_iu8 v32, v32, v37, 0 neg_lo:[1,1,0]
	v_dot4_i32_iu8 v30, v30, v37, 0 neg_lo:[1,1,0]
	s_wait_loadcnt 0x5
	v_dot4_i32_iu8 v28, v28, v39, 0 neg_lo:[1,1,0]
	v_dot4_i32_iu8 v27, v27, v39, 0 neg_lo:[1,1,0]
	s_wait_loadcnt 0x3
	v_dot4_i32_iu8 v25, v25, v41, 0 neg_lo:[1,1,0]
	v_mul_lo_u32 v31, v31, v32
	v_cvt_f32_i32_e32 v30, v30
	v_mul_lo_u32 v28, v29, v28
	v_cvt_f32_i32_e32 v27, v27
	v_dot4_i32_iu8 v24, v24, v41, 0 neg_lo:[1,1,0]
	v_mul_lo_u32 v25, v26, v25
	v_fma_mix_f32 v30, v38, v30, 0 op_sel_hi:[1,0,0]
	s_wait_loadcnt 0x1
	v_dot4_i32_iu8 v22, v22, v35, 0 neg_lo:[1,1,0]
	v_cvt_f32_i32_e32 v31, v31
	v_cvt_f32_i32_e32 v24, v24
	;; [unrolled: 1-line block ×3, first 2 shown]
	v_fma_mix_f32 v27, v40, v27, v30 op_sel_hi:[1,0,0]
	v_dot4_i32_iu8 v21, v21, v35, 0 neg_lo:[1,1,0]
	v_fma_mix_f32 v31, v38, v31, 0 op_sel_hi:[1,0,0]
	v_mul_lo_u32 v22, v23, v22
	v_cvt_f32_i32_e32 v25, v25
	v_fma_mix_f32 v24, v42, v24, v27 op_sel_hi:[1,0,0]
	v_cvt_f32_i32_e32 v21, v21
	v_fma_mix_f32 v28, v40, v28, v31 op_sel_hi:[1,0,0]
	v_cvt_f32_i32_e32 v22, v22
	s_delay_alu instid0(VALU_DEP_2) | instskip(SKIP_2) | instid1(VALU_DEP_2)
	v_fma_mix_f32 v25, v42, v25, v28 op_sel_hi:[1,0,0]
	s_wait_loadcnt 0x0
	v_fma_mix_f32 v21, v33, v21, v24 op_sel_hi:[1,0,0]
	v_fma_mix_f32 v22, v33, v22, v25 op_sel_hi:[1,0,0]
	s_delay_alu instid0(VALU_DEP_2) | instskip(NEXT) | instid1(VALU_DEP_1)
	v_mul_f32_e32 v20, v21, v20
	v_fma_mix_f32 v19, v22, v19, -v20 op_sel_hi:[0,1,0]
	s_delay_alu instid0(VALU_DEP_1)
	v_add_f32_e32 v4, v4, v19
	s_wait_alu 0xfffe
	s_and_not1_b32 exec_lo, exec_lo, s3
	s_cbranch_execnz .LBB106_2
; %bb.3:
	s_or_b32 exec_lo, exec_lo, s3
.LBB106_4:
	s_delay_alu instid0(SALU_CYCLE_1)
	s_or_b32 exec_lo, exec_lo, s21
	s_mov_b32 s3, 0
	; wave barrier
	global_inv scope:SCOPE_SE
	s_mov_b32 s2, exec_lo
	v_cmpx_eq_u32_e32 0, v10
	s_cbranch_execz .LBB106_19
; %bb.5:
	v_mbcnt_lo_u32_b32 v10, -1, 0
	s_load_b64 s[0:1], s[0:1], 0x38
	s_mul_i32 s2, s10, s19
	s_mul_i32 s4, s18, s20
	s_wait_alu 0xfffe
	s_add_co_i32 s2, s2, ttmp9
	v_xor_b32_e32 v0, 16, v10
	v_xor_b32_e32 v1, 8, v10
	;; [unrolled: 1-line block ×3, first 2 shown]
	s_wait_alu 0xfffe
	s_add_co_i32 s2, s2, s4
	s_wait_alu 0xfffe
	s_lshl_b64 s[2:3], s[2:3], 2
	v_cmp_gt_i32_e32 vcc_lo, 32, v0
	s_wait_alu 0xfffd
	v_cndmask_b32_e32 v0, v10, v0, vcc_lo
	v_cmp_gt_i32_e32 vcc_lo, 32, v1
	s_wait_kmcnt 0x0
	s_wait_alu 0xfffe
	s_add_nc_u64 s[0:1], s[0:1], s[2:3]
	s_wait_alu 0xfffd
	v_cndmask_b32_e32 v1, v10, v1, vcc_lo
	s_delay_alu instid0(VALU_DEP_1)
	v_lshlrev_b32_e32 v1, 2, v1
	v_lshlrev_b32_e32 v0, 2, v0
	ds_bpermute_b32 v2, v0, v13
	s_wait_dscnt 0x0
	v_add_f32_e32 v3, v13, v2
	v_xor_b32_e32 v2, 4, v10
	ds_bpermute_b32 v12, v1, v3
	v_cmp_gt_i32_e32 vcc_lo, 32, v2
	s_wait_alu 0xfffd
	v_cndmask_b32_e32 v2, v10, v2, vcc_lo
	s_wait_dscnt 0x0
	v_add_f32_e32 v12, v3, v12
	v_xor_b32_e32 v3, 2, v10
	s_delay_alu instid0(VALU_DEP_1) | instskip(SKIP_3) | instid1(VALU_DEP_2)
	v_cmp_gt_i32_e32 vcc_lo, 32, v3
	s_wait_alu 0xfffd
	v_cndmask_b32_e32 v3, v10, v3, vcc_lo
	v_cmp_gt_i32_e32 vcc_lo, 32, v14
	v_lshlrev_b32_e32 v3, 2, v3
	v_lshlrev_b32_e32 v2, 2, v2
	s_wait_alu 0xfffd
	v_cndmask_b32_e32 v10, v10, v14, vcc_lo
	v_cmp_eq_u32_e32 vcc_lo, 0, v7
	ds_bpermute_b32 v13, v2, v12
	v_lshlrev_b32_e32 v10, 2, v10
	s_wait_dscnt 0x0
	v_add_f32_e32 v12, v12, v13
	ds_bpermute_b32 v13, v3, v12
	s_wait_dscnt 0x0
	v_add_f32_e32 v12, v12, v13
	ds_bpermute_b32 v13, v10, v12
	s_and_saveexec_b32 s2, vcc_lo
	s_cbranch_execz .LBB106_7
; %bb.6:
	s_wait_dscnt 0x0
	v_dual_add_f32 v7, v12, v13 :: v_dual_mov_b32 v12, 0
	global_store_b32 v12, v7, s[0:1]
.LBB106_7:
	s_wait_alu 0xfffe
	s_or_b32 exec_lo, exec_lo, s2
	ds_bpermute_b32 v7, v0, v11
	s_wait_dscnt 0x0
	v_add_f32_e32 v7, v11, v7
	ds_bpermute_b32 v11, v1, v7
	s_wait_dscnt 0x0
	v_add_f32_e32 v7, v7, v11
	;; [unrolled: 3-line block ×4, first 2 shown]
	ds_bpermute_b32 v11, v10, v7
	s_and_saveexec_b32 s2, vcc_lo
	s_cbranch_execz .LBB106_9
; %bb.8:
	s_mov_b32 s7, 0
	s_wait_dscnt 0x0
	v_add_f32_e32 v7, v7, v11
	v_mov_b32_e32 v11, 0
	s_wait_alu 0xfffe
	s_lshl_b64 s[4:5], s[6:7], 2
	s_wait_alu 0xfffe
	s_add_nc_u64 s[4:5], s[0:1], s[4:5]
	global_store_b32 v11, v7, s[4:5]
.LBB106_9:
	s_wait_alu 0xfffe
	s_or_b32 exec_lo, exec_lo, s2
	ds_bpermute_b32 v7, v0, v9
	s_wait_dscnt 0x0
	v_add_f32_e32 v7, v9, v7
	ds_bpermute_b32 v9, v1, v7
	s_wait_dscnt 0x0
	v_add_f32_e32 v7, v7, v9
	;; [unrolled: 3-line block ×4, first 2 shown]
	ds_bpermute_b32 v9, v10, v7
	s_and_saveexec_b32 s2, vcc_lo
	s_cbranch_execz .LBB106_11
; %bb.10:
	s_lshl_b32 s4, s6, 1
	s_mov_b32 s5, 0
	s_wait_dscnt 0x0
	v_add_f32_e32 v7, v7, v9
	v_mov_b32_e32 v9, 0
	s_wait_alu 0xfffe
	s_lshl_b64 s[4:5], s[4:5], 2
	s_wait_alu 0xfffe
	s_add_nc_u64 s[4:5], s[0:1], s[4:5]
	global_store_b32 v9, v7, s[4:5]
.LBB106_11:
	s_wait_alu 0xfffe
	s_or_b32 exec_lo, exec_lo, s2
	ds_bpermute_b32 v7, v0, v8
	s_wait_dscnt 0x0
	v_add_f32_e32 v7, v8, v7
	ds_bpermute_b32 v8, v1, v7
	s_wait_dscnt 0x0
	v_add_f32_e32 v7, v7, v8
	;; [unrolled: 3-line block ×4, first 2 shown]
	ds_bpermute_b32 v8, v10, v7
	s_and_saveexec_b32 s2, vcc_lo
	s_cbranch_execz .LBB106_13
; %bb.12:
	s_mul_i32 s4, s6, 3
	s_mov_b32 s5, 0
	s_wait_dscnt 0x0
	v_dual_add_f32 v7, v7, v8 :: v_dual_mov_b32 v8, 0
	s_wait_alu 0xfffe
	s_lshl_b64 s[4:5], s[4:5], 2
	s_wait_alu 0xfffe
	s_add_nc_u64 s[4:5], s[0:1], s[4:5]
	global_store_b32 v8, v7, s[4:5]
.LBB106_13:
	s_wait_alu 0xfffe
	s_or_b32 exec_lo, exec_lo, s2
	ds_bpermute_b32 v7, v0, v6
	s_wait_dscnt 0x0
	v_add_f32_e32 v6, v6, v7
	ds_bpermute_b32 v7, v1, v6
	s_wait_dscnt 0x0
	v_add_f32_e32 v6, v6, v7
	;; [unrolled: 3-line block ×4, first 2 shown]
	ds_bpermute_b32 v7, v10, v6
	s_and_saveexec_b32 s2, vcc_lo
	s_cbranch_execz .LBB106_15
; %bb.14:
	s_lshl_b32 s4, s6, 2
	s_mov_b32 s5, 0
	s_wait_dscnt 0x0
	v_dual_add_f32 v6, v6, v7 :: v_dual_mov_b32 v7, 0
	s_wait_alu 0xfffe
	s_lshl_b64 s[4:5], s[4:5], 2
	s_wait_alu 0xfffe
	s_add_nc_u64 s[4:5], s[0:1], s[4:5]
	global_store_b32 v7, v6, s[4:5]
.LBB106_15:
	s_wait_alu 0xfffe
	s_or_b32 exec_lo, exec_lo, s2
	ds_bpermute_b32 v6, v0, v5
	s_wait_dscnt 0x0
	v_add_f32_e32 v5, v5, v6
	ds_bpermute_b32 v6, v1, v5
	s_wait_dscnt 0x0
	v_add_f32_e32 v5, v5, v6
	;; [unrolled: 3-line block ×4, first 2 shown]
	ds_bpermute_b32 v6, v10, v5
	s_and_saveexec_b32 s2, vcc_lo
	s_cbranch_execz .LBB106_17
; %bb.16:
	s_mul_i32 s4, s6, 5
	s_mov_b32 s5, 0
	s_wait_dscnt 0x0
	v_dual_add_f32 v5, v5, v6 :: v_dual_mov_b32 v6, 0
	s_wait_alu 0xfffe
	s_lshl_b64 s[4:5], s[4:5], 2
	s_wait_alu 0xfffe
	s_add_nc_u64 s[4:5], s[0:1], s[4:5]
	global_store_b32 v6, v5, s[4:5]
.LBB106_17:
	s_wait_alu 0xfffe
	s_or_b32 exec_lo, exec_lo, s2
	ds_bpermute_b32 v0, v0, v4
	s_wait_dscnt 0x0
	v_add_f32_e32 v0, v4, v0
	ds_bpermute_b32 v1, v1, v0
	s_wait_dscnt 0x0
	v_add_f32_e32 v0, v0, v1
	;; [unrolled: 3-line block ×4, first 2 shown]
	ds_bpermute_b32 v1, v10, v0
	s_and_b32 exec_lo, exec_lo, vcc_lo
	s_cbranch_execz .LBB106_19
; %bb.18:
	s_mul_i32 s2, s6, 6
	s_mov_b32 s3, 0
	s_wait_dscnt 0x0
	v_dual_add_f32 v0, v0, v1 :: v_dual_mov_b32 v1, 0
	s_wait_alu 0xfffe
	s_lshl_b64 s[2:3], s[2:3], 2
	s_wait_alu 0xfffe
	s_add_nc_u64 s[0:1], s[0:1], s[2:3]
	global_store_b32 v1, v0, s[0:1]
.LBB106_19:
	s_endpgm
	.section	.rodata,"a",@progbits
	.p2align	6, 0x0
	.amdhsa_kernel _ZL13mul_mat_vec_qIL9ggml_type10ELi7ELb0ELb0EEvPKvS2_PKi31ggml_cuda_mm_fusion_args_devicePfj15HIP_vector_typeIjLj3EEjjjS8_jjjS8_jjjj
		.amdhsa_group_segment_fixed_size 0
		.amdhsa_private_segment_fixed_size 0
		.amdhsa_kernarg_size 144
		.amdhsa_user_sgpr_count 2
		.amdhsa_user_sgpr_dispatch_ptr 0
		.amdhsa_user_sgpr_queue_ptr 0
		.amdhsa_user_sgpr_kernarg_segment_ptr 1
		.amdhsa_user_sgpr_dispatch_id 0
		.amdhsa_user_sgpr_private_segment_size 0
		.amdhsa_wavefront_size32 1
		.amdhsa_uses_dynamic_stack 0
		.amdhsa_enable_private_segment 0
		.amdhsa_system_sgpr_workgroup_id_x 1
		.amdhsa_system_sgpr_workgroup_id_y 1
		.amdhsa_system_sgpr_workgroup_id_z 1
		.amdhsa_system_sgpr_workgroup_info 0
		.amdhsa_system_vgpr_workitem_id 1
		.amdhsa_next_free_vgpr 43
		.amdhsa_next_free_sgpr 28
		.amdhsa_reserve_vcc 1
		.amdhsa_float_round_mode_32 0
		.amdhsa_float_round_mode_16_64 0
		.amdhsa_float_denorm_mode_32 3
		.amdhsa_float_denorm_mode_16_64 3
		.amdhsa_fp16_overflow 0
		.amdhsa_workgroup_processor_mode 1
		.amdhsa_memory_ordered 1
		.amdhsa_forward_progress 1
		.amdhsa_inst_pref_size 38
		.amdhsa_round_robin_scheduling 0
		.amdhsa_exception_fp_ieee_invalid_op 0
		.amdhsa_exception_fp_denorm_src 0
		.amdhsa_exception_fp_ieee_div_zero 0
		.amdhsa_exception_fp_ieee_overflow 0
		.amdhsa_exception_fp_ieee_underflow 0
		.amdhsa_exception_fp_ieee_inexact 0
		.amdhsa_exception_int_div_zero 0
	.end_amdhsa_kernel
	.section	.text._ZL13mul_mat_vec_qIL9ggml_type10ELi7ELb0ELb0EEvPKvS2_PKi31ggml_cuda_mm_fusion_args_devicePfj15HIP_vector_typeIjLj3EEjjjS8_jjjS8_jjjj,"axG",@progbits,_ZL13mul_mat_vec_qIL9ggml_type10ELi7ELb0ELb0EEvPKvS2_PKi31ggml_cuda_mm_fusion_args_devicePfj15HIP_vector_typeIjLj3EEjjjS8_jjjS8_jjjj,comdat
.Lfunc_end106:
	.size	_ZL13mul_mat_vec_qIL9ggml_type10ELi7ELb0ELb0EEvPKvS2_PKi31ggml_cuda_mm_fusion_args_devicePfj15HIP_vector_typeIjLj3EEjjjS8_jjjS8_jjjj, .Lfunc_end106-_ZL13mul_mat_vec_qIL9ggml_type10ELi7ELb0ELb0EEvPKvS2_PKi31ggml_cuda_mm_fusion_args_devicePfj15HIP_vector_typeIjLj3EEjjjS8_jjjS8_jjjj
                                        ; -- End function
	.set _ZL13mul_mat_vec_qIL9ggml_type10ELi7ELb0ELb0EEvPKvS2_PKi31ggml_cuda_mm_fusion_args_devicePfj15HIP_vector_typeIjLj3EEjjjS8_jjjS8_jjjj.num_vgpr, 43
	.set _ZL13mul_mat_vec_qIL9ggml_type10ELi7ELb0ELb0EEvPKvS2_PKi31ggml_cuda_mm_fusion_args_devicePfj15HIP_vector_typeIjLj3EEjjjS8_jjjS8_jjjj.num_agpr, 0
	.set _ZL13mul_mat_vec_qIL9ggml_type10ELi7ELb0ELb0EEvPKvS2_PKi31ggml_cuda_mm_fusion_args_devicePfj15HIP_vector_typeIjLj3EEjjjS8_jjjS8_jjjj.numbered_sgpr, 28
	.set _ZL13mul_mat_vec_qIL9ggml_type10ELi7ELb0ELb0EEvPKvS2_PKi31ggml_cuda_mm_fusion_args_devicePfj15HIP_vector_typeIjLj3EEjjjS8_jjjS8_jjjj.num_named_barrier, 0
	.set _ZL13mul_mat_vec_qIL9ggml_type10ELi7ELb0ELb0EEvPKvS2_PKi31ggml_cuda_mm_fusion_args_devicePfj15HIP_vector_typeIjLj3EEjjjS8_jjjS8_jjjj.private_seg_size, 0
	.set _ZL13mul_mat_vec_qIL9ggml_type10ELi7ELb0ELb0EEvPKvS2_PKi31ggml_cuda_mm_fusion_args_devicePfj15HIP_vector_typeIjLj3EEjjjS8_jjjS8_jjjj.uses_vcc, 1
	.set _ZL13mul_mat_vec_qIL9ggml_type10ELi7ELb0ELb0EEvPKvS2_PKi31ggml_cuda_mm_fusion_args_devicePfj15HIP_vector_typeIjLj3EEjjjS8_jjjS8_jjjj.uses_flat_scratch, 0
	.set _ZL13mul_mat_vec_qIL9ggml_type10ELi7ELb0ELb0EEvPKvS2_PKi31ggml_cuda_mm_fusion_args_devicePfj15HIP_vector_typeIjLj3EEjjjS8_jjjS8_jjjj.has_dyn_sized_stack, 0
	.set _ZL13mul_mat_vec_qIL9ggml_type10ELi7ELb0ELb0EEvPKvS2_PKi31ggml_cuda_mm_fusion_args_devicePfj15HIP_vector_typeIjLj3EEjjjS8_jjjS8_jjjj.has_recursion, 0
	.set _ZL13mul_mat_vec_qIL9ggml_type10ELi7ELb0ELb0EEvPKvS2_PKi31ggml_cuda_mm_fusion_args_devicePfj15HIP_vector_typeIjLj3EEjjjS8_jjjS8_jjjj.has_indirect_call, 0
	.section	.AMDGPU.csdata,"",@progbits
; Kernel info:
; codeLenInByte = 4780
; TotalNumSgprs: 30
; NumVgprs: 43
; ScratchSize: 0
; MemoryBound: 0
; FloatMode: 240
; IeeeMode: 1
; LDSByteSize: 0 bytes/workgroup (compile time only)
; SGPRBlocks: 0
; VGPRBlocks: 5
; NumSGPRsForWavesPerEU: 30
; NumVGPRsForWavesPerEU: 43
; Occupancy: 16
; WaveLimiterHint : 0
; COMPUTE_PGM_RSRC2:SCRATCH_EN: 0
; COMPUTE_PGM_RSRC2:USER_SGPR: 2
; COMPUTE_PGM_RSRC2:TRAP_HANDLER: 0
; COMPUTE_PGM_RSRC2:TGID_X_EN: 1
; COMPUTE_PGM_RSRC2:TGID_Y_EN: 1
; COMPUTE_PGM_RSRC2:TGID_Z_EN: 1
; COMPUTE_PGM_RSRC2:TIDIG_COMP_CNT: 1
	.section	.text._ZL13mul_mat_vec_qIL9ggml_type10ELi8ELb0ELb0EEvPKvS2_PKi31ggml_cuda_mm_fusion_args_devicePfj15HIP_vector_typeIjLj3EEjjjS8_jjjS8_jjjj,"axG",@progbits,_ZL13mul_mat_vec_qIL9ggml_type10ELi8ELb0ELb0EEvPKvS2_PKi31ggml_cuda_mm_fusion_args_devicePfj15HIP_vector_typeIjLj3EEjjjS8_jjjS8_jjjj,comdat
	.globl	_ZL13mul_mat_vec_qIL9ggml_type10ELi8ELb0ELb0EEvPKvS2_PKi31ggml_cuda_mm_fusion_args_devicePfj15HIP_vector_typeIjLj3EEjjjS8_jjjS8_jjjj ; -- Begin function _ZL13mul_mat_vec_qIL9ggml_type10ELi8ELb0ELb0EEvPKvS2_PKi31ggml_cuda_mm_fusion_args_devicePfj15HIP_vector_typeIjLj3EEjjjS8_jjjS8_jjjj
	.p2align	8
	.type	_ZL13mul_mat_vec_qIL9ggml_type10ELi8ELb0ELb0EEvPKvS2_PKi31ggml_cuda_mm_fusion_args_devicePfj15HIP_vector_typeIjLj3EEjjjS8_jjjS8_jjjj,@function
_ZL13mul_mat_vec_qIL9ggml_type10ELi8ELb0ELb0EEvPKvS2_PKi31ggml_cuda_mm_fusion_args_devicePfj15HIP_vector_typeIjLj3EEjjjS8_jjjS8_jjjj: ; @_ZL13mul_mat_vec_qIL9ggml_type10ELi8ELb0ELb0EEvPKvS2_PKi31ggml_cuda_mm_fusion_args_devicePfj15HIP_vector_typeIjLj3EEjjjS8_jjjS8_jjjj
; %bb.0:
	s_clause 0x5
	s_load_b96 s[16:18], s[0:1], 0x80
	s_load_b32 s2, s[0:1], 0x40
	s_load_b128 s[4:7], s[0:1], 0x50
	s_load_b32 s23, s[0:1], 0x60
	s_load_b128 s[8:11], s[0:1], 0x68
	s_load_b32 s24, s[0:1], 0x78
	v_bfe_u32 v11, v0, 10, 10
	v_dual_mov_b32 v4, 0 :: v_dual_and_b32 v7, 0x3ff, v0
	v_dual_mov_b32 v5, 0 :: v_dual_mov_b32 v6, 0
	v_dual_mov_b32 v8, 0 :: v_dual_mov_b32 v9, 0
	s_delay_alu instid0(VALU_DEP_3)
	v_lshl_or_b32 v0, v11, 5, v7
	v_mov_b32_e32 v10, 0
	v_mov_b32_e32 v12, 0
	v_mov_b32_e32 v14, 0
	s_and_b32 s19, ttmp7, 0xffff
	v_lshrrev_b32_e32 v13, 4, v0
	s_lshr_b32 s20, ttmp7, 16
	s_mov_b32 s21, exec_lo
	s_wait_kmcnt 0x0
	s_lshr_b32 s22, s2, 8
	s_delay_alu instid0(SALU_CYCLE_1)
	v_cmpx_gt_u32_e64 s22, v13
	s_cbranch_execz .LBB107_4
; %bb.1:
	s_load_b128 s[12:15], s[0:1], 0x0
	v_lshl_add_u32 v0, v11, 5, v7
	v_bfe_u32 v3, v7, 3, 1
	v_lshrrev_b32_e32 v2, 1, v7
	s_mul_hi_u32 s7, s7, s19
	s_mul_hi_u32 s11, s11, s20
	v_lshrrev_b32_e32 v4, 4, v0
	v_mul_hi_u32_u24_e32 v1, 0x90, v3
	v_mul_u32_u24_e32 v0, 0x90, v3
	s_mul_i32 s2, s17, s20
	s_mov_b32 s3, 0
	s_add_co_i32 s7, s19, s7
	s_add_co_i32 s11, s20, s11
	v_and_b32_e32 v6, 4, v2
	v_mad_co_u64_u32 v[2:3], null, 0x120, v4, v[0:1]
	s_mul_u64 s[26:27], s[2:3], 36
	s_mul_i32 s2, s9, s19
	s_lshr_b32 s7, s7, s23
	s_lshr_b32 s9, s11, s24
	v_dual_mov_b32 v4, 0 :: v_dual_and_b32 v5, 15, v7
	s_mul_u64 s[24:25], s[2:3], 36
	s_mul_i32 s2, s7, s8
	s_mul_i32 s7, s9, s16
	s_wait_kmcnt 0x0
	s_add_nc_u64 s[8:9], s[14:15], s[26:27]
	v_bfe_u32 v8, v7, 2, 1
	s_add_nc_u64 s[8:9], s[8:9], s[24:25]
	v_and_b32_e32 v9, 7, v7
	v_dual_mov_b32 v5, 0 :: v_dual_lshlrev_b32 v18, 2, v5
	v_mad_co_u64_u32 v[0:1], null, v6, 36, s[8:9]
	v_add_co_u32 v2, vcc_lo, s8, v2
	s_mul_i32 s4, s4, ttmp9
	v_and_or_b32 v15, v7, 8, v8
	v_add_co_ci_u32_e64 v3, null, s9, v3, vcc_lo
	v_dual_mov_b32 v8, 0 :: v_dual_lshlrev_b32 v17, 3, v13
	v_mov_b32_e32 v6, 0
	v_lshlrev_b32_e32 v16, 2, v9
	v_dual_mov_b32 v10, 0 :: v_dual_lshlrev_b32 v19, 2, v9
	v_dual_mov_b32 v9, 0 :: v_dual_mov_b32 v12, 0
	v_mov_b32_e32 v14, 0
	s_add_co_i32 s2, s2, s4
	s_lshl_b32 s4, s5, 1
	s_add_co_i32 s2, s7, s2
	s_mul_i32 s7, s5, 3
	s_lshl_b32 s8, s5, 2
	s_mul_i32 s9, s5, 5
	s_mul_i32 s11, s5, 6
	;; [unrolled: 1-line block ×3, first 2 shown]
.LBB107_2:                              ; =>This Inner Loop Header: Depth=1
	v_add_nc_u32_e32 v20, s2, v13
	v_add_nc_u32_e32 v13, 2, v13
	s_delay_alu instid0(VALU_DEP_2) | instskip(NEXT) | instid1(VALU_DEP_1)
	v_mad_co_i64_i32 v[20:21], null, 0x54, v20, s[12:13]
	v_add_co_u32 v22, vcc_lo, v20, v18
	s_wait_alu 0xfffd
	s_delay_alu instid0(VALU_DEP_2)
	v_add_co_ci_u32_e64 v23, null, 0, v21, vcc_lo
	global_load_b32 v24, v[22:23], off offset:16
	v_add_co_u32 v22, vcc_lo, v20, v15
	s_wait_alu 0xfffd
	v_add_co_ci_u32_e64 v23, null, 0, v21, vcc_lo
	s_clause 0x1
	global_load_b32 v20, v[20:21], off offset:80
	global_load_u8 v21, v[22:23], off
	v_add_co_u32 v34, vcc_lo, v2, v16
	s_wait_alu 0xfffd
	v_add_co_ci_u32_e64 v35, null, 0, v3, vcc_lo
	s_wait_loadcnt 0x2
	v_lshrrev_b32_e32 v25, 2, v24
	v_and_b32_e32 v33, 0x3030303, v24
	s_delay_alu instid0(VALU_DEP_2) | instskip(SKIP_4) | instid1(VALU_DEP_3)
	v_and_b32_e32 v29, 0x3030303, v25
	v_lshrrev_b32_e32 v25, 4, v24
	s_wait_loadcnt 0x0
	v_and_b32_e32 v32, 15, v21
	v_lshrrev_b32_e32 v21, 4, v21
	v_and_b32_e32 v26, 0x3030303, v25
	s_delay_alu instid0(VALU_DEP_2) | instskip(SKIP_4) | instid1(VALU_DEP_1)
	v_mul_lo_u32 v31, 0x1010101, v21
	global_load_u8 v21, v[22:23], off offset:2
	s_wait_loadcnt 0x0
	v_and_b32_e32 v30, 15, v21
	v_lshrrev_b32_e32 v21, 4, v21
	v_mul_lo_u32 v28, 0x1010101, v21
	global_load_u8 v21, v[22:23], off offset:4
	s_wait_loadcnt 0x0
	v_and_b32_e32 v27, 15, v21
	v_lshrrev_b32_e32 v21, 4, v21
	s_delay_alu instid0(VALU_DEP_1)
	v_mul_lo_u32 v25, 0x1010101, v21
	global_load_u8 v21, v[22:23], off offset:6
	s_clause 0x7
	global_load_b32 v36, v[34:35], off offset:4
	global_load_b32 v37, v[2:3], off
	global_load_b32 v38, v[34:35], off offset:40
	global_load_b32 v39, v[2:3], off offset:36
	;; [unrolled: 1-line block ×6, first 2 shown]
	v_lshrrev_b32_e32 v22, 6, v24
	s_delay_alu instid0(VALU_DEP_1) | instskip(SKIP_3) | instid1(VALU_DEP_2)
	v_and_b32_e32 v23, 0x3030303, v22
	s_wait_loadcnt 0x7
	v_dot4_i32_iu8 v42, v33, v36, 0 neg_lo:[1,1,0]
	v_dot4_i32_iu8 v36, v31, v36, 0 neg_lo:[1,1,0]
	v_mul_lo_u32 v42, v32, v42
	s_delay_alu instid0(VALU_DEP_2) | instskip(SKIP_3) | instid1(VALU_DEP_3)
	v_cvt_f32_i32_e32 v36, v36
	v_and_b32_e32 v24, 15, v21
	v_lshrrev_b32_e32 v21, 4, v21
	s_wait_loadcnt 0x6
	v_fma_mix_f32 v36, v37, v36, 0 op_sel_hi:[1,0,0]
	v_cvt_f32_i32_e32 v42, v42
	s_delay_alu instid0(VALU_DEP_3) | instskip(SKIP_1) | instid1(VALU_DEP_3)
	v_mul_lo_u32 v22, 0x1010101, v21
	v_lshrrev_b32_e32 v21, 16, v20
	v_fma_mix_f32 v42, v37, v42, 0 op_sel_hi:[1,0,0]
	s_wait_loadcnt 0x5
	v_dot4_i32_iu8 v37, v29, v38, 0 neg_lo:[1,1,0]
	v_dot4_i32_iu8 v38, v28, v38, 0 neg_lo:[1,1,0]
	v_cvt_f32_f16_e32 v21, v21
	s_delay_alu instid0(VALU_DEP_3) | instskip(NEXT) | instid1(VALU_DEP_3)
	v_mul_lo_u32 v37, v30, v37
	v_cvt_f32_i32_e32 v38, v38
	s_wait_loadcnt 0x4
	s_delay_alu instid0(VALU_DEP_1) | instskip(SKIP_2) | instid1(VALU_DEP_4)
	v_fma_mix_f32 v36, v39, v38, v36 op_sel_hi:[1,0,0]
	s_wait_loadcnt 0x3
	v_dot4_i32_iu8 v38, v26, v40, 0 neg_lo:[1,1,0]
	v_cvt_f32_i32_e32 v37, v37
	s_delay_alu instid0(VALU_DEP_2) | instskip(NEXT) | instid1(VALU_DEP_2)
	v_mul_lo_u32 v38, v27, v38
	v_fma_mix_f32 v37, v39, v37, v42 op_sel_hi:[1,0,0]
	s_delay_alu instid0(VALU_DEP_2) | instskip(SKIP_1) | instid1(VALU_DEP_1)
	v_cvt_f32_i32_e32 v38, v38
	s_wait_loadcnt 0x2
	v_fma_mix_f32 v37, v41, v38, v37 op_sel_hi:[1,0,0]
	v_dot4_i32_iu8 v38, v25, v40, 0 neg_lo:[1,1,0]
	s_delay_alu instid0(VALU_DEP_1) | instskip(NEXT) | instid1(VALU_DEP_1)
	v_cvt_f32_i32_e32 v38, v38
	v_fma_mix_f32 v36, v41, v38, v36 op_sel_hi:[1,0,0]
	s_wait_loadcnt 0x1
	v_dot4_i32_iu8 v38, v23, v34, 0 neg_lo:[1,1,0]
	v_dot4_i32_iu8 v34, v22, v34, 0 neg_lo:[1,1,0]
	s_delay_alu instid0(VALU_DEP_2) | instskip(NEXT) | instid1(VALU_DEP_2)
	v_mul_lo_u32 v38, v24, v38
	v_cvt_f32_i32_e32 v34, v34
	s_wait_loadcnt 0x0
	s_delay_alu instid0(VALU_DEP_1) | instskip(NEXT) | instid1(VALU_DEP_3)
	v_fma_mix_f32 v34, v35, v34, v36 op_sel_hi:[1,0,0]
	v_cvt_f32_i32_e32 v38, v38
	s_delay_alu instid0(VALU_DEP_2) | instskip(NEXT) | instid1(VALU_DEP_2)
	v_mul_f32_e32 v34, v34, v21
	v_fma_mix_f32 v37, v35, v38, v37 op_sel_hi:[1,0,0]
	s_delay_alu instid0(VALU_DEP_1) | instskip(NEXT) | instid1(VALU_DEP_1)
	v_fma_mix_f32 v34, v37, v20, -v34 op_sel_hi:[0,1,0]
	v_add_f32_e32 v14, v14, v34
	v_add_nc_u32_e32 v34, s5, v17
	s_delay_alu instid0(VALU_DEP_1) | instskip(NEXT) | instid1(VALU_DEP_1)
	v_mad_co_u64_u32 v[34:35], null, v34, 36, v[0:1]
	v_add_co_u32 v36, vcc_lo, v34, v19
	s_wait_alu 0xfffd
	s_delay_alu instid0(VALU_DEP_2)
	v_add_co_ci_u32_e64 v37, null, 0, v35, vcc_lo
	s_clause 0x7
	global_load_b32 v38, v[36:37], off offset:4
	global_load_b32 v39, v[34:35], off
	global_load_b32 v40, v[36:37], off offset:40
	global_load_b32 v41, v[34:35], off offset:36
	;; [unrolled: 1-line block ×6, first 2 shown]
	s_wait_loadcnt 0x7
	v_dot4_i32_iu8 v35, v33, v38, 0 neg_lo:[1,1,0]
	v_dot4_i32_iu8 v37, v31, v38, 0 neg_lo:[1,1,0]
	s_wait_loadcnt 0x5
	v_dot4_i32_iu8 v38, v29, v40, 0 neg_lo:[1,1,0]
	s_delay_alu instid0(VALU_DEP_3) | instskip(NEXT) | instid1(VALU_DEP_3)
	v_mul_lo_u32 v35, v32, v35
	v_cvt_f32_i32_e32 v37, v37
	s_delay_alu instid0(VALU_DEP_3) | instskip(NEXT) | instid1(VALU_DEP_2)
	v_mul_lo_u32 v38, v30, v38
	v_fma_mix_f32 v37, v39, v37, 0 op_sel_hi:[1,0,0]
	s_delay_alu instid0(VALU_DEP_4) | instskip(NEXT) | instid1(VALU_DEP_3)
	v_cvt_f32_i32_e32 v35, v35
	v_cvt_f32_i32_e32 v38, v38
	s_delay_alu instid0(VALU_DEP_2) | instskip(SKIP_1) | instid1(VALU_DEP_1)
	v_fma_mix_f32 v35, v39, v35, 0 op_sel_hi:[1,0,0]
	s_wait_loadcnt 0x4
	v_fma_mix_f32 v35, v41, v38, v35 op_sel_hi:[1,0,0]
	v_dot4_i32_iu8 v38, v28, v40, 0 neg_lo:[1,1,0]
	s_delay_alu instid0(VALU_DEP_1) | instskip(NEXT) | instid1(VALU_DEP_1)
	v_cvt_f32_i32_e32 v38, v38
	v_fma_mix_f32 v37, v41, v38, v37 op_sel_hi:[1,0,0]
	s_wait_loadcnt 0x3
	v_dot4_i32_iu8 v38, v26, v42, 0 neg_lo:[1,1,0]
	s_delay_alu instid0(VALU_DEP_1) | instskip(NEXT) | instid1(VALU_DEP_1)
	v_mul_lo_u32 v38, v27, v38
	v_cvt_f32_i32_e32 v38, v38
	s_wait_loadcnt 0x2
	s_delay_alu instid0(VALU_DEP_1) | instskip(SKIP_1) | instid1(VALU_DEP_1)
	v_fma_mix_f32 v35, v43, v38, v35 op_sel_hi:[1,0,0]
	v_dot4_i32_iu8 v38, v25, v42, 0 neg_lo:[1,1,0]
	v_cvt_f32_i32_e32 v38, v38
	s_delay_alu instid0(VALU_DEP_1) | instskip(SKIP_3) | instid1(VALU_DEP_2)
	v_fma_mix_f32 v37, v43, v38, v37 op_sel_hi:[1,0,0]
	s_wait_loadcnt 0x1
	v_dot4_i32_iu8 v38, v23, v36, 0 neg_lo:[1,1,0]
	v_dot4_i32_iu8 v36, v22, v36, 0 neg_lo:[1,1,0]
	v_mul_lo_u32 v38, v24, v38
	s_delay_alu instid0(VALU_DEP_2) | instskip(NEXT) | instid1(VALU_DEP_2)
	v_cvt_f32_i32_e32 v36, v36
	v_cvt_f32_i32_e32 v38, v38
	s_wait_loadcnt 0x0
	s_delay_alu instid0(VALU_DEP_1) | instskip(NEXT) | instid1(VALU_DEP_3)
	v_fma_mix_f32 v35, v34, v38, v35 op_sel_hi:[1,0,0]
	v_fma_mix_f32 v34, v34, v36, v37 op_sel_hi:[1,0,0]
	s_delay_alu instid0(VALU_DEP_1) | instskip(NEXT) | instid1(VALU_DEP_1)
	v_mul_f32_e32 v34, v34, v21
	v_fma_mix_f32 v34, v35, v20, -v34 op_sel_hi:[0,1,0]
	s_delay_alu instid0(VALU_DEP_1) | instskip(SKIP_1) | instid1(VALU_DEP_1)
	v_add_f32_e32 v12, v12, v34
	v_add_nc_u32_e32 v34, s4, v17
	v_mad_co_u64_u32 v[34:35], null, v34, 36, v[0:1]
	s_delay_alu instid0(VALU_DEP_1) | instskip(SKIP_1) | instid1(VALU_DEP_2)
	v_add_co_u32 v36, vcc_lo, v34, v19
	s_wait_alu 0xfffd
	v_add_co_ci_u32_e64 v37, null, 0, v35, vcc_lo
	s_clause 0x7
	global_load_b32 v38, v[36:37], off offset:4
	global_load_b32 v39, v[34:35], off
	global_load_b32 v40, v[36:37], off offset:40
	global_load_b32 v41, v[34:35], off offset:36
	;; [unrolled: 1-line block ×6, first 2 shown]
	s_wait_loadcnt 0x7
	v_dot4_i32_iu8 v35, v33, v38, 0 neg_lo:[1,1,0]
	v_dot4_i32_iu8 v37, v31, v38, 0 neg_lo:[1,1,0]
	s_wait_loadcnt 0x5
	v_dot4_i32_iu8 v38, v29, v40, 0 neg_lo:[1,1,0]
	s_delay_alu instid0(VALU_DEP_3) | instskip(NEXT) | instid1(VALU_DEP_3)
	v_mul_lo_u32 v35, v32, v35
	v_cvt_f32_i32_e32 v37, v37
	s_delay_alu instid0(VALU_DEP_3) | instskip(NEXT) | instid1(VALU_DEP_2)
	v_mul_lo_u32 v38, v30, v38
	v_fma_mix_f32 v37, v39, v37, 0 op_sel_hi:[1,0,0]
	s_delay_alu instid0(VALU_DEP_4) | instskip(NEXT) | instid1(VALU_DEP_3)
	v_cvt_f32_i32_e32 v35, v35
	v_cvt_f32_i32_e32 v38, v38
	s_delay_alu instid0(VALU_DEP_2) | instskip(SKIP_1) | instid1(VALU_DEP_1)
	v_fma_mix_f32 v35, v39, v35, 0 op_sel_hi:[1,0,0]
	s_wait_loadcnt 0x4
	v_fma_mix_f32 v35, v41, v38, v35 op_sel_hi:[1,0,0]
	v_dot4_i32_iu8 v38, v28, v40, 0 neg_lo:[1,1,0]
	s_delay_alu instid0(VALU_DEP_1) | instskip(NEXT) | instid1(VALU_DEP_1)
	v_cvt_f32_i32_e32 v38, v38
	v_fma_mix_f32 v37, v41, v38, v37 op_sel_hi:[1,0,0]
	s_wait_loadcnt 0x3
	v_dot4_i32_iu8 v38, v26, v42, 0 neg_lo:[1,1,0]
	s_delay_alu instid0(VALU_DEP_1) | instskip(NEXT) | instid1(VALU_DEP_1)
	v_mul_lo_u32 v38, v27, v38
	v_cvt_f32_i32_e32 v38, v38
	s_wait_loadcnt 0x2
	s_delay_alu instid0(VALU_DEP_1) | instskip(SKIP_1) | instid1(VALU_DEP_1)
	v_fma_mix_f32 v35, v43, v38, v35 op_sel_hi:[1,0,0]
	v_dot4_i32_iu8 v38, v25, v42, 0 neg_lo:[1,1,0]
	v_cvt_f32_i32_e32 v38, v38
	s_delay_alu instid0(VALU_DEP_1) | instskip(SKIP_3) | instid1(VALU_DEP_2)
	v_fma_mix_f32 v37, v43, v38, v37 op_sel_hi:[1,0,0]
	s_wait_loadcnt 0x1
	v_dot4_i32_iu8 v38, v23, v36, 0 neg_lo:[1,1,0]
	v_dot4_i32_iu8 v36, v22, v36, 0 neg_lo:[1,1,0]
	v_mul_lo_u32 v38, v24, v38
	s_delay_alu instid0(VALU_DEP_2) | instskip(NEXT) | instid1(VALU_DEP_2)
	v_cvt_f32_i32_e32 v36, v36
	v_cvt_f32_i32_e32 v38, v38
	s_wait_loadcnt 0x0
	s_delay_alu instid0(VALU_DEP_1) | instskip(NEXT) | instid1(VALU_DEP_3)
	v_fma_mix_f32 v35, v34, v38, v35 op_sel_hi:[1,0,0]
	v_fma_mix_f32 v34, v34, v36, v37 op_sel_hi:[1,0,0]
	s_delay_alu instid0(VALU_DEP_1) | instskip(NEXT) | instid1(VALU_DEP_1)
	v_mul_f32_e32 v34, v34, v21
	v_fma_mix_f32 v34, v35, v20, -v34 op_sel_hi:[0,1,0]
	s_delay_alu instid0(VALU_DEP_1) | instskip(SKIP_1) | instid1(VALU_DEP_1)
	v_add_f32_e32 v10, v10, v34
	v_add_nc_u32_e32 v34, s7, v17
	v_mad_co_u64_u32 v[34:35], null, v34, 36, v[0:1]
	s_delay_alu instid0(VALU_DEP_1) | instskip(SKIP_1) | instid1(VALU_DEP_2)
	v_add_co_u32 v36, vcc_lo, v34, v19
	s_wait_alu 0xfffd
	v_add_co_ci_u32_e64 v37, null, 0, v35, vcc_lo
	s_clause 0x7
	global_load_b32 v38, v[36:37], off offset:4
	global_load_b32 v39, v[34:35], off
	global_load_b32 v40, v[36:37], off offset:40
	global_load_b32 v41, v[34:35], off offset:36
	;; [unrolled: 1-line block ×6, first 2 shown]
	s_wait_loadcnt 0x7
	v_dot4_i32_iu8 v35, v33, v38, 0 neg_lo:[1,1,0]
	v_dot4_i32_iu8 v37, v31, v38, 0 neg_lo:[1,1,0]
	s_wait_loadcnt 0x5
	v_dot4_i32_iu8 v38, v29, v40, 0 neg_lo:[1,1,0]
	s_delay_alu instid0(VALU_DEP_3) | instskip(NEXT) | instid1(VALU_DEP_3)
	v_mul_lo_u32 v35, v32, v35
	v_cvt_f32_i32_e32 v37, v37
	s_delay_alu instid0(VALU_DEP_3) | instskip(NEXT) | instid1(VALU_DEP_2)
	v_mul_lo_u32 v38, v30, v38
	v_fma_mix_f32 v37, v39, v37, 0 op_sel_hi:[1,0,0]
	s_delay_alu instid0(VALU_DEP_4) | instskip(NEXT) | instid1(VALU_DEP_3)
	v_cvt_f32_i32_e32 v35, v35
	v_cvt_f32_i32_e32 v38, v38
	s_delay_alu instid0(VALU_DEP_2) | instskip(SKIP_1) | instid1(VALU_DEP_1)
	v_fma_mix_f32 v35, v39, v35, 0 op_sel_hi:[1,0,0]
	s_wait_loadcnt 0x4
	v_fma_mix_f32 v35, v41, v38, v35 op_sel_hi:[1,0,0]
	v_dot4_i32_iu8 v38, v28, v40, 0 neg_lo:[1,1,0]
	s_delay_alu instid0(VALU_DEP_1) | instskip(NEXT) | instid1(VALU_DEP_1)
	v_cvt_f32_i32_e32 v38, v38
	v_fma_mix_f32 v37, v41, v38, v37 op_sel_hi:[1,0,0]
	s_wait_loadcnt 0x3
	v_dot4_i32_iu8 v38, v26, v42, 0 neg_lo:[1,1,0]
	s_delay_alu instid0(VALU_DEP_1) | instskip(NEXT) | instid1(VALU_DEP_1)
	v_mul_lo_u32 v38, v27, v38
	v_cvt_f32_i32_e32 v38, v38
	s_wait_loadcnt 0x2
	s_delay_alu instid0(VALU_DEP_1) | instskip(SKIP_1) | instid1(VALU_DEP_1)
	v_fma_mix_f32 v35, v43, v38, v35 op_sel_hi:[1,0,0]
	v_dot4_i32_iu8 v38, v25, v42, 0 neg_lo:[1,1,0]
	v_cvt_f32_i32_e32 v38, v38
	s_delay_alu instid0(VALU_DEP_1) | instskip(SKIP_3) | instid1(VALU_DEP_2)
	v_fma_mix_f32 v37, v43, v38, v37 op_sel_hi:[1,0,0]
	s_wait_loadcnt 0x1
	v_dot4_i32_iu8 v38, v23, v36, 0 neg_lo:[1,1,0]
	v_dot4_i32_iu8 v36, v22, v36, 0 neg_lo:[1,1,0]
	v_mul_lo_u32 v38, v24, v38
	s_delay_alu instid0(VALU_DEP_2) | instskip(NEXT) | instid1(VALU_DEP_2)
	v_cvt_f32_i32_e32 v36, v36
	v_cvt_f32_i32_e32 v38, v38
	s_wait_loadcnt 0x0
	s_delay_alu instid0(VALU_DEP_1) | instskip(NEXT) | instid1(VALU_DEP_3)
	v_fma_mix_f32 v35, v34, v38, v35 op_sel_hi:[1,0,0]
	v_fma_mix_f32 v34, v34, v36, v37 op_sel_hi:[1,0,0]
	s_delay_alu instid0(VALU_DEP_1) | instskip(NEXT) | instid1(VALU_DEP_1)
	v_mul_f32_e32 v34, v34, v21
	v_fma_mix_f32 v34, v35, v20, -v34 op_sel_hi:[0,1,0]
	s_wait_alu 0xfffe
	s_delay_alu instid0(VALU_DEP_1) | instskip(NEXT) | instid1(VALU_DEP_1)
	v_dual_add_f32 v9, v9, v34 :: v_dual_add_nc_u32 v34, s8, v17
	v_mad_co_u64_u32 v[34:35], null, v34, 36, v[0:1]
	s_delay_alu instid0(VALU_DEP_1) | instskip(SKIP_1) | instid1(VALU_DEP_2)
	v_add_co_u32 v36, vcc_lo, v34, v19
	s_wait_alu 0xfffd
	v_add_co_ci_u32_e64 v37, null, 0, v35, vcc_lo
	s_clause 0x7
	global_load_b32 v38, v[36:37], off offset:4
	global_load_b32 v39, v[34:35], off
	global_load_b32 v40, v[36:37], off offset:40
	global_load_b32 v41, v[34:35], off offset:36
	global_load_b32 v42, v[36:37], off offset:76
	global_load_b32 v43, v[34:35], off offset:72
	global_load_b32 v36, v[36:37], off offset:112
	global_load_b32 v34, v[34:35], off offset:108
	s_wait_loadcnt 0x7
	v_dot4_i32_iu8 v35, v33, v38, 0 neg_lo:[1,1,0]
	v_dot4_i32_iu8 v37, v31, v38, 0 neg_lo:[1,1,0]
	s_wait_loadcnt 0x5
	v_dot4_i32_iu8 v38, v29, v40, 0 neg_lo:[1,1,0]
	s_delay_alu instid0(VALU_DEP_3) | instskip(NEXT) | instid1(VALU_DEP_3)
	v_mul_lo_u32 v35, v32, v35
	v_cvt_f32_i32_e32 v37, v37
	s_delay_alu instid0(VALU_DEP_3) | instskip(NEXT) | instid1(VALU_DEP_2)
	v_mul_lo_u32 v38, v30, v38
	v_fma_mix_f32 v37, v39, v37, 0 op_sel_hi:[1,0,0]
	s_delay_alu instid0(VALU_DEP_4) | instskip(NEXT) | instid1(VALU_DEP_3)
	v_cvt_f32_i32_e32 v35, v35
	v_cvt_f32_i32_e32 v38, v38
	s_delay_alu instid0(VALU_DEP_2) | instskip(SKIP_1) | instid1(VALU_DEP_1)
	v_fma_mix_f32 v35, v39, v35, 0 op_sel_hi:[1,0,0]
	s_wait_loadcnt 0x4
	v_fma_mix_f32 v35, v41, v38, v35 op_sel_hi:[1,0,0]
	v_dot4_i32_iu8 v38, v28, v40, 0 neg_lo:[1,1,0]
	s_delay_alu instid0(VALU_DEP_1) | instskip(NEXT) | instid1(VALU_DEP_1)
	v_cvt_f32_i32_e32 v38, v38
	v_fma_mix_f32 v37, v41, v38, v37 op_sel_hi:[1,0,0]
	s_wait_loadcnt 0x3
	v_dot4_i32_iu8 v38, v26, v42, 0 neg_lo:[1,1,0]
	s_delay_alu instid0(VALU_DEP_1) | instskip(NEXT) | instid1(VALU_DEP_1)
	v_mul_lo_u32 v38, v27, v38
	v_cvt_f32_i32_e32 v38, v38
	s_wait_loadcnt 0x2
	s_delay_alu instid0(VALU_DEP_1) | instskip(SKIP_1) | instid1(VALU_DEP_1)
	v_fma_mix_f32 v35, v43, v38, v35 op_sel_hi:[1,0,0]
	v_dot4_i32_iu8 v38, v25, v42, 0 neg_lo:[1,1,0]
	v_cvt_f32_i32_e32 v38, v38
	s_delay_alu instid0(VALU_DEP_1) | instskip(SKIP_3) | instid1(VALU_DEP_2)
	v_fma_mix_f32 v37, v43, v38, v37 op_sel_hi:[1,0,0]
	s_wait_loadcnt 0x1
	v_dot4_i32_iu8 v38, v23, v36, 0 neg_lo:[1,1,0]
	v_dot4_i32_iu8 v36, v22, v36, 0 neg_lo:[1,1,0]
	v_mul_lo_u32 v38, v24, v38
	s_delay_alu instid0(VALU_DEP_2) | instskip(NEXT) | instid1(VALU_DEP_2)
	v_cvt_f32_i32_e32 v36, v36
	v_cvt_f32_i32_e32 v38, v38
	s_wait_loadcnt 0x0
	s_delay_alu instid0(VALU_DEP_1) | instskip(NEXT) | instid1(VALU_DEP_3)
	v_fma_mix_f32 v35, v34, v38, v35 op_sel_hi:[1,0,0]
	v_fma_mix_f32 v34, v34, v36, v37 op_sel_hi:[1,0,0]
	s_delay_alu instid0(VALU_DEP_1) | instskip(NEXT) | instid1(VALU_DEP_1)
	v_mul_f32_e32 v34, v34, v21
	v_fma_mix_f32 v34, v35, v20, -v34 op_sel_hi:[0,1,0]
	s_delay_alu instid0(VALU_DEP_1) | instskip(SKIP_1) | instid1(VALU_DEP_1)
	v_add_f32_e32 v8, v8, v34
	v_add_nc_u32_e32 v34, s9, v17
	v_mad_co_u64_u32 v[34:35], null, v34, 36, v[0:1]
	s_delay_alu instid0(VALU_DEP_1) | instskip(SKIP_1) | instid1(VALU_DEP_2)
	v_add_co_u32 v36, vcc_lo, v34, v19
	s_wait_alu 0xfffd
	v_add_co_ci_u32_e64 v37, null, 0, v35, vcc_lo
	s_clause 0x7
	global_load_b32 v38, v[36:37], off offset:4
	global_load_b32 v39, v[34:35], off
	global_load_b32 v40, v[36:37], off offset:40
	global_load_b32 v41, v[34:35], off offset:36
	global_load_b32 v42, v[36:37], off offset:76
	global_load_b32 v43, v[34:35], off offset:72
	global_load_b32 v36, v[36:37], off offset:112
	global_load_b32 v34, v[34:35], off offset:108
	s_wait_loadcnt 0x7
	v_dot4_i32_iu8 v35, v33, v38, 0 neg_lo:[1,1,0]
	v_dot4_i32_iu8 v37, v31, v38, 0 neg_lo:[1,1,0]
	s_wait_loadcnt 0x5
	v_dot4_i32_iu8 v38, v29, v40, 0 neg_lo:[1,1,0]
	s_delay_alu instid0(VALU_DEP_3) | instskip(NEXT) | instid1(VALU_DEP_3)
	v_mul_lo_u32 v35, v32, v35
	v_cvt_f32_i32_e32 v37, v37
	s_delay_alu instid0(VALU_DEP_3) | instskip(NEXT) | instid1(VALU_DEP_2)
	v_mul_lo_u32 v38, v30, v38
	v_fma_mix_f32 v37, v39, v37, 0 op_sel_hi:[1,0,0]
	s_delay_alu instid0(VALU_DEP_4) | instskip(NEXT) | instid1(VALU_DEP_3)
	v_cvt_f32_i32_e32 v35, v35
	v_cvt_f32_i32_e32 v38, v38
	s_delay_alu instid0(VALU_DEP_2) | instskip(SKIP_1) | instid1(VALU_DEP_1)
	v_fma_mix_f32 v35, v39, v35, 0 op_sel_hi:[1,0,0]
	s_wait_loadcnt 0x4
	v_fma_mix_f32 v35, v41, v38, v35 op_sel_hi:[1,0,0]
	v_dot4_i32_iu8 v38, v28, v40, 0 neg_lo:[1,1,0]
	s_delay_alu instid0(VALU_DEP_1) | instskip(NEXT) | instid1(VALU_DEP_1)
	v_cvt_f32_i32_e32 v38, v38
	v_fma_mix_f32 v37, v41, v38, v37 op_sel_hi:[1,0,0]
	s_wait_loadcnt 0x3
	v_dot4_i32_iu8 v38, v26, v42, 0 neg_lo:[1,1,0]
	s_delay_alu instid0(VALU_DEP_1) | instskip(NEXT) | instid1(VALU_DEP_1)
	v_mul_lo_u32 v38, v27, v38
	v_cvt_f32_i32_e32 v38, v38
	s_wait_loadcnt 0x2
	s_delay_alu instid0(VALU_DEP_1) | instskip(SKIP_1) | instid1(VALU_DEP_1)
	v_fma_mix_f32 v35, v43, v38, v35 op_sel_hi:[1,0,0]
	v_dot4_i32_iu8 v38, v25, v42, 0 neg_lo:[1,1,0]
	v_cvt_f32_i32_e32 v38, v38
	s_delay_alu instid0(VALU_DEP_1) | instskip(SKIP_3) | instid1(VALU_DEP_2)
	v_fma_mix_f32 v37, v43, v38, v37 op_sel_hi:[1,0,0]
	s_wait_loadcnt 0x1
	v_dot4_i32_iu8 v38, v23, v36, 0 neg_lo:[1,1,0]
	v_dot4_i32_iu8 v36, v22, v36, 0 neg_lo:[1,1,0]
	v_mul_lo_u32 v38, v24, v38
	s_delay_alu instid0(VALU_DEP_2) | instskip(NEXT) | instid1(VALU_DEP_2)
	v_cvt_f32_i32_e32 v36, v36
	v_cvt_f32_i32_e32 v38, v38
	s_wait_loadcnt 0x0
	s_delay_alu instid0(VALU_DEP_1) | instskip(NEXT) | instid1(VALU_DEP_3)
	v_fma_mix_f32 v35, v34, v38, v35 op_sel_hi:[1,0,0]
	v_fma_mix_f32 v34, v34, v36, v37 op_sel_hi:[1,0,0]
	s_delay_alu instid0(VALU_DEP_1) | instskip(NEXT) | instid1(VALU_DEP_1)
	v_mul_f32_e32 v34, v34, v21
	v_fma_mix_f32 v34, v35, v20, -v34 op_sel_hi:[0,1,0]
	s_delay_alu instid0(VALU_DEP_1) | instskip(SKIP_1) | instid1(VALU_DEP_1)
	v_add_f32_e32 v6, v6, v34
	v_add_nc_u32_e32 v34, s11, v17
	v_mad_co_u64_u32 v[34:35], null, v34, 36, v[0:1]
	s_delay_alu instid0(VALU_DEP_1) | instskip(SKIP_1) | instid1(VALU_DEP_2)
	v_add_co_u32 v36, vcc_lo, v34, v19
	s_wait_alu 0xfffd
	v_add_co_ci_u32_e64 v37, null, 0, v35, vcc_lo
	s_clause 0x7
	global_load_b32 v38, v[36:37], off offset:4
	global_load_b32 v39, v[34:35], off
	global_load_b32 v40, v[36:37], off offset:40
	global_load_b32 v41, v[34:35], off offset:36
	;; [unrolled: 1-line block ×6, first 2 shown]
	s_wait_loadcnt 0x7
	v_dot4_i32_iu8 v35, v33, v38, 0 neg_lo:[1,1,0]
	v_dot4_i32_iu8 v37, v31, v38, 0 neg_lo:[1,1,0]
	s_wait_loadcnt 0x5
	v_dot4_i32_iu8 v38, v29, v40, 0 neg_lo:[1,1,0]
	s_delay_alu instid0(VALU_DEP_3) | instskip(NEXT) | instid1(VALU_DEP_3)
	v_mul_lo_u32 v35, v32, v35
	v_cvt_f32_i32_e32 v37, v37
	s_delay_alu instid0(VALU_DEP_3) | instskip(NEXT) | instid1(VALU_DEP_2)
	v_mul_lo_u32 v38, v30, v38
	v_fma_mix_f32 v37, v39, v37, 0 op_sel_hi:[1,0,0]
	s_delay_alu instid0(VALU_DEP_4) | instskip(NEXT) | instid1(VALU_DEP_3)
	v_cvt_f32_i32_e32 v35, v35
	v_cvt_f32_i32_e32 v38, v38
	s_delay_alu instid0(VALU_DEP_2) | instskip(SKIP_1) | instid1(VALU_DEP_1)
	v_fma_mix_f32 v35, v39, v35, 0 op_sel_hi:[1,0,0]
	s_wait_loadcnt 0x4
	v_fma_mix_f32 v35, v41, v38, v35 op_sel_hi:[1,0,0]
	v_dot4_i32_iu8 v38, v28, v40, 0 neg_lo:[1,1,0]
	s_delay_alu instid0(VALU_DEP_1) | instskip(NEXT) | instid1(VALU_DEP_1)
	v_cvt_f32_i32_e32 v38, v38
	v_fma_mix_f32 v37, v41, v38, v37 op_sel_hi:[1,0,0]
	s_wait_loadcnt 0x3
	v_dot4_i32_iu8 v38, v26, v42, 0 neg_lo:[1,1,0]
	s_delay_alu instid0(VALU_DEP_1) | instskip(NEXT) | instid1(VALU_DEP_1)
	v_mul_lo_u32 v38, v27, v38
	v_cvt_f32_i32_e32 v38, v38
	s_wait_loadcnt 0x2
	s_delay_alu instid0(VALU_DEP_1) | instskip(SKIP_1) | instid1(VALU_DEP_1)
	v_fma_mix_f32 v35, v43, v38, v35 op_sel_hi:[1,0,0]
	v_dot4_i32_iu8 v38, v25, v42, 0 neg_lo:[1,1,0]
	v_cvt_f32_i32_e32 v38, v38
	s_delay_alu instid0(VALU_DEP_1) | instskip(SKIP_3) | instid1(VALU_DEP_2)
	v_fma_mix_f32 v37, v43, v38, v37 op_sel_hi:[1,0,0]
	s_wait_loadcnt 0x1
	v_dot4_i32_iu8 v38, v23, v36, 0 neg_lo:[1,1,0]
	v_dot4_i32_iu8 v36, v22, v36, 0 neg_lo:[1,1,0]
	v_mul_lo_u32 v38, v24, v38
	s_delay_alu instid0(VALU_DEP_2) | instskip(NEXT) | instid1(VALU_DEP_2)
	v_cvt_f32_i32_e32 v36, v36
	v_cvt_f32_i32_e32 v38, v38
	s_wait_loadcnt 0x0
	s_delay_alu instid0(VALU_DEP_1) | instskip(NEXT) | instid1(VALU_DEP_3)
	v_fma_mix_f32 v35, v34, v38, v35 op_sel_hi:[1,0,0]
	v_fma_mix_f32 v34, v34, v36, v37 op_sel_hi:[1,0,0]
	s_delay_alu instid0(VALU_DEP_1) | instskip(NEXT) | instid1(VALU_DEP_1)
	v_mul_f32_e32 v34, v34, v21
	v_fma_mix_f32 v34, v35, v20, -v34 op_sel_hi:[0,1,0]
	s_delay_alu instid0(VALU_DEP_1) | instskip(SKIP_1) | instid1(VALU_DEP_2)
	v_dual_add_f32 v5, v5, v34 :: v_dual_add_nc_u32 v34, s14, v17
	v_add_nc_u32_e32 v17, 16, v17
	v_mad_co_u64_u32 v[34:35], null, v34, 36, v[0:1]
	s_delay_alu instid0(VALU_DEP_1) | instskip(SKIP_1) | instid1(VALU_DEP_2)
	v_add_co_u32 v36, vcc_lo, v34, v19
	s_wait_alu 0xfffd
	v_add_co_ci_u32_e64 v37, null, 0, v35, vcc_lo
	s_clause 0x7
	global_load_b32 v38, v[36:37], off offset:4
	global_load_b32 v39, v[34:35], off
	global_load_b32 v40, v[36:37], off offset:40
	global_load_b32 v41, v[34:35], off offset:36
	;; [unrolled: 1-line block ×6, first 2 shown]
	v_add_co_u32 v2, vcc_lo, 0x240, v2
	s_wait_alu 0xfffd
	v_add_co_ci_u32_e64 v3, null, 0, v3, vcc_lo
	v_cmp_le_u32_e32 vcc_lo, s22, v13
	s_or_b32 s3, vcc_lo, s3
	s_wait_loadcnt 0x7
	v_dot4_i32_iu8 v33, v33, v38, 0 neg_lo:[1,1,0]
	v_dot4_i32_iu8 v31, v31, v38, 0 neg_lo:[1,1,0]
	s_wait_loadcnt 0x5
	v_dot4_i32_iu8 v29, v29, v40, 0 neg_lo:[1,1,0]
	v_dot4_i32_iu8 v28, v28, v40, 0 neg_lo:[1,1,0]
	s_wait_loadcnt 0x3
	v_dot4_i32_iu8 v26, v26, v42, 0 neg_lo:[1,1,0]
	v_mul_lo_u32 v32, v32, v33
	v_cvt_f32_i32_e32 v31, v31
	v_mul_lo_u32 v29, v30, v29
	v_cvt_f32_i32_e32 v28, v28
	v_dot4_i32_iu8 v25, v25, v42, 0 neg_lo:[1,1,0]
	v_mul_lo_u32 v26, v27, v26
	v_fma_mix_f32 v31, v39, v31, 0 op_sel_hi:[1,0,0]
	s_wait_loadcnt 0x1
	v_dot4_i32_iu8 v23, v23, v36, 0 neg_lo:[1,1,0]
	v_cvt_f32_i32_e32 v32, v32
	v_cvt_f32_i32_e32 v25, v25
	;; [unrolled: 1-line block ×3, first 2 shown]
	v_fma_mix_f32 v28, v41, v28, v31 op_sel_hi:[1,0,0]
	v_dot4_i32_iu8 v22, v22, v36, 0 neg_lo:[1,1,0]
	v_fma_mix_f32 v32, v39, v32, 0 op_sel_hi:[1,0,0]
	v_mul_lo_u32 v23, v24, v23
	v_cvt_f32_i32_e32 v26, v26
	v_fma_mix_f32 v25, v43, v25, v28 op_sel_hi:[1,0,0]
	v_cvt_f32_i32_e32 v22, v22
	v_fma_mix_f32 v29, v41, v29, v32 op_sel_hi:[1,0,0]
	v_cvt_f32_i32_e32 v23, v23
	s_delay_alu instid0(VALU_DEP_2) | instskip(SKIP_2) | instid1(VALU_DEP_2)
	v_fma_mix_f32 v26, v43, v26, v29 op_sel_hi:[1,0,0]
	s_wait_loadcnt 0x0
	v_fma_mix_f32 v22, v34, v22, v25 op_sel_hi:[1,0,0]
	v_fma_mix_f32 v23, v34, v23, v26 op_sel_hi:[1,0,0]
	s_delay_alu instid0(VALU_DEP_2) | instskip(NEXT) | instid1(VALU_DEP_1)
	v_mul_f32_e32 v21, v22, v21
	v_fma_mix_f32 v20, v23, v20, -v21 op_sel_hi:[0,1,0]
	s_delay_alu instid0(VALU_DEP_1)
	v_add_f32_e32 v4, v4, v20
	s_wait_alu 0xfffe
	s_and_not1_b32 exec_lo, exec_lo, s3
	s_cbranch_execnz .LBB107_2
; %bb.3:
	s_or_b32 exec_lo, exec_lo, s3
.LBB107_4:
	s_delay_alu instid0(SALU_CYCLE_1)
	s_or_b32 exec_lo, exec_lo, s21
	s_mov_b32 s3, 0
	; wave barrier
	global_inv scope:SCOPE_SE
	s_mov_b32 s2, exec_lo
	v_cmpx_eq_u32_e32 0, v11
	s_cbranch_execz .LBB107_21
; %bb.5:
	v_mbcnt_lo_u32_b32 v11, -1, 0
	s_load_b64 s[0:1], s[0:1], 0x38
	s_mul_i32 s2, s10, s19
	s_mul_i32 s4, s18, s20
	s_wait_alu 0xfffe
	s_add_co_i32 s2, s2, ttmp9
	v_xor_b32_e32 v0, 16, v11
	v_xor_b32_e32 v1, 8, v11
	;; [unrolled: 1-line block ×3, first 2 shown]
	s_wait_alu 0xfffe
	s_add_co_i32 s2, s2, s4
	s_wait_alu 0xfffe
	s_lshl_b64 s[2:3], s[2:3], 2
	v_cmp_gt_i32_e32 vcc_lo, 32, v0
	s_wait_alu 0xfffd
	v_cndmask_b32_e32 v0, v11, v0, vcc_lo
	v_cmp_gt_i32_e32 vcc_lo, 32, v1
	s_wait_kmcnt 0x0
	s_wait_alu 0xfffe
	s_add_nc_u64 s[0:1], s[0:1], s[2:3]
	s_wait_alu 0xfffd
	v_cndmask_b32_e32 v1, v11, v1, vcc_lo
	s_delay_alu instid0(VALU_DEP_1)
	v_lshlrev_b32_e32 v1, 2, v1
	v_lshlrev_b32_e32 v0, 2, v0
	ds_bpermute_b32 v2, v0, v14
	s_wait_dscnt 0x0
	v_add_f32_e32 v3, v14, v2
	v_xor_b32_e32 v2, 4, v11
	ds_bpermute_b32 v13, v1, v3
	v_cmp_gt_i32_e32 vcc_lo, 32, v2
	s_wait_alu 0xfffd
	v_cndmask_b32_e32 v2, v11, v2, vcc_lo
	s_wait_dscnt 0x0
	v_add_f32_e32 v13, v3, v13
	v_xor_b32_e32 v3, 2, v11
	s_delay_alu instid0(VALU_DEP_1) | instskip(SKIP_3) | instid1(VALU_DEP_2)
	v_cmp_gt_i32_e32 vcc_lo, 32, v3
	s_wait_alu 0xfffd
	v_cndmask_b32_e32 v3, v11, v3, vcc_lo
	v_cmp_gt_i32_e32 vcc_lo, 32, v15
	v_lshlrev_b32_e32 v3, 2, v3
	s_wait_alu 0xfffd
	v_dual_cndmask_b32 v11, v11, v15 :: v_dual_lshlrev_b32 v2, 2, v2
	v_cmp_eq_u32_e32 vcc_lo, 0, v7
	ds_bpermute_b32 v14, v2, v13
	v_lshlrev_b32_e32 v11, 2, v11
	s_wait_dscnt 0x0
	v_add_f32_e32 v13, v13, v14
	ds_bpermute_b32 v14, v3, v13
	s_wait_dscnt 0x0
	v_add_f32_e32 v13, v13, v14
	ds_bpermute_b32 v14, v11, v13
	s_and_saveexec_b32 s2, vcc_lo
	s_cbranch_execz .LBB107_7
; %bb.6:
	s_wait_dscnt 0x0
	v_add_f32_e32 v7, v13, v14
	v_mov_b32_e32 v13, 0
	global_store_b32 v13, v7, s[0:1]
.LBB107_7:
	s_wait_alu 0xfffe
	s_or_b32 exec_lo, exec_lo, s2
	ds_bpermute_b32 v7, v0, v12
	s_wait_dscnt 0x0
	v_add_f32_e32 v7, v12, v7
	ds_bpermute_b32 v12, v1, v7
	s_wait_dscnt 0x0
	v_add_f32_e32 v7, v7, v12
	;; [unrolled: 3-line block ×4, first 2 shown]
	ds_bpermute_b32 v12, v11, v7
	s_and_saveexec_b32 s2, vcc_lo
	s_cbranch_execz .LBB107_9
; %bb.8:
	s_mov_b32 s7, 0
	s_wait_dscnt 0x0
	v_dual_add_f32 v7, v7, v12 :: v_dual_mov_b32 v12, 0
	s_wait_alu 0xfffe
	s_lshl_b64 s[4:5], s[6:7], 2
	s_wait_alu 0xfffe
	s_add_nc_u64 s[4:5], s[0:1], s[4:5]
	global_store_b32 v12, v7, s[4:5]
.LBB107_9:
	s_wait_alu 0xfffe
	s_or_b32 exec_lo, exec_lo, s2
	ds_bpermute_b32 v7, v0, v10
	s_wait_dscnt 0x0
	v_add_f32_e32 v7, v10, v7
	ds_bpermute_b32 v10, v1, v7
	s_wait_dscnt 0x0
	v_add_f32_e32 v7, v7, v10
	;; [unrolled: 3-line block ×4, first 2 shown]
	ds_bpermute_b32 v10, v11, v7
	s_and_saveexec_b32 s2, vcc_lo
	s_cbranch_execz .LBB107_11
; %bb.10:
	s_lshl_b32 s4, s6, 1
	s_mov_b32 s5, 0
	s_wait_dscnt 0x0
	v_dual_add_f32 v7, v7, v10 :: v_dual_mov_b32 v10, 0
	s_wait_alu 0xfffe
	s_lshl_b64 s[4:5], s[4:5], 2
	s_wait_alu 0xfffe
	s_add_nc_u64 s[4:5], s[0:1], s[4:5]
	global_store_b32 v10, v7, s[4:5]
.LBB107_11:
	s_wait_alu 0xfffe
	s_or_b32 exec_lo, exec_lo, s2
	ds_bpermute_b32 v7, v0, v9
	s_wait_dscnt 0x0
	v_add_f32_e32 v7, v9, v7
	ds_bpermute_b32 v9, v1, v7
	s_wait_dscnt 0x0
	v_add_f32_e32 v7, v7, v9
	;; [unrolled: 3-line block ×4, first 2 shown]
	ds_bpermute_b32 v9, v11, v7
	s_and_saveexec_b32 s2, vcc_lo
	s_cbranch_execz .LBB107_13
; %bb.12:
	s_mul_i32 s4, s6, 3
	s_mov_b32 s5, 0
	s_wait_dscnt 0x0
	v_add_f32_e32 v7, v7, v9
	v_mov_b32_e32 v9, 0
	s_wait_alu 0xfffe
	s_lshl_b64 s[4:5], s[4:5], 2
	s_wait_alu 0xfffe
	s_add_nc_u64 s[4:5], s[0:1], s[4:5]
	global_store_b32 v9, v7, s[4:5]
.LBB107_13:
	s_wait_alu 0xfffe
	s_or_b32 exec_lo, exec_lo, s2
	ds_bpermute_b32 v7, v0, v8
	s_wait_dscnt 0x0
	v_add_f32_e32 v7, v8, v7
	ds_bpermute_b32 v8, v1, v7
	s_wait_dscnt 0x0
	v_add_f32_e32 v7, v7, v8
	;; [unrolled: 3-line block ×4, first 2 shown]
	ds_bpermute_b32 v8, v11, v7
	s_and_saveexec_b32 s2, vcc_lo
	s_cbranch_execz .LBB107_15
; %bb.14:
	s_lshl_b32 s4, s6, 2
	s_mov_b32 s5, 0
	s_wait_dscnt 0x0
	v_dual_add_f32 v7, v7, v8 :: v_dual_mov_b32 v8, 0
	s_wait_alu 0xfffe
	s_lshl_b64 s[4:5], s[4:5], 2
	s_wait_alu 0xfffe
	s_add_nc_u64 s[4:5], s[0:1], s[4:5]
	global_store_b32 v8, v7, s[4:5]
.LBB107_15:
	s_wait_alu 0xfffe
	s_or_b32 exec_lo, exec_lo, s2
	ds_bpermute_b32 v7, v0, v6
	s_wait_dscnt 0x0
	v_add_f32_e32 v6, v6, v7
	ds_bpermute_b32 v7, v1, v6
	s_wait_dscnt 0x0
	v_add_f32_e32 v6, v6, v7
	;; [unrolled: 3-line block ×4, first 2 shown]
	ds_bpermute_b32 v7, v11, v6
	s_and_saveexec_b32 s2, vcc_lo
	s_cbranch_execz .LBB107_17
; %bb.16:
	s_mul_i32 s4, s6, 5
	s_mov_b32 s5, 0
	s_wait_dscnt 0x0
	v_dual_add_f32 v6, v6, v7 :: v_dual_mov_b32 v7, 0
	s_wait_alu 0xfffe
	s_lshl_b64 s[4:5], s[4:5], 2
	s_wait_alu 0xfffe
	s_add_nc_u64 s[4:5], s[0:1], s[4:5]
	global_store_b32 v7, v6, s[4:5]
.LBB107_17:
	s_wait_alu 0xfffe
	s_or_b32 exec_lo, exec_lo, s2
	ds_bpermute_b32 v6, v0, v5
	s_wait_dscnt 0x0
	v_add_f32_e32 v5, v5, v6
	ds_bpermute_b32 v6, v1, v5
	s_wait_dscnt 0x0
	v_add_f32_e32 v5, v5, v6
	ds_bpermute_b32 v6, v2, v5
	s_wait_dscnt 0x0
	v_add_f32_e32 v5, v5, v6
	ds_bpermute_b32 v6, v3, v5
	s_wait_dscnt 0x0
	v_add_f32_e32 v5, v5, v6
	ds_bpermute_b32 v6, v11, v5
	s_and_saveexec_b32 s2, vcc_lo
	s_cbranch_execz .LBB107_19
; %bb.18:
	s_mul_i32 s4, s6, 6
	s_mov_b32 s5, 0
	s_wait_dscnt 0x0
	v_dual_add_f32 v5, v5, v6 :: v_dual_mov_b32 v6, 0
	s_wait_alu 0xfffe
	s_lshl_b64 s[4:5], s[4:5], 2
	s_wait_alu 0xfffe
	s_add_nc_u64 s[4:5], s[0:1], s[4:5]
	global_store_b32 v6, v5, s[4:5]
.LBB107_19:
	s_wait_alu 0xfffe
	s_or_b32 exec_lo, exec_lo, s2
	ds_bpermute_b32 v0, v0, v4
	s_wait_dscnt 0x0
	v_add_f32_e32 v0, v4, v0
	ds_bpermute_b32 v1, v1, v0
	s_wait_dscnt 0x0
	v_add_f32_e32 v0, v0, v1
	;; [unrolled: 3-line block ×4, first 2 shown]
	ds_bpermute_b32 v1, v11, v0
	s_and_b32 exec_lo, exec_lo, vcc_lo
	s_cbranch_execz .LBB107_21
; %bb.20:
	s_mul_i32 s2, s6, 7
	s_mov_b32 s3, 0
	s_wait_dscnt 0x0
	v_dual_add_f32 v0, v0, v1 :: v_dual_mov_b32 v1, 0
	s_wait_alu 0xfffe
	s_lshl_b64 s[2:3], s[2:3], 2
	s_wait_alu 0xfffe
	s_add_nc_u64 s[0:1], s[0:1], s[2:3]
	global_store_b32 v1, v0, s[0:1]
.LBB107_21:
	s_endpgm
	.section	.rodata,"a",@progbits
	.p2align	6, 0x0
	.amdhsa_kernel _ZL13mul_mat_vec_qIL9ggml_type10ELi8ELb0ELb0EEvPKvS2_PKi31ggml_cuda_mm_fusion_args_devicePfj15HIP_vector_typeIjLj3EEjjjS8_jjjS8_jjjj
		.amdhsa_group_segment_fixed_size 0
		.amdhsa_private_segment_fixed_size 0
		.amdhsa_kernarg_size 144
		.amdhsa_user_sgpr_count 2
		.amdhsa_user_sgpr_dispatch_ptr 0
		.amdhsa_user_sgpr_queue_ptr 0
		.amdhsa_user_sgpr_kernarg_segment_ptr 1
		.amdhsa_user_sgpr_dispatch_id 0
		.amdhsa_user_sgpr_private_segment_size 0
		.amdhsa_wavefront_size32 1
		.amdhsa_uses_dynamic_stack 0
		.amdhsa_enable_private_segment 0
		.amdhsa_system_sgpr_workgroup_id_x 1
		.amdhsa_system_sgpr_workgroup_id_y 1
		.amdhsa_system_sgpr_workgroup_id_z 1
		.amdhsa_system_sgpr_workgroup_info 0
		.amdhsa_system_vgpr_workitem_id 1
		.amdhsa_next_free_vgpr 44
		.amdhsa_next_free_sgpr 28
		.amdhsa_reserve_vcc 1
		.amdhsa_float_round_mode_32 0
		.amdhsa_float_round_mode_16_64 0
		.amdhsa_float_denorm_mode_32 3
		.amdhsa_float_denorm_mode_16_64 3
		.amdhsa_fp16_overflow 0
		.amdhsa_workgroup_processor_mode 1
		.amdhsa_memory_ordered 1
		.amdhsa_forward_progress 1
		.amdhsa_inst_pref_size 42
		.amdhsa_round_robin_scheduling 0
		.amdhsa_exception_fp_ieee_invalid_op 0
		.amdhsa_exception_fp_denorm_src 0
		.amdhsa_exception_fp_ieee_div_zero 0
		.amdhsa_exception_fp_ieee_overflow 0
		.amdhsa_exception_fp_ieee_underflow 0
		.amdhsa_exception_fp_ieee_inexact 0
		.amdhsa_exception_int_div_zero 0
	.end_amdhsa_kernel
	.section	.text._ZL13mul_mat_vec_qIL9ggml_type10ELi8ELb0ELb0EEvPKvS2_PKi31ggml_cuda_mm_fusion_args_devicePfj15HIP_vector_typeIjLj3EEjjjS8_jjjS8_jjjj,"axG",@progbits,_ZL13mul_mat_vec_qIL9ggml_type10ELi8ELb0ELb0EEvPKvS2_PKi31ggml_cuda_mm_fusion_args_devicePfj15HIP_vector_typeIjLj3EEjjjS8_jjjS8_jjjj,comdat
.Lfunc_end107:
	.size	_ZL13mul_mat_vec_qIL9ggml_type10ELi8ELb0ELb0EEvPKvS2_PKi31ggml_cuda_mm_fusion_args_devicePfj15HIP_vector_typeIjLj3EEjjjS8_jjjS8_jjjj, .Lfunc_end107-_ZL13mul_mat_vec_qIL9ggml_type10ELi8ELb0ELb0EEvPKvS2_PKi31ggml_cuda_mm_fusion_args_devicePfj15HIP_vector_typeIjLj3EEjjjS8_jjjS8_jjjj
                                        ; -- End function
	.set _ZL13mul_mat_vec_qIL9ggml_type10ELi8ELb0ELb0EEvPKvS2_PKi31ggml_cuda_mm_fusion_args_devicePfj15HIP_vector_typeIjLj3EEjjjS8_jjjS8_jjjj.num_vgpr, 44
	.set _ZL13mul_mat_vec_qIL9ggml_type10ELi8ELb0ELb0EEvPKvS2_PKi31ggml_cuda_mm_fusion_args_devicePfj15HIP_vector_typeIjLj3EEjjjS8_jjjS8_jjjj.num_agpr, 0
	.set _ZL13mul_mat_vec_qIL9ggml_type10ELi8ELb0ELb0EEvPKvS2_PKi31ggml_cuda_mm_fusion_args_devicePfj15HIP_vector_typeIjLj3EEjjjS8_jjjS8_jjjj.numbered_sgpr, 28
	.set _ZL13mul_mat_vec_qIL9ggml_type10ELi8ELb0ELb0EEvPKvS2_PKi31ggml_cuda_mm_fusion_args_devicePfj15HIP_vector_typeIjLj3EEjjjS8_jjjS8_jjjj.num_named_barrier, 0
	.set _ZL13mul_mat_vec_qIL9ggml_type10ELi8ELb0ELb0EEvPKvS2_PKi31ggml_cuda_mm_fusion_args_devicePfj15HIP_vector_typeIjLj3EEjjjS8_jjjS8_jjjj.private_seg_size, 0
	.set _ZL13mul_mat_vec_qIL9ggml_type10ELi8ELb0ELb0EEvPKvS2_PKi31ggml_cuda_mm_fusion_args_devicePfj15HIP_vector_typeIjLj3EEjjjS8_jjjS8_jjjj.uses_vcc, 1
	.set _ZL13mul_mat_vec_qIL9ggml_type10ELi8ELb0ELb0EEvPKvS2_PKi31ggml_cuda_mm_fusion_args_devicePfj15HIP_vector_typeIjLj3EEjjjS8_jjjS8_jjjj.uses_flat_scratch, 0
	.set _ZL13mul_mat_vec_qIL9ggml_type10ELi8ELb0ELb0EEvPKvS2_PKi31ggml_cuda_mm_fusion_args_devicePfj15HIP_vector_typeIjLj3EEjjjS8_jjjS8_jjjj.has_dyn_sized_stack, 0
	.set _ZL13mul_mat_vec_qIL9ggml_type10ELi8ELb0ELb0EEvPKvS2_PKi31ggml_cuda_mm_fusion_args_devicePfj15HIP_vector_typeIjLj3EEjjjS8_jjjS8_jjjj.has_recursion, 0
	.set _ZL13mul_mat_vec_qIL9ggml_type10ELi8ELb0ELb0EEvPKvS2_PKi31ggml_cuda_mm_fusion_args_devicePfj15HIP_vector_typeIjLj3EEjjjS8_jjjS8_jjjj.has_indirect_call, 0
	.section	.AMDGPU.csdata,"",@progbits
; Kernel info:
; codeLenInByte = 5348
; TotalNumSgprs: 30
; NumVgprs: 44
; ScratchSize: 0
; MemoryBound: 0
; FloatMode: 240
; IeeeMode: 1
; LDSByteSize: 0 bytes/workgroup (compile time only)
; SGPRBlocks: 0
; VGPRBlocks: 5
; NumSGPRsForWavesPerEU: 30
; NumVGPRsForWavesPerEU: 44
; Occupancy: 16
; WaveLimiterHint : 0
; COMPUTE_PGM_RSRC2:SCRATCH_EN: 0
; COMPUTE_PGM_RSRC2:USER_SGPR: 2
; COMPUTE_PGM_RSRC2:TRAP_HANDLER: 0
; COMPUTE_PGM_RSRC2:TGID_X_EN: 1
; COMPUTE_PGM_RSRC2:TGID_Y_EN: 1
; COMPUTE_PGM_RSRC2:TGID_Z_EN: 1
; COMPUTE_PGM_RSRC2:TIDIG_COMP_CNT: 1
	.section	.text._ZL17mul_mat_vec_q_moeIL9ggml_type11ELi2EEvPKvS2_PKiPfj15HIP_vector_typeIjLj3EEjjjjjjjjj,"axG",@progbits,_ZL17mul_mat_vec_q_moeIL9ggml_type11ELi2EEvPKvS2_PKiPfj15HIP_vector_typeIjLj3EEjjjjjjjjj,comdat
	.globl	_ZL17mul_mat_vec_q_moeIL9ggml_type11ELi2EEvPKvS2_PKiPfj15HIP_vector_typeIjLj3EEjjjjjjjjj ; -- Begin function _ZL17mul_mat_vec_q_moeIL9ggml_type11ELi2EEvPKvS2_PKiPfj15HIP_vector_typeIjLj3EEjjjjjjjjj
	.p2align	8
	.type	_ZL17mul_mat_vec_q_moeIL9ggml_type11ELi2EEvPKvS2_PKiPfj15HIP_vector_typeIjLj3EEjjjjjjjjj,@function
_ZL17mul_mat_vec_q_moeIL9ggml_type11ELi2EEvPKvS2_PKiPfj15HIP_vector_typeIjLj3EEjjjjjjjjj: ; @_ZL17mul_mat_vec_q_moeIL9ggml_type11ELi2EEvPKvS2_PKiPfj15HIP_vector_typeIjLj3EEjjjjjjjjj
; %bb.0:
	s_load_b256 s[4:11], s[0:1], 0x30
	v_bfe_u32 v6, v0, 10, 10
	s_mov_b32 s2, exec_lo
	s_wait_kmcnt 0x0
	s_delay_alu instid0(VALU_DEP_1)
	v_cmpx_gt_u32_e64 s11, v6
	s_cbranch_execz .LBB108_7
; %bb.1:
	s_clause 0x2
	s_load_b32 s3, s[0:1], 0x20
	s_load_b32 s2, s[0:1], 0x50
	s_load_b256 s[12:19], s[0:1], 0x0
	v_bfe_u32 v8, v0, 4, 6
	v_and_b32_e32 v7, 0x3ff, v0
	v_mov_b32_e32 v9, 0
	v_mov_b32_e32 v1, 0
	s_lshl_b32 s11, ttmp9, 1
	s_mov_b32 s21, exec_lo
	s_wait_kmcnt 0x0
	s_lshr_b32 s20, s3, 8
	s_delay_alu instid0(SALU_CYCLE_1)
	v_cmpx_gt_u32_e64 s20, v8
	s_cbranch_execz .LBB108_5
; %bb.2:
	s_mov_b32 s22, ttmp7
	v_bfe_u32 v14, v7, 3, 1
	v_mad_co_u64_u32 v[0:1], null, s2, v6, s[22:23]
	v_mov_b32_e32 v1, 0
	s_load_b96 s[0:2], s[0:1], 0x24
	v_lshrrev_b32_e32 v13, 4, v7
	v_and_b32_e32 v11, 8, v7
	v_mul_lo_u32 v5, s6, v6
	v_lshlrev_b32_e32 v9, 1, v7
	v_lshlrev_b64_e32 v[2:3], 2, v[0:1]
	v_bfe_u32 v0, v7, 2, 1
	s_mov_b32 s3, 0
	s_add_co_i32 s6, s11, 1
	v_and_b32_e32 v9, 30, v9
	s_delay_alu instid0(VALU_DEP_2) | instskip(SKIP_1) | instid1(VALU_DEP_1)
	v_or_b32_e32 v15, v0, v11
	v_add_co_u32 v2, vcc_lo, s16, v2
	v_add_co_ci_u32_e64 v3, null, s17, v3, vcc_lo
	s_delay_alu instid0(VALU_DEP_3)
	v_or_b32_e32 v16, 6, v15
	v_lshrrev_b32_e32 v11, 1, v11
	global_load_b32 v4, v[2:3], off
	v_lshrrev_b32_e32 v2, 1, v7
	v_and_b32_e32 v3, 7, v7
	s_wait_kmcnt 0x0
	s_mul_hi_u32 s0, s0, ttmp7
	v_lshrrev_b32_e32 v17, 1, v16
	s_add_co_i32 s0, ttmp7, s0
	v_and_b32_e32 v10, 4, v2
	v_lshlrev_b32_e32 v20, 1, v3
	v_lshlrev_b32_e32 v12, 2, v3
	v_mul_hi_u32_u24_e32 v3, 0x90, v14
	v_mul_u32_u24_e32 v2, 0x90, v14
	s_lshr_b32 s0, s0, s1
	v_or_b32_e32 v14, 4, v15
	s_mul_i32 s0, s0, s2
	v_and_b32_e32 v15, 7, v16
	v_mad_co_u64_u32 v[2:3], null, 0x120, v13, v[2:3]
	s_sub_co_i32 s0, ttmp7, s0
	v_and_b32_e32 v13, 5, v14
	s_mul_i32 s2, s0, s9
	v_lshrrev_b32_e32 v14, 1, v14
	s_wait_alu 0xfffe
	s_mul_u64 s[0:1], s[2:3], 36
	v_and_b32_e32 v16, 3, v16
	v_mad_co_u64_u32 v[18:19], null, v5, 36, v[2:3]
	s_add_nc_u64 s[0:1], s[14:15], s[0:1]
	v_and_b32_e32 v17, 6, v17
	s_wait_loadcnt 0x0
	v_mul_lo_u32 v4, v4, s8
	s_delay_alu instid0(VALU_DEP_1)
	v_mad_co_u64_u32 v[2:3], null, s11, s5, v[4:5]
	v_mad_co_u64_u32 v[3:4], null, s5, s6, v[4:5]
	v_add_co_u32 v4, vcc_lo, s0, v18
	s_wait_alu 0xfffd
	v_add_co_ci_u32_e64 v5, null, s1, v19, vcc_lo
	v_dual_mov_b32 v9, v1 :: v_dual_lshlrev_b32 v18, 1, v9
	v_lshlrev_b32_e32 v19, 1, v20
.LBB108_3:                              ; =>This Inner Loop Header: Depth=1
	v_add_nc_u32_e32 v22, v2, v8
	v_add_co_u32 v20, vcc_lo, v4, v12
	v_add_nc_u32_e32 v24, v3, v8
	s_wait_alu 0xfffd
	v_add_co_ci_u32_e64 v21, null, 0, v5, vcc_lo
	v_mad_co_i64_i32 v[22:23], null, 0x6e, v22, s[12:13]
	s_delay_alu instid0(VALU_DEP_3)
	v_mad_co_i64_i32 v[24:25], null, 0x6e, v24, s[12:13]
	s_clause 0x2
	global_load_b32 v50, v[20:21], off offset:4
	global_load_b32 v51, v[20:21], off offset:40
	;; [unrolled: 1-line block ×3, first 2 shown]
	v_add_nc_u32_e32 v8, 2, v8
	v_add_co_u32 v26, vcc_lo, v22, v18
	s_wait_alu 0xfffd
	v_add_co_ci_u32_e64 v27, null, 0, v23, vcc_lo
	v_add_co_u32 v28, vcc_lo, v22, v19
	s_wait_alu 0xfffd
	v_add_co_ci_u32_e64 v29, null, 0, v23, vcc_lo
	;; [unrolled: 3-line block ×12, first 2 shown]
	s_clause 0x13
	global_load_u16 v22, v[22:23], off offset:108
	global_load_b32 v23, v[26:27], off offset:32
	global_load_b32 v26, v[28:29], off
	global_load_u8 v27, v[30:31], off offset:96
	global_load_u8 v28, v[30:31], off offset:104
	;; [unrolled: 1-line block ×7, first 2 shown]
	global_load_b32 v34, v[40:41], off
	global_load_u8 v35, v[42:43], off offset:96
	global_load_u8 v36, v[42:43], off offset:104
	global_load_b32 v37, v[38:39], off offset:32
	global_load_u8 v38, v[42:43], off offset:98
	global_load_u8 v39, v[42:43], off offset:106
	;; [unrolled: 1-line block ×3, first 2 shown]
	global_load_u16 v24, v[24:25], off offset:108
	global_load_u8 v25, v[46:47], off offset:96
	global_load_u8 v41, v[48:49], off offset:104
	s_clause 0x4
	global_load_b32 v20, v[20:21], off offset:112
	global_load_b32 v21, v[4:5], off
	global_load_b32 v42, v[4:5], off offset:36
	global_load_b32 v43, v[4:5], off offset:72
	;; [unrolled: 1-line block ×3, first 2 shown]
	v_add_co_u32 v4, vcc_lo, 0x240, v4
	v_cmp_le_u32_e64 s0, s20, v8
	s_wait_alu 0xfffd
	v_add_co_ci_u32_e64 v5, null, 0, v5, vcc_lo
	s_or_b32 s3, s0, s3
	s_wait_loadcnt 0x17
	v_lshrrev_b32_e32 v49, 4, v23
	s_wait_loadcnt 0x16
	v_ashrrev_i32_e32 v26, v10, v26
	s_wait_loadcnt 0x15
	v_bfe_u32 v27, v27, v11, 4
	s_wait_loadcnt 0x14
	v_lshrrev_b32_e32 v45, v11, v28
	v_lshrrev_b32_e32 v28, v14, v28
	s_wait_loadcnt 0x13
	v_lshrrev_b32_e32 v29, v11, v29
	v_not_b32_e32 v26, v26
	v_lshrrev_b32_e32 v48, 2, v23
	v_lshlrev_b32_e32 v45, 4, v45
	s_wait_loadcnt 0xe
	v_ashrrev_i32_e32 v34, v10, v34
	s_wait_loadcnt 0xd
	v_bfe_u32 v35, v35, v11, 4
	s_wait_loadcnt 0xc
	v_lshrrev_b32_e32 v54, v11, v36
	v_bfe_u32 v32, v32, v11, 4
	v_lshrrev_b32_e32 v33, v17, v33
	v_not_b32_e32 v34, v34
	v_lshrrev_b32_e32 v53, 6, v23
	v_lshlrev_b32_e32 v54, 4, v54
	v_lshrrev_b32_e32 v36, v14, v36
	s_wait_loadcnt 0xb
	v_lshrrev_b32_e32 v58, 4, v37
	v_lshlrev_b32_e32 v28, 4, v28
	v_and_b32_e32 v63, 0x3030303, v49
	v_and_or_b32 v27, v45, 48, v27
	v_lshlrev_b32_e32 v45, 2, v26
	v_lshlrev_b32_e32 v69, 1, v26
	v_and_b32_e32 v71, 0x4040404, v26
	v_lshrrev_b32_e32 v26, 1, v26
	v_and_or_b32 v35, v54, 48, v35
	v_lshlrev_b32_e32 v54, 2, v34
	v_and_b32_e32 v46, 0x3030303, v23
	v_bfe_u32 v30, v30, v11, 4
	v_bfe_u32 v31, v31, v11, 4
	v_and_b32_e32 v55, 0x3030303, v37
	s_wait_loadcnt 0x9
	v_lshrrev_b32_e32 v39, v11, v39
	v_lshrrev_b32_e32 v57, 2, v37
	s_wait_loadcnt 0x8
	v_bfe_u32 v40, v40, v11, 4
	s_wait_loadcnt 0x5
	v_lshrrev_b32_e32 v41, v17, v41
	v_lshrrev_b32_e32 v59, 6, v37
	v_lshlrev_b32_e32 v29, 4, v29
	v_and_b32_e32 v62, 0x3030303, v48
	v_bfe_u32 v49, v49, 24, 2
	v_lshlrev_b32_e32 v33, 4, v33
	v_and_b32_e32 v53, 0x3030303, v53
	v_lshlrev_b32_e32 v36, 4, v36
	v_and_b32_e32 v67, 0x3030303, v58
	v_and_or_b32 v28, v28, 48, v32
	v_lshrrev_b32_e32 v32, 16, v63
	v_lshrrev_b16 v70, 8, v63
	v_lshlrev_b32_e32 v74, 1, v34
	v_and_b32_e32 v76, 0x4040404, v34
	v_lshrrev_b32_e32 v34, 1, v34
	v_and_b32_e32 v45, 0x4040404, v45
	v_and_b32_e32 v69, 0x4040404, v69
	v_lshrrev_b32_e32 v78, 16, v71
	v_lshrrev_b32_e32 v79, 24, v71
	v_lshrrev_b16 v80, 8, v71
	v_and_b32_e32 v26, 0x4040404, v26
	v_and_b32_e32 v54, 0x4040404, v54
	v_bfe_u32 v47, v23, 24, 2
	v_lshrrev_b32_e32 v23, 30, v23
	v_bfe_u32 v56, v37, 24, 2
	v_bfe_u32 v38, v38, v11, 4
	;; [unrolled: 1-line block ×3, first 2 shown]
	v_lshrrev_b32_e32 v60, 16, v46
	v_lshrrev_b16 v61, 8, v46
	v_bfe_u32 v48, v48, 24, 2
	v_lshrrev_b32_e32 v64, 16, v55
	v_lshrrev_b16 v65, 8, v55
	v_lshlrev_b32_e32 v39, 4, v39
	v_and_b32_e32 v66, 0x3030303, v57
	v_bfe_u32 v58, v58, 24, 2
	v_lshlrev_b32_e32 v41, 4, v41
	v_and_b32_e32 v59, 0x3030303, v59
	v_and_or_b32 v29, v29, 48, v30
	v_lshrrev_b32_e32 v30, 16, v62
	v_lshrrev_b16 v68, 8, v62
	v_and_or_b32 v31, v33, 48, v31
	v_lshrrev_b32_e32 v33, 16, v53
	v_lshrrev_b16 v72, 8, v53
	;; [unrolled: 3-line block ×3, first 2 shown]
	v_sub_nc_u16 v63, v63, v71
	v_and_b32_e32 v71, 0x4040404, v74
	v_lshrrev_b32_e32 v74, 16, v76
	v_lshrrev_b32_e32 v81, 24, v76
	v_lshrrev_b16 v82, 8, v76
	v_sub_nc_u16 v67, v67, v76
	v_and_b32_e32 v34, 0x4040404, v34
	v_lshrrev_b32_e32 v76, 16, v45
	v_lshrrev_b32_e32 v83, 24, v45
	v_lshrrev_b16 v84, 8, v45
	v_sub_nc_u16 v45, v46, v45
	v_lshrrev_b32_e32 v46, 16, v69
	v_lshrrev_b32_e32 v85, 24, v69
	v_lshrrev_b16 v86, 8, v69
	v_sub_nc_u16 v62, v62, v69
	v_sub_nc_u16 v69, v70, v80
	;; [unrolled: 1-line block ×4, first 2 shown]
	v_lshrrev_b32_e32 v70, 16, v26
	v_lshrrev_b32_e32 v78, 24, v26
	v_lshrrev_b16 v79, 8, v26
	v_sub_nc_u16 v26, v53, v26
	v_lshrrev_b32_e32 v53, 16, v54
	v_lshrrev_b32_e32 v80, 24, v54
	v_lshrrev_b16 v87, 8, v54
	v_lshrrev_b32_e32 v37, 30, v37
	v_bfe_u32 v57, v57, 24, 2
	v_and_or_b32 v38, v39, 48, v38
	v_lshrrev_b32_e32 v39, 16, v66
	v_lshrrev_b16 v73, 8, v66
	v_and_or_b32 v25, v41, 48, v25
	v_lshrrev_b32_e32 v41, 16, v59
	v_lshrrev_b16 v77, 8, v59
	v_and_b32_e32 v63, 0xff, v63
	v_sub_nc_u16 v54, v55, v54
	v_lshrrev_b32_e32 v55, 16, v71
	v_lshrrev_b32_e32 v88, 24, v71
	v_lshrrev_b16 v89, 8, v71
	v_sub_nc_u16 v66, v66, v71
	v_sub_nc_u16 v71, v75, v82
	;; [unrolled: 1-line block ×4, first 2 shown]
	v_lshrrev_b32_e32 v74, 16, v34
	v_lshrrev_b32_e32 v75, 24, v34
	v_lshrrev_b16 v81, 8, v34
	v_sub_nc_u16 v34, v59, v34
	v_sub_nc_u16 v59, v61, v84
	;; [unrolled: 1-line block ×4, first 2 shown]
	v_and_b32_e32 v61, 0xff, v62
	v_sub_nc_u16 v62, v68, v86
	v_sub_nc_u16 v48, v48, v85
	;; [unrolled: 1-line block ×3, first 2 shown]
	v_lshlrev_b16 v46, 8, v69
	v_lshlrev_b16 v49, 8, v49
	v_and_b32_e32 v32, 0xff, v32
	v_sub_nc_u16 v68, v72, v79
	v_sub_nc_u16 v23, v23, v78
	;; [unrolled: 1-line block ×6, first 2 shown]
	v_and_b32_e32 v45, 0xff, v45
	v_and_b32_e32 v26, 0xff, v26
	;; [unrolled: 1-line block ×4, first 2 shown]
	v_sub_nc_u16 v66, v73, v89
	v_sub_nc_u16 v57, v57, v88
	;; [unrolled: 1-line block ×3, first 2 shown]
	v_lshlrev_b16 v58, 8, v58
	v_and_b32_e32 v40, 0xff, v40
	v_sub_nc_u16 v69, v77, v81
	v_sub_nc_u16 v37, v37, v75
	;; [unrolled: 1-line block ×3, first 2 shown]
	v_lshlrev_b16 v59, 8, v59
	v_lshlrev_b16 v47, 8, v47
	v_and_b32_e32 v60, 0xff, v60
	v_lshlrev_b16 v48, 8, v48
	v_and_b32_e32 v30, 0xff, v30
	v_or_b32_e32 v46, v63, v46
	v_or_b32_e32 v32, v32, v49
	v_lshlrev_b16 v49, 8, v68
	v_lshlrev_b16 v23, 8, v23
	v_and_b32_e32 v33, 0xff, v33
	v_lshlrev_b16 v63, 8, v65
	v_lshlrev_b16 v56, 8, v56
	v_and_b32_e32 v53, 0xff, v53
	v_and_b32_e32 v34, 0xff, v34
	v_lshlrev_b16 v62, 8, v62
	v_lshlrev_b16 v65, 8, v66
	;; [unrolled: 1-line block ×3, first 2 shown]
	v_and_b32_e32 v39, 0xff, v39
	v_or_b32_e32 v40, v40, v58
	v_lshlrev_b16 v58, 8, v69
	v_lshlrev_b16 v37, 8, v37
	v_and_b32_e32 v41, 0xff, v41
	v_or_b32_e32 v45, v45, v59
	v_or_b32_e32 v47, v60, v47
	;; [unrolled: 1-line block ×3, first 2 shown]
	v_and_b32_e32 v46, 0xffff, v46
	v_lshlrev_b32_e32 v32, 16, v32
	v_or_b32_e32 v26, v26, v49
	v_or_b32_e32 v23, v33, v23
	;; [unrolled: 1-line block ×4, first 2 shown]
	v_and_b32_e32 v67, 0xff, v67
	v_lshlrev_b16 v55, 8, v71
	v_or_b32_e32 v59, v61, v62
	v_or_b32_e32 v49, v64, v65
	;; [unrolled: 1-line block ×5, first 2 shown]
	v_and_b32_e32 v41, 0xffff, v45
	v_lshlrev_b32_e32 v45, 16, v47
	v_or_b32_e32 v32, v46, v32
	v_and_b32_e32 v26, 0xffff, v26
	v_lshlrev_b32_e32 v23, 16, v23
	v_and_b32_e32 v33, 0xffff, v33
	v_lshlrev_b32_e32 v46, 16, v48
	v_or_b32_e32 v55, v67, v55
	v_and_b32_e32 v47, 0xffff, v59
	v_lshlrev_b32_e32 v30, 16, v30
	v_and_b32_e32 v48, 0xffff, v49
	v_lshlrev_b32_e32 v39, 16, v39
	;; [unrolled: 2-line block ×3, first 2 shown]
	v_or_b32_e32 v41, v41, v45
	v_or_b32_e32 v23, v26, v23
	;; [unrolled: 1-line block ×3, first 2 shown]
	v_subrev_nc_u32_e32 v27, 32, v27
	v_subrev_nc_u32_e32 v28, 32, v28
	;; [unrolled: 1-line block ×3, first 2 shown]
	v_and_b32_e32 v53, 0xffff, v55
	v_lshlrev_b32_e32 v40, 16, v40
	v_or_b32_e32 v30, v47, v30
	v_dot4_i32_iu8 v32, v32, v52, 0 neg_lo:[1,1,0]
	v_or_b32_e32 v33, v48, v39
	v_or_b32_e32 v34, v34, v37
	v_dot4_i32_iu8 v37, v41, v50, 0 neg_lo:[1,1,0]
	v_dot4_i32_iu8 v26, v26, v50, 0 neg_lo:[1,1,0]
	v_subrev_nc_u32_e32 v29, 32, v29
	v_subrev_nc_u32_e32 v38, 32, v38
	v_or_b32_e32 v40, v53, v40
	v_dot4_i32_iu8 v30, v30, v51, 0 neg_lo:[1,1,0]
	v_mul_lo_u32 v28, v28, v32
	v_dot4_i32_iu8 v32, v33, v51, 0 neg_lo:[1,1,0]
	v_mul_lo_u32 v27, v27, v37
	v_mul_lo_u32 v26, v35, v26
	v_subrev_nc_u32_e32 v36, 32, v36
	v_dot4_i32_iu8 v39, v40, v52, 0 neg_lo:[1,1,0]
	v_mul_lo_u32 v29, v29, v30
	v_mul_lo_u32 v30, v38, v32
	v_subrev_nc_u32_e32 v31, 32, v31
	v_subrev_nc_u32_e32 v25, 32, v25
	v_cvt_f32_i32_e32 v27, v27
	v_cvt_f32_i32_e32 v26, v26
	s_wait_loadcnt 0x4
	v_dot4_i32_iu8 v23, v23, v20, 0 neg_lo:[1,1,0]
	v_mul_lo_u32 v33, v36, v39
	v_dot4_i32_iu8 v20, v34, v20, 0 neg_lo:[1,1,0]
	v_cvt_f32_i32_e32 v29, v29
	v_cvt_f32_i32_e32 v30, v30
	s_wait_loadcnt 0x3
	v_fma_mix_f32 v27, v21, v27, 0 op_sel_hi:[1,0,0]
	v_fma_mix_f32 v21, v21, v26, 0 op_sel_hi:[1,0,0]
	v_mul_lo_u32 v23, v31, v23
	v_mul_lo_u32 v20, v25, v20
	v_cvt_f32_i32_e32 v25, v28
	v_cvt_f32_i32_e32 v26, v33
	s_wait_loadcnt 0x2
	v_fma_mix_f32 v27, v42, v29, v27 op_sel_hi:[1,0,0]
	v_fma_mix_f32 v21, v42, v30, v21 op_sel_hi:[1,0,0]
	v_cvt_f32_i32_e32 v23, v23
	v_cvt_f32_i32_e32 v20, v20
	s_wait_loadcnt 0x1
	v_fma_mix_f32 v25, v43, v25, v27 op_sel_hi:[1,0,0]
	v_fma_mix_f32 v21, v43, v26, v21 op_sel_hi:[1,0,0]
	s_wait_loadcnt 0x0
	s_delay_alu instid0(VALU_DEP_2) | instskip(NEXT) | instid1(VALU_DEP_2)
	v_fma_mix_f32 v23, v44, v23, v25 op_sel_hi:[1,0,0]
	v_fma_mix_f32 v20, v44, v20, v21 op_sel_hi:[1,0,0]
	s_delay_alu instid0(VALU_DEP_2) | instskip(NEXT) | instid1(VALU_DEP_2)
	v_fma_mix_f32 v1, v23, v22, v1 op_sel_hi:[0,1,0]
	v_fma_mix_f32 v9, v20, v24, v9 op_sel_hi:[0,1,0]
	s_wait_alu 0xfffe
	s_and_not1_b32 exec_lo, exec_lo, s3
	s_cbranch_execnz .LBB108_3
; %bb.4:
	s_or_b32 exec_lo, exec_lo, s3
.LBB108_5:
	s_delay_alu instid0(SALU_CYCLE_1) | instskip(SKIP_1) | instid1(VALU_DEP_1)
	s_or_b32 exec_lo, exec_lo, s21
	v_mbcnt_lo_u32_b32 v0, -1, 0
	v_xor_b32_e32 v2, 16, v0
	v_xor_b32_e32 v4, 8, v0
	;; [unrolled: 1-line block ×3, first 2 shown]
	s_delay_alu instid0(VALU_DEP_3)
	v_cmp_gt_i32_e32 vcc_lo, 32, v2
	s_wait_alu 0xfffd
	v_cndmask_b32_e32 v2, v0, v2, vcc_lo
	v_cmp_gt_i32_e32 vcc_lo, 32, v4
	s_wait_alu 0xfffd
	v_cndmask_b32_e32 v4, v0, v4, vcc_lo
	v_cmp_gt_i32_e32 vcc_lo, 32, v5
	s_wait_alu 0xfffd
	v_dual_cndmask_b32 v5, v0, v5 :: v_dual_lshlrev_b32 v2, 2, v2
	ds_bpermute_b32 v3, v2, v1
	ds_bpermute_b32 v2, v2, v9
	v_lshlrev_b32_e32 v5, 2, v5
	s_wait_dscnt 0x1
	v_dual_add_f32 v1, v1, v3 :: v_dual_lshlrev_b32 v4, 2, v4
	s_wait_dscnt 0x0
	v_add_f32_e32 v2, v9, v2
	ds_bpermute_b32 v3, v4, v1
	s_wait_dscnt 0x0
	v_add_f32_e32 v1, v1, v3
	ds_bpermute_b32 v4, v4, v2
	ds_bpermute_b32 v3, v5, v1
	s_wait_dscnt 0x1
	v_add_f32_e32 v2, v2, v4
	ds_bpermute_b32 v4, v5, v2
	v_xor_b32_e32 v5, 2, v0
	s_delay_alu instid0(VALU_DEP_1) | instskip(SKIP_2) | instid1(VALU_DEP_1)
	v_cmp_gt_i32_e32 vcc_lo, 32, v5
	s_wait_alu 0xfffd
	v_cndmask_b32_e32 v5, v0, v5, vcc_lo
	v_lshlrev_b32_e32 v5, 2, v5
	s_wait_dscnt 0x0
	v_dual_add_f32 v1, v1, v3 :: v_dual_add_f32 v2, v2, v4
	ds_bpermute_b32 v3, v5, v1
	ds_bpermute_b32 v4, v5, v2
	v_xor_b32_e32 v5, 1, v0
	s_delay_alu instid0(VALU_DEP_1) | instskip(SKIP_4) | instid1(VALU_DEP_2)
	v_cmp_gt_i32_e32 vcc_lo, 32, v5
	s_wait_alu 0xfffd
	v_cndmask_b32_e32 v0, v0, v5, vcc_lo
	v_cmp_gt_u32_e32 vcc_lo, 2, v7
	s_wait_dscnt 0x1
	v_dual_add_f32 v0, v1, v3 :: v_dual_lshlrev_b32 v5, 2, v0
	s_wait_dscnt 0x0
	s_wait_alu 0xfffe
	v_dual_add_f32 v1, v2, v4 :: v_dual_add_nc_u32 v4, s11, v7
	ds_bpermute_b32 v2, v5, v0
	ds_bpermute_b32 v3, v5, v1
	v_cmp_gt_u32_e64 s0, s4, v4
	s_and_b32 s0, vcc_lo, s0
	s_wait_alu 0xfffe
	s_and_b32 exec_lo, exec_lo, s0
	s_cbranch_execz .LBB108_7
; %bb.6:
	v_mul_lo_u32 v4, s7, v6
	v_or_b32_e32 v6, s11, v7
	s_mul_i32 s0, s10, ttmp7
	s_wait_dscnt 0x1
	v_dual_mov_b32 v5, 0 :: v_dual_add_f32 v2, v0, v2
	s_wait_dscnt 0x0
	v_add_f32_e32 v3, v1, v3
	v_cmp_eq_u32_e32 vcc_lo, 1, v7
	s_wait_alu 0xfffe
	v_add3_u32 v4, v6, v4, s0
	s_wait_alu 0xfffd
	v_cndmask_b32_e32 v2, v2, v3, vcc_lo
	s_delay_alu instid0(VALU_DEP_2) | instskip(NEXT) | instid1(VALU_DEP_1)
	v_lshlrev_b64_e32 v[0:1], 2, v[4:5]
	v_add_co_u32 v0, vcc_lo, s18, v0
	s_wait_alu 0xfffd
	s_delay_alu instid0(VALU_DEP_2)
	v_add_co_ci_u32_e64 v1, null, s19, v1, vcc_lo
	global_store_b32 v[0:1], v2, off
.LBB108_7:
	s_endpgm
	.section	.rodata,"a",@progbits
	.p2align	6, 0x0
	.amdhsa_kernel _ZL17mul_mat_vec_q_moeIL9ggml_type11ELi2EEvPKvS2_PKiPfj15HIP_vector_typeIjLj3EEjjjjjjjjj
		.amdhsa_group_segment_fixed_size 0
		.amdhsa_private_segment_fixed_size 0
		.amdhsa_kernarg_size 84
		.amdhsa_user_sgpr_count 2
		.amdhsa_user_sgpr_dispatch_ptr 0
		.amdhsa_user_sgpr_queue_ptr 0
		.amdhsa_user_sgpr_kernarg_segment_ptr 1
		.amdhsa_user_sgpr_dispatch_id 0
		.amdhsa_user_sgpr_private_segment_size 0
		.amdhsa_wavefront_size32 1
		.amdhsa_uses_dynamic_stack 0
		.amdhsa_enable_private_segment 0
		.amdhsa_system_sgpr_workgroup_id_x 1
		.amdhsa_system_sgpr_workgroup_id_y 1
		.amdhsa_system_sgpr_workgroup_id_z 0
		.amdhsa_system_sgpr_workgroup_info 0
		.amdhsa_system_vgpr_workitem_id 1
		.amdhsa_next_free_vgpr 90
		.amdhsa_next_free_sgpr 24
		.amdhsa_reserve_vcc 1
		.amdhsa_float_round_mode_32 0
		.amdhsa_float_round_mode_16_64 0
		.amdhsa_float_denorm_mode_32 3
		.amdhsa_float_denorm_mode_16_64 3
		.amdhsa_fp16_overflow 0
		.amdhsa_workgroup_processor_mode 1
		.amdhsa_memory_ordered 1
		.amdhsa_forward_progress 1
		.amdhsa_inst_pref_size 26
		.amdhsa_round_robin_scheduling 0
		.amdhsa_exception_fp_ieee_invalid_op 0
		.amdhsa_exception_fp_denorm_src 0
		.amdhsa_exception_fp_ieee_div_zero 0
		.amdhsa_exception_fp_ieee_overflow 0
		.amdhsa_exception_fp_ieee_underflow 0
		.amdhsa_exception_fp_ieee_inexact 0
		.amdhsa_exception_int_div_zero 0
	.end_amdhsa_kernel
	.section	.text._ZL17mul_mat_vec_q_moeIL9ggml_type11ELi2EEvPKvS2_PKiPfj15HIP_vector_typeIjLj3EEjjjjjjjjj,"axG",@progbits,_ZL17mul_mat_vec_q_moeIL9ggml_type11ELi2EEvPKvS2_PKiPfj15HIP_vector_typeIjLj3EEjjjjjjjjj,comdat
.Lfunc_end108:
	.size	_ZL17mul_mat_vec_q_moeIL9ggml_type11ELi2EEvPKvS2_PKiPfj15HIP_vector_typeIjLj3EEjjjjjjjjj, .Lfunc_end108-_ZL17mul_mat_vec_q_moeIL9ggml_type11ELi2EEvPKvS2_PKiPfj15HIP_vector_typeIjLj3EEjjjjjjjjj
                                        ; -- End function
	.set _ZL17mul_mat_vec_q_moeIL9ggml_type11ELi2EEvPKvS2_PKiPfj15HIP_vector_typeIjLj3EEjjjjjjjjj.num_vgpr, 90
	.set _ZL17mul_mat_vec_q_moeIL9ggml_type11ELi2EEvPKvS2_PKiPfj15HIP_vector_typeIjLj3EEjjjjjjjjj.num_agpr, 0
	.set _ZL17mul_mat_vec_q_moeIL9ggml_type11ELi2EEvPKvS2_PKiPfj15HIP_vector_typeIjLj3EEjjjjjjjjj.numbered_sgpr, 24
	.set _ZL17mul_mat_vec_q_moeIL9ggml_type11ELi2EEvPKvS2_PKiPfj15HIP_vector_typeIjLj3EEjjjjjjjjj.num_named_barrier, 0
	.set _ZL17mul_mat_vec_q_moeIL9ggml_type11ELi2EEvPKvS2_PKiPfj15HIP_vector_typeIjLj3EEjjjjjjjjj.private_seg_size, 0
	.set _ZL17mul_mat_vec_q_moeIL9ggml_type11ELi2EEvPKvS2_PKiPfj15HIP_vector_typeIjLj3EEjjjjjjjjj.uses_vcc, 1
	.set _ZL17mul_mat_vec_q_moeIL9ggml_type11ELi2EEvPKvS2_PKiPfj15HIP_vector_typeIjLj3EEjjjjjjjjj.uses_flat_scratch, 0
	.set _ZL17mul_mat_vec_q_moeIL9ggml_type11ELi2EEvPKvS2_PKiPfj15HIP_vector_typeIjLj3EEjjjjjjjjj.has_dyn_sized_stack, 0
	.set _ZL17mul_mat_vec_q_moeIL9ggml_type11ELi2EEvPKvS2_PKiPfj15HIP_vector_typeIjLj3EEjjjjjjjjj.has_recursion, 0
	.set _ZL17mul_mat_vec_q_moeIL9ggml_type11ELi2EEvPKvS2_PKiPfj15HIP_vector_typeIjLj3EEjjjjjjjjj.has_indirect_call, 0
	.section	.AMDGPU.csdata,"",@progbits
; Kernel info:
; codeLenInByte = 3264
; TotalNumSgprs: 26
; NumVgprs: 90
; ScratchSize: 0
; MemoryBound: 0
; FloatMode: 240
; IeeeMode: 1
; LDSByteSize: 0 bytes/workgroup (compile time only)
; SGPRBlocks: 0
; VGPRBlocks: 11
; NumSGPRsForWavesPerEU: 26
; NumVGPRsForWavesPerEU: 90
; Occupancy: 16
; WaveLimiterHint : 1
; COMPUTE_PGM_RSRC2:SCRATCH_EN: 0
; COMPUTE_PGM_RSRC2:USER_SGPR: 2
; COMPUTE_PGM_RSRC2:TRAP_HANDLER: 0
; COMPUTE_PGM_RSRC2:TGID_X_EN: 1
; COMPUTE_PGM_RSRC2:TGID_Y_EN: 1
; COMPUTE_PGM_RSRC2:TGID_Z_EN: 0
; COMPUTE_PGM_RSRC2:TIDIG_COMP_CNT: 1
	.section	.text._ZL13mul_mat_vec_qIL9ggml_type11ELi1ELb1ELb1EEvPKvS2_PKi31ggml_cuda_mm_fusion_args_devicePfj15HIP_vector_typeIjLj3EEjjjS8_jjjS8_jjjj,"axG",@progbits,_ZL13mul_mat_vec_qIL9ggml_type11ELi1ELb1ELb1EEvPKvS2_PKi31ggml_cuda_mm_fusion_args_devicePfj15HIP_vector_typeIjLj3EEjjjS8_jjjS8_jjjj,comdat
	.globl	_ZL13mul_mat_vec_qIL9ggml_type11ELi1ELb1ELb1EEvPKvS2_PKi31ggml_cuda_mm_fusion_args_devicePfj15HIP_vector_typeIjLj3EEjjjS8_jjjS8_jjjj ; -- Begin function _ZL13mul_mat_vec_qIL9ggml_type11ELi1ELb1ELb1EEvPKvS2_PKi31ggml_cuda_mm_fusion_args_devicePfj15HIP_vector_typeIjLj3EEjjjS8_jjjS8_jjjj
	.p2align	8
	.type	_ZL13mul_mat_vec_qIL9ggml_type11ELi1ELb1ELb1EEvPKvS2_PKi31ggml_cuda_mm_fusion_args_devicePfj15HIP_vector_typeIjLj3EEjjjS8_jjjS8_jjjj,@function
_ZL13mul_mat_vec_qIL9ggml_type11ELi1ELb1ELb1EEvPKvS2_PKi31ggml_cuda_mm_fusion_args_devicePfj15HIP_vector_typeIjLj3EEjjjS8_jjjS8_jjjj: ; @_ZL13mul_mat_vec_qIL9ggml_type11ELi1ELb1ELb1EEvPKvS2_PKi31ggml_cuda_mm_fusion_args_devicePfj15HIP_vector_typeIjLj3EEjjjS8_jjjS8_jjjj
; %bb.0:
	s_clause 0x3
	s_load_b256 s[8:15], s[0:1], 0x0
	s_load_b128 s[16:19], s[0:1], 0x20
	s_load_b128 s[20:23], s[0:1], 0x40
	s_load_b128 s[4:7], s[0:1], 0x68
	s_and_b32 s27, ttmp7, 0xffff
	s_wait_kmcnt 0x0
	s_cmp_lg_u64 s[12:13], 0
	s_cselect_b32 s2, -1, 0
	s_cmp_eq_u64 s[12:13], 0
	s_cbranch_scc1 .LBB109_24
; %bb.1:
	s_lshl_b32 s3, s27, 2
	s_load_b32 s28, s[12:13], s3 offset:0x0
	s_clause 0x1
	s_load_b32 s31, s[0:1], 0x50
	s_load_b32 s29, s[0:1], 0x78
	s_cbranch_execnz .LBB109_3
.LBB109_2:
	s_load_b64 s[12:13], s[0:1], 0x5c
	s_wait_kmcnt 0x0
	s_mul_hi_u32 s3, s12, s27
	s_delay_alu instid0(SALU_CYCLE_1) | instskip(NEXT) | instid1(SALU_CYCLE_1)
	s_add_co_i32 s3, s27, s3
	s_lshr_b32 s28, s3, s13
.LBB109_3:
	s_and_not1_b32 vcc_lo, exec_lo, s2
	s_mov_b32 s3, s27
	s_mov_b32 s30, s27
	s_cbranch_vccnz .LBB109_5
; %bb.4:
	s_mul_hi_u32 s2, s21, s27
	s_wait_kmcnt 0x0
	s_mov_b32 s3, s28
	s_add_co_i32 s2, s27, s2
	s_delay_alu instid0(SALU_CYCLE_1) | instskip(NEXT) | instid1(SALU_CYCLE_1)
	s_lshr_b32 s2, s2, s22
	s_mul_i32 s2, s2, s23
	s_delay_alu instid0(SALU_CYCLE_1)
	s_sub_co_i32 s30, s27, s2
.LBB109_5:
	s_load_b96 s[24:26], s[0:1], 0x80
	v_bfe_u32 v5, v0, 10, 10
	v_dual_mov_b32 v3, 0 :: v_dual_and_b32 v2, 0x3ff, v0
	s_lshr_b32 s21, ttmp7, 16
	s_cmp_lg_u64 s[14:15], 0
	v_mov_b32_e32 v4, 0
	s_delay_alu instid0(VALU_DEP_2) | instskip(SKIP_3) | instid1(VALU_DEP_1)
	v_or_b32_e32 v0, v2, v5
	s_cselect_b32 s2, -1, 0
	s_mov_b32 s23, 0
	s_mul_i32 s12, s3, s6
	v_cmp_eq_u32_e32 vcc_lo, 0, v0
	s_and_b32 s13, s2, vcc_lo
	s_delay_alu instid0(SALU_CYCLE_1)
	s_and_saveexec_b32 s3, s13
	s_cbranch_execz .LBB109_7
; %bb.6:
	s_wait_kmcnt 0x0
	s_mul_i32 s22, s26, s21
	s_mov_b32 s13, s23
	s_lshl_b64 s[22:23], s[22:23], 2
	s_mov_b32 s34, ttmp9
	s_lshl_b64 s[36:37], s[12:13], 2
	s_add_nc_u64 s[14:15], s[14:15], s[22:23]
	s_ashr_i32 s35, ttmp9, 31
	v_lshlrev_b32_e32 v0, 2, v2
	s_add_nc_u64 s[14:15], s[14:15], s[36:37]
	s_lshl_b64 s[22:23], s[34:35], 2
	s_delay_alu instid0(SALU_CYCLE_1)
	s_add_nc_u64 s[14:15], s[14:15], s[22:23]
	global_load_b32 v4, v0, s[14:15]
.LBB109_7:
	s_or_b32 exec_lo, exec_lo, s3
	s_cmp_lg_u64 s[16:17], 0
	s_cselect_b32 s14, -1, 0
	s_cmp_lg_u64 s[18:19], 0
	s_cselect_b32 s3, -1, 0
	s_delay_alu instid0(SALU_CYCLE_1) | instskip(NEXT) | instid1(SALU_CYCLE_1)
	s_and_b32 s13, s3, s14
	s_and_b32 s13, s13, vcc_lo
	s_delay_alu instid0(SALU_CYCLE_1)
	s_and_saveexec_b32 s15, s13
	s_cbranch_execz .LBB109_9
; %bb.8:
	s_wait_kmcnt 0x0
	s_mul_i32 s34, s26, s21
	s_mov_b32 s35, 0
	s_mov_b32 s22, ttmp9
	s_lshl_b64 s[36:37], s[34:35], 2
	s_mov_b32 s13, s35
	s_add_nc_u64 s[18:19], s[18:19], s[36:37]
	s_lshl_b64 s[12:13], s[12:13], 2
	s_ashr_i32 s23, ttmp9, 31
	v_lshlrev_b32_e32 v0, 2, v2
	s_add_nc_u64 s[12:13], s[18:19], s[12:13]
	s_lshl_b64 s[18:19], s[22:23], 2
	s_delay_alu instid0(SALU_CYCLE_1)
	s_add_nc_u64 s[12:13], s[12:13], s[18:19]
	global_load_b32 v3, v0, s[12:13]
.LBB109_9:
	s_or_b32 exec_lo, exec_lo, s15
	v_lshl_add_u32 v0, v5, 5, v2
	v_dual_mov_b32 v8, 0 :: v_dual_mov_b32 v9, 0
	v_cndmask_b32_e64 v6, 0, 1, s14
	s_lshr_b32 s15, s20, 8
	s_delay_alu instid0(VALU_DEP_3) | instskip(SKIP_2) | instid1(VALU_DEP_1)
	v_lshrrev_b32_e32 v7, 4, v0
	s_mov_b32 s18, exec_lo
	s_wait_alu 0xfffe
	v_cmpx_gt_u32_e64 s15, v7
	s_cbranch_execz .LBB109_15
; %bb.10:
	v_and_b32_e32 v1, 8, v2
	v_bfe_u32 v10, v2, 2, 1
	v_lshrrev_b32_e32 v8, 1, v2
	v_bfe_u32 v16, v2, 3, 1
	v_lshlrev_b32_e32 v9, 1, v2
	v_lshrrev_b32_e32 v19, 4, v0
	s_mul_hi_u32 s7, s7, s21
	v_dual_mov_b32 v8, 0 :: v_dual_and_b32 v11, 4, v8
	v_or_b32_e32 v14, v10, v1
	v_lshrrev_b32_e32 v12, 1, v1
	v_mul_hi_u32_u24_e32 v1, 0x90, v16
	v_mul_u32_u24_e32 v0, 0x90, v16
	s_add_co_i32 s7, s21, s7
	s_wait_kmcnt 0x0
	s_mul_i32 s19, s28, s4
	s_lshr_b32 s4, s7, s29
	s_mul_i32 s12, s25, s21
	s_mov_b32 s13, 0
	v_and_b32_e32 v18, 7, v2
	v_and_b32_e32 v9, 30, v9
	v_or_b32_e32 v17, 6, v14
	v_mad_co_u64_u32 v[0:1], null, 0x120, v19, v[0:1]
	s_mul_i32 s7, s4, s24
	s_mul_i32 s4, s30, s5
	s_mov_b32 s5, s13
	s_mul_u64 s[22:23], s[12:13], 36
	s_mul_u64 s[4:5], s[4:5], 36
	s_add_nc_u64 s[10:11], s[10:11], s[22:23]
	v_or_b32_e32 v15, 4, v14
	v_lshrrev_b32_e32 v21, 1, v17
	v_lshlrev_b32_e32 v19, 1, v9
	v_dual_mov_b32 v9, 0 :: v_dual_lshlrev_b32 v20, 1, v18
	s_add_nc_u64 s[4:5], s[10:11], s[4:5]
	s_mul_i32 s31, s31, ttmp9
	v_add_co_u32 v0, vcc_lo, s4, v0
	v_and_b32_e32 v13, 5, v15
	v_lshrrev_b32_e32 v14, 1, v15
	v_and_b32_e32 v15, 7, v17
	v_and_b32_e32 v16, 3, v17
	;; [unrolled: 1-line block ×3, first 2 shown]
	v_lshlrev_b32_e32 v18, 2, v18
	v_add_co_ci_u32_e64 v1, null, s5, v1, vcc_lo
	v_lshlrev_b32_e32 v20, 1, v20
	s_add_co_i32 s7, s7, s31
	s_delay_alu instid0(SALU_CYCLE_1)
	s_add_co_i32 s5, s19, s7
	s_branch .LBB109_12
.LBB109_11:                             ;   in Loop: Header=BB109_12 Depth=1
	v_ashrrev_i32_e32 v34, v11, v34
	v_and_b32_e32 v39, 0x3030303, v24
	v_bfe_u32 v40, v24, 24, 2
	s_wait_loadcnt 0x5
	v_and_b32_e32 v37, 0xff, v37
	v_and_b32_e32 v38, 0xff, v38
	v_not_b32_e32 v34, v34
	v_lshrrev_b32_e32 v45, 16, v39
	v_lshrrev_b16 v46, 8, v39
	v_lshrrev_b32_e32 v42, 2, v24
	v_lshrrev_b32_e32 v44, v12, v37
	v_lshlrev_b32_e32 v41, 2, v34
	v_bfe_u32 v38, v38, v12, 4
	s_wait_loadcnt 0x4
	v_and_b32_e32 v35, 0xff, v35
	v_and_b32_e32 v47, 0x3030303, v42
	v_lshlrev_b32_e32 v44, 4, v44
	v_and_b32_e32 v41, 0x4040404, v41
	v_bfe_u32 v42, v42, 24, 2
	s_wait_loadcnt 0x0
	v_and_b32_e32 v36, 0xff, v36
	v_lshrrev_b32_e32 v35, v12, v35
	v_and_or_b32 v38, v44, 48, v38
	v_lshrrev_b16 v48, 8, v41
	v_lshrrev_b32_e32 v49, 16, v41
	v_lshrrev_b32_e32 v50, 24, v41
	v_sub_nc_u16 v39, v39, v41
	v_lshrrev_b16 v44, 8, v47
	v_sub_nc_u16 v41, v46, v48
	v_sub_nc_u16 v45, v45, v49
	;; [unrolled: 1-line block ×3, first 2 shown]
	v_and_b32_e32 v39, 0xff, v39
	v_lshlrev_b32_e32 v46, 1, v34
	v_lshlrev_b16 v41, 8, v41
	v_and_b32_e32 v45, 0xff, v45
	v_lshlrev_b16 v40, 8, v40
	v_lshrrev_b32_e32 v48, 16, v47
	v_subrev_nc_u32_e32 v38, 32, v38
	v_or_b32_e32 v39, v39, v41
	v_and_b32_e32 v41, 0x4040404, v46
	v_or_b32_e32 v40, v45, v40
	v_lshrrev_b32_e32 v43, 4, v24
	v_bfe_u32 v36, v36, v12, 4
	v_and_b32_e32 v39, 0xffff, v39
	v_lshrrev_b16 v45, 8, v41
	v_lshlrev_b32_e32 v40, 16, v40
	v_lshrrev_b32_e32 v46, 24, v41
	v_lshrrev_b32_e32 v49, 16, v41
	v_sub_nc_u16 v41, v47, v41
	v_lshlrev_b32_e32 v35, 4, v35
	v_or_b32_e32 v39, v39, v40
	v_sub_nc_u16 v40, v44, v45
	v_sub_nc_u16 v42, v42, v46
	;; [unrolled: 1-line block ×3, first 2 shown]
	v_and_b32_e32 v41, 0xff, v41
	v_dot4_i32_iu8 v32, v39, v32, 0 neg_lo:[1,1,0]
	v_lshlrev_b16 v39, 8, v40
	v_lshlrev_b16 v40, 8, v42
	v_and_b32_e32 v42, 0xff, v44
	v_and_or_b32 v35, v35, 48, v36
	v_mul_lo_u32 v32, v38, v32
	v_or_b32_e32 v38, v41, v39
	v_and_b32_e32 v33, 0xff, v33
	v_or_b32_e32 v39, v42, v40
	v_and_b32_e32 v40, 0x3030303, v43
	v_lshrrev_b32_e32 v37, v14, v37
	v_and_b32_e32 v36, 0xffff, v38
	v_bfe_u32 v33, v33, v12, 4
	v_lshlrev_b32_e32 v38, 16, v39
	v_and_b32_e32 v39, 0x4040404, v34
	v_lshlrev_b32_e32 v37, 4, v37
	v_lshrrev_b32_e32 v34, 1, v34
	v_and_b32_e32 v30, 0xff, v30
	v_or_b32_e32 v36, v36, v38
	v_lshrrev_b16 v38, 8, v40
	v_lshrrev_b16 v41, 8, v39
	v_sub_nc_u16 v42, v40, v39
	v_and_or_b32 v33, v37, 48, v33
	v_dot4_i32_iu8 v31, v36, v31, 0 neg_lo:[1,1,0]
	v_bfe_u32 v36, v43, 24, 2
	v_sub_nc_u16 v38, v38, v41
	v_and_b32_e32 v37, 0xff, v42
	v_lshrrev_b32_e32 v41, 24, v39
	v_lshrrev_b32_e32 v40, 16, v40
	;; [unrolled: 1-line block ×3, first 2 shown]
	v_lshlrev_b16 v38, 8, v38
	v_lshrrev_b32_e32 v42, 6, v24
	v_sub_nc_u16 v36, v36, v41
	v_and_b32_e32 v34, 0x4040404, v34
	v_lshrrev_b32_e32 v24, 30, v24
	v_or_b32_e32 v37, v37, v38
	v_sub_nc_u16 v38, v40, v39
	v_and_b32_e32 v39, 0x3030303, v42
	v_lshlrev_b16 v36, 8, v36
	v_lshrrev_b16 v42, 8, v34
	v_lshrrev_b32_e32 v43, 24, v34
	v_and_b32_e32 v38, 0xff, v38
	v_lshrrev_b32_e32 v40, 16, v39
	v_lshrrev_b16 v41, 8, v39
	v_lshrrev_b32_e32 v44, 16, v34
	v_sub_nc_u16 v34, v39, v34
	v_or_b32_e32 v36, v38, v36
	v_sub_nc_u16 v24, v24, v43
	v_sub_nc_u16 v38, v41, v42
	;; [unrolled: 1-line block ×3, first 2 shown]
	v_and_b32_e32 v34, 0xff, v34
	v_and_b32_e32 v37, 0xffff, v37
	v_lshlrev_b16 v24, 8, v24
	v_lshlrev_b16 v38, 8, v38
	v_and_b32_e32 v39, 0xff, v39
	v_lshlrev_b32_e32 v36, 16, v36
	v_and_b32_e32 v29, 0xff, v29
	v_lshrrev_b32_e32 v30, v17, v30
	v_or_b32_e32 v34, v34, v38
	v_or_b32_e32 v24, v39, v24
	v_subrev_nc_u32_e32 v35, 32, v35
	v_or_b32_e32 v36, v37, v36
	v_bfe_u32 v29, v29, v12, 4
	v_lshlrev_b32_e32 v30, 4, v30
	v_and_b32_e32 v34, 0xffff, v34
	v_lshlrev_b32_e32 v24, 16, v24
	v_mul_lo_u32 v31, v35, v31
	v_subrev_nc_u32_e32 v33, 32, v33
	v_dot4_i32_iu8 v23, v36, v23, 0 neg_lo:[1,1,0]
	v_and_or_b32 v29, v30, 48, v29
	v_or_b32_e32 v24, v34, v24
	v_cvt_f32_i32_e32 v32, v32
	v_add_nc_u32_e32 v7, 2, v7
	v_mul_lo_u32 v23, v33, v23
	v_subrev_nc_u32_e32 v29, 32, v29
	v_dot4_i32_iu8 v22, v24, v22, 0 neg_lo:[1,1,0]
	v_fma_f32 v28, v28, v32, 0
	v_cvt_f32_i32_e32 v24, v31
	v_cmp_le_u32_e32 vcc_lo, s15, v7
	v_add_co_u32 v0, s4, 0x240, v0
	v_mul_lo_u32 v22, v29, v22
	s_delay_alu instid0(VALU_DEP_4)
	v_fmac_f32_e32 v28, v27, v24
	v_cvt_f32_i32_e32 v23, v23
	s_wait_alu 0xf1ff
	v_add_co_ci_u32_e64 v1, null, 0, v1, s4
	s_or_b32 s13, vcc_lo, s13
	v_fmac_f32_e32 v28, v26, v23
	v_cvt_f32_i32_e32 v22, v22
	s_delay_alu instid0(VALU_DEP_1) | instskip(NEXT) | instid1(VALU_DEP_1)
	v_fmac_f32_e32 v28, v25, v22
	v_fma_mix_f32 v8, v28, v21, v8 op_sel_hi:[0,1,0]
	s_and_not1_b32 exec_lo, exec_lo, s13
	s_cbranch_execz .LBB109_14
.LBB109_12:                             ; =>This Inner Loop Header: Depth=1
	s_wait_alu 0xfffe
	v_add_nc_u32_e32 v39, s5, v7
	s_delay_alu instid0(VALU_DEP_1) | instskip(NEXT) | instid1(VALU_DEP_1)
	v_mad_co_i64_i32 v[25:26], null, 0x6e, v39, s[8:9]
	v_add_co_u32 v22, vcc_lo, v25, v19
	s_wait_alu 0xfffd
	s_delay_alu instid0(VALU_DEP_2)
	v_add_co_ci_u32_e64 v23, null, 0, v26, vcc_lo
	v_add_co_u32 v27, vcc_lo, v25, v20
	s_wait_alu 0xfffd
	v_add_co_ci_u32_e64 v28, null, 0, v26, vcc_lo
	v_add_co_u32 v29, vcc_lo, v0, v18
	s_wait_alu 0xfffd
	v_add_co_ci_u32_e64 v30, null, 0, v1, vcc_lo
	s_clause 0x2
	global_load_u16 v21, v[25:26], off offset:108
	global_load_b32 v24, v[22:23], off offset:32
	global_load_b32 v34, v[27:28], off
	s_clause 0x7
	global_load_b32 v32, v[29:30], off offset:4
	global_load_b32 v31, v[29:30], off offset:40
	global_load_b32 v23, v[29:30], off offset:76
	global_load_b32 v22, v[29:30], off offset:112
	global_load_b32 v42, v[0:1], off
	global_load_b32 v43, v[0:1], off offset:36
	global_load_b32 v44, v[0:1], off offset:72
	;; [unrolled: 1-line block ×3, first 2 shown]
	v_add_co_u32 v27, vcc_lo, v25, v10
	s_wait_alu 0xfffd
	v_add_co_ci_u32_e64 v28, null, 0, v26, vcc_lo
	v_add_co_u32 v29, vcc_lo, v25, v13
	s_wait_alu 0xfffd
	v_add_co_ci_u32_e64 v30, null, 0, v26, vcc_lo
	;; [unrolled: 3-line block ×4, first 2 shown]
	s_clause 0x6
	global_load_u8 v38, v[27:28], off offset:96
	global_load_u8 v37, v[27:28], off offset:104
	;; [unrolled: 1-line block ×7, first 2 shown]
	s_and_not1_b32 vcc_lo, exec_lo, s14
	s_wait_loadcnt 0xa
	v_cvt_f32_f16_e32 v28, v42
	s_wait_loadcnt 0x9
	v_cvt_f32_f16_e32 v27, v43
	s_wait_loadcnt 0x8
	v_cvt_f32_f16_e32 v26, v44
	s_wait_loadcnt 0x7
	v_cvt_f32_f16_e32 v25, v45
	s_wait_alu 0xfffe
	s_cbranch_vccnz .LBB109_11
; %bb.13:                               ;   in Loop: Header=BB109_12 Depth=1
	v_mad_co_i64_i32 v[39:40], null, 0x6e, v39, s[16:17]
	s_delay_alu instid0(VALU_DEP_1) | instskip(SKIP_1) | instid1(VALU_DEP_2)
	v_add_co_u32 v41, vcc_lo, v39, v15
	s_wait_alu 0xfffd
	v_add_co_ci_u32_e64 v42, null, 0, v40, vcc_lo
	v_add_co_u32 v43, vcc_lo, v39, v10
	s_wait_alu 0xfffd
	v_add_co_ci_u32_e64 v44, null, 0, v40, vcc_lo
	;; [unrolled: 3-line block ×5, first 2 shown]
	s_clause 0x6
	global_load_b32 v47, v[47:48], off offset:32
	global_load_b32 v45, v[45:46], off
	global_load_u8 v46, v[43:44], off offset:96
	global_load_u8 v48, v[43:44], off offset:104
	;; [unrolled: 1-line block ×5, first 2 shown]
	v_add_co_u32 v43, vcc_lo, v39, v16
	s_wait_alu 0xfffd
	v_add_co_ci_u32_e64 v44, null, 0, v40, vcc_lo
	s_clause 0x2
	global_load_u8 v41, v[41:42], off offset:96
	global_load_u8 v42, v[43:44], off offset:104
	global_load_u16 v39, v[39:40], off offset:108
	s_wait_loadcnt 0x9
	v_lshrrev_b32_e32 v53, 4, v47
	s_wait_loadcnt 0x8
	v_ashrrev_i32_e32 v40, v11, v45
	s_wait_loadcnt 0x7
	v_bfe_u32 v43, v46, v12, 4
	s_wait_loadcnt 0x6
	v_lshrrev_b32_e32 v44, v12, v48
	v_lshrrev_b32_e32 v48, v14, v48
	v_and_b32_e32 v45, 0x3030303, v47
	v_not_b32_e32 v40, v40
	s_wait_loadcnt 0x5
	v_lshrrev_b32_e32 v51, v12, v51
	v_lshlrev_b32_e32 v44, 4, v44
	v_lshrrev_b32_e32 v52, 2, v47
	s_wait_loadcnt 0x4
	v_bfe_u32 v49, v49, v12, 4
	v_lshrrev_b32_e32 v54, 6, v47
	v_lshlrev_b32_e32 v48, 4, v48
	v_and_or_b32 v43, v44, 48, v43
	v_lshlrev_b32_e32 v44, 2, v40
	v_and_b32_e32 v58, 0x3030303, v53
	v_lshlrev_b32_e32 v60, 1, v40
	v_and_b32_e32 v62, 0x4040404, v40
	v_lshrrev_b32_e32 v40, 1, v40
	v_and_b32_e32 v44, 0x4040404, v44
	v_bfe_u32 v46, v47, 24, 2
	s_wait_loadcnt 0x3
	v_bfe_u32 v50, v50, v12, 4
	v_lshrrev_b32_e32 v55, 16, v45
	v_lshrrev_b16 v56, 8, v45
	v_lshlrev_b32_e32 v51, 4, v51
	v_and_b32_e32 v57, 0x3030303, v52
	v_bfe_u32 v53, v53, 24, 2
	v_and_b32_e32 v54, 0x3030303, v54
	v_and_or_b32 v48, v48, 48, v49
	v_lshrrev_b32_e32 v49, 16, v58
	v_lshrrev_b16 v61, 8, v58
	v_and_b32_e32 v60, 0x4040404, v60
	v_lshrrev_b32_e32 v65, 16, v62
	v_lshrrev_b32_e32 v66, 24, v62
	v_lshrrev_b16 v67, 8, v62
	v_sub_nc_u16 v58, v58, v62
	v_and_b32_e32 v40, 0x4040404, v40
	v_lshrrev_b32_e32 v62, 16, v44
	v_lshrrev_b32_e32 v68, 24, v44
	v_lshrrev_b16 v69, 8, v44
	v_bfe_u32 v52, v52, 24, 2
	v_and_or_b32 v50, v51, 48, v50
	v_lshrrev_b32_e32 v51, 16, v57
	v_lshrrev_b16 v59, 8, v57
	v_lshrrev_b32_e32 v63, 16, v54
	v_lshrrev_b16 v64, 8, v54
	v_sub_nc_u16 v44, v45, v44
	v_lshrrev_b32_e32 v45, 16, v60
	v_lshrrev_b32_e32 v70, 24, v60
	v_lshrrev_b16 v71, 8, v60
	v_sub_nc_u16 v57, v57, v60
	v_sub_nc_u16 v60, v61, v67
	v_sub_nc_u16 v53, v53, v66
	v_sub_nc_u16 v49, v49, v65
	v_lshrrev_b32_e32 v61, 16, v40
	v_lshrrev_b32_e32 v65, 24, v40
	v_lshrrev_b16 v66, 8, v40
	v_sub_nc_u16 v40, v54, v40
	v_sub_nc_u16 v54, v56, v69
	;; [unrolled: 1-line block ×4, first 2 shown]
	v_and_b32_e32 v44, 0xff, v44
	v_and_b32_e32 v56, 0xff, v57
	v_sub_nc_u16 v57, v59, v71
	v_sub_nc_u16 v52, v52, v70
	v_sub_nc_u16 v45, v51, v45
	v_lshlrev_b16 v54, 8, v54
	v_lshlrev_b16 v46, 8, v46
	v_and_b32_e32 v55, 0xff, v55
	v_lshrrev_b32_e32 v47, 30, v47
	v_lshlrev_b16 v57, 8, v57
	v_lshlrev_b16 v52, 8, v52
	v_and_b32_e32 v45, 0xff, v45
	v_or_b32_e32 v44, v44, v54
	v_or_b32_e32 v46, v55, v46
	v_and_b32_e32 v58, 0xff, v58
	v_lshlrev_b16 v51, 8, v60
	v_lshlrev_b16 v53, 8, v53
	v_and_b32_e32 v49, 0xff, v49
	v_sub_nc_u16 v59, v64, v66
	v_sub_nc_u16 v47, v47, v65
	v_sub_nc_u16 v60, v63, v61
	v_or_b32_e32 v54, v56, v57
	v_or_b32_e32 v45, v45, v52
	v_and_b32_e32 v44, 0xffff, v44
	v_lshlrev_b32_e32 v46, 16, v46
	v_and_b32_e32 v40, 0xff, v40
	v_or_b32_e32 v51, v58, v51
	v_or_b32_e32 v49, v49, v53
	v_lshlrev_b16 v53, 8, v59
	v_lshlrev_b16 v47, 8, v47
	v_and_b32_e32 v52, 0xff, v60
	v_and_b32_e32 v54, 0xffff, v54
	v_lshlrev_b32_e32 v45, 16, v45
	v_or_b32_e32 v44, v44, v46
	s_wait_loadcnt 0x1
	v_lshrrev_b32_e32 v42, v17, v42
	v_subrev_nc_u32_e32 v43, 32, v43
	v_and_b32_e32 v46, 0xffff, v51
	v_lshlrev_b32_e32 v49, 16, v49
	v_or_b32_e32 v40, v40, v53
	v_or_b32_e32 v45, v54, v45
	v_dot4_i32_iu8 v44, v44, v32, 0 neg_lo:[1,1,0]
	v_or_b32_e32 v47, v52, v47
	v_bfe_u32 v41, v41, v12, 4
	v_lshlrev_b32_e32 v42, 4, v42
	v_subrev_nc_u32_e32 v50, 32, v50
	v_or_b32_e32 v46, v46, v49
	v_and_b32_e32 v40, 0xffff, v40
	v_dot4_i32_iu8 v45, v45, v31, 0 neg_lo:[1,1,0]
	v_mul_lo_u32 v43, v43, v44
	v_lshlrev_b32_e32 v44, 16, v47
	v_subrev_nc_u32_e32 v47, 32, v48
	v_dot4_i32_iu8 v46, v46, v23, 0 neg_lo:[1,1,0]
	v_mul_lo_u32 v45, v50, v45
	v_and_or_b32 v41, v42, 48, v41
	v_or_b32_e32 v40, v40, v44
	v_cvt_f32_i32_e32 v42, v43
	v_mul_lo_u32 v43, v47, v46
	s_delay_alu instid0(VALU_DEP_4) | instskip(NEXT) | instid1(VALU_DEP_4)
	v_subrev_nc_u32_e32 v41, 32, v41
	v_dot4_i32_iu8 v40, v40, v22, 0 neg_lo:[1,1,0]
	v_cvt_f32_i32_e32 v44, v45
	v_fma_f32 v42, v28, v42, 0
	s_delay_alu instid0(VALU_DEP_3) | instskip(SKIP_1) | instid1(VALU_DEP_3)
	v_mul_lo_u32 v40, v41, v40
	v_cvt_f32_i32_e32 v41, v43
	v_fmac_f32_e32 v42, v27, v44
	s_delay_alu instid0(VALU_DEP_1) | instskip(NEXT) | instid1(VALU_DEP_4)
	v_fmac_f32_e32 v42, v26, v41
	v_cvt_f32_i32_e32 v40, v40
	s_delay_alu instid0(VALU_DEP_1) | instskip(SKIP_1) | instid1(VALU_DEP_1)
	v_fmac_f32_e32 v42, v25, v40
	s_wait_loadcnt 0x0
	v_fma_mix_f32 v9, v42, v39, v9 op_sel_hi:[0,1,0]
	s_branch .LBB109_11
.LBB109_14:
	s_or_b32 exec_lo, exec_lo, s13
.LBB109_15:
	s_delay_alu instid0(SALU_CYCLE_1)
	s_or_b32 exec_lo, exec_lo, s18
	s_load_b32 s4, s[0:1], 0x30
	s_wait_loadcnt 0x0
	; wave barrier
	global_inv scope:SCOPE_SE
	s_mov_b32 s5, exec_lo
	v_cmpx_eq_u32_e32 0, v5
	s_cbranch_execz .LBB109_43
; %bb.16:
	v_mbcnt_lo_u32_b32 v1, -1, 0
	s_delay_alu instid0(VALU_DEP_1) | instskip(SKIP_1) | instid1(VALU_DEP_2)
	v_xor_b32_e32 v0, 16, v1
	v_xor_b32_e32 v7, 8, v1
	v_cmp_gt_i32_e32 vcc_lo, 32, v0
	s_wait_alu 0xfffd
	v_cndmask_b32_e32 v0, v1, v0, vcc_lo
	s_delay_alu instid0(VALU_DEP_3) | instskip(SKIP_2) | instid1(VALU_DEP_1)
	v_cmp_gt_i32_e32 vcc_lo, 32, v7
	s_wait_alu 0xfffd
	v_cndmask_b32_e32 v7, v1, v7, vcc_lo
	v_lshlrev_b32_e32 v7, 2, v7
	v_lshlrev_b32_e32 v0, 2, v0
	ds_bpermute_b32 v5, v0, v8
	s_wait_dscnt 0x0
	v_add_f32_e32 v5, v8, v5
	v_xor_b32_e32 v8, 4, v1
	ds_bpermute_b32 v10, v7, v5
	v_cmp_gt_i32_e32 vcc_lo, 32, v8
	s_wait_alu 0xfffd
	v_cndmask_b32_e32 v8, v1, v8, vcc_lo
	s_wait_dscnt 0x0
	s_delay_alu instid0(VALU_DEP_1)
	v_dual_add_f32 v5, v5, v10 :: v_dual_lshlrev_b32 v8, 2, v8
	v_xor_b32_e32 v10, 2, v1
	ds_bpermute_b32 v11, v8, v5
	v_cmp_gt_i32_e32 vcc_lo, 32, v10
	s_wait_alu 0xfffd
	v_cndmask_b32_e32 v10, v1, v10, vcc_lo
	s_wait_dscnt 0x0
	s_delay_alu instid0(VALU_DEP_1)
	v_dual_add_f32 v5, v5, v11 :: v_dual_lshlrev_b32 v10, 2, v10
	v_xor_b32_e32 v11, 1, v1
	ds_bpermute_b32 v12, v10, v5
	v_cmp_gt_i32_e32 vcc_lo, 32, v11
	s_wait_alu 0xfffd
	v_cndmask_b32_e32 v1, v1, v11, vcc_lo
	v_cmp_ne_u32_e32 vcc_lo, 1, v6
	s_delay_alu instid0(VALU_DEP_2)
	v_lshlrev_b32_e32 v11, 2, v1
	s_wait_dscnt 0x0
	v_add_f32_e32 v1, v5, v12
	ds_bpermute_b32 v5, v11, v1
	s_cbranch_vccnz .LBB109_18
; %bb.17:
	ds_bpermute_b32 v0, v0, v9
	s_wait_dscnt 0x0
	v_add_f32_e32 v0, v9, v0
	ds_bpermute_b32 v7, v7, v0
	s_wait_dscnt 0x0
	v_add_f32_e32 v0, v0, v7
	;; [unrolled: 3-line block ×5, first 2 shown]
.LBB109_18:
	v_cmp_eq_u32_e32 vcc_lo, 0, v2
	s_and_b32 exec_lo, exec_lo, vcc_lo
	s_cbranch_execz .LBB109_43
; %bb.19:
	s_wait_dscnt 0x0
	v_add_f32_e32 v0, v1, v5
	v_cmp_ne_u32_e32 vcc_lo, 1, v6
	s_delay_alu instid0(VALU_DEP_2) | instskip(NEXT) | instid1(VALU_DEP_1)
	v_add_f32_e32 v1, v4, v0
	v_cndmask_b32_e64 v0, v0, v1, s2
	s_cbranch_vccnz .LBB109_42
; %bb.20:
	v_add_f32_e32 v1, v3, v9
	s_wait_kmcnt 0x0
	s_cmp_lt_i32 s4, 2
	s_mov_b32 s2, 0
	s_delay_alu instid0(VALU_DEP_1)
	v_cndmask_b32_e64 v1, v9, v1, s3
	s_cbranch_scc1 .LBB109_25
; %bb.21:
	s_cmp_gt_i32 s4, 2
	s_cbranch_scc0 .LBB109_26
; %bb.22:
	s_cmp_eq_u32 s4, 3
	s_cbranch_scc0 .LBB109_27
; %bb.23:
	v_max_num_f32_e32 v3, v1, v1
	s_mov_b32 s3, 0xc0e00000
	s_delay_alu instid0(VALU_DEP_1) | instskip(NEXT) | instid1(VALU_DEP_1)
	v_min_num_f32_e32 v3, 0x40e00000, v3
	v_mul_f32_e32 v4, 0xbfd9db23, v3
	s_delay_alu instid0(VALU_DEP_1) | instskip(NEXT) | instid1(VALU_DEP_1)
	v_mul_f32_e32 v5, 0x3fb8aa3b, v4
	v_fma_f32 v6, 0x3fb8aa3b, v4, -v5
	v_rndne_f32_e32 v7, v5
	s_delay_alu instid0(VALU_DEP_1) | instskip(NEXT) | instid1(VALU_DEP_1)
	v_dual_fmamk_f32 v6, v4, 0x32a5705f, v6 :: v_dual_sub_f32 v5, v5, v7
	v_add_f32_e32 v5, v5, v6
	v_cvt_i32_f32_e32 v6, v7
	v_cmp_ngt_f32_e32 vcc_lo, 0xc2ce8ed0, v4
	s_delay_alu instid0(VALU_DEP_3) | instskip(NEXT) | instid1(TRANS32_DEP_1)
	v_exp_f32_e32 v5, v5
	v_ldexp_f32 v5, v5, v6
	s_wait_alu 0xfffd
	s_delay_alu instid0(VALU_DEP_1) | instskip(SKIP_2) | instid1(VALU_DEP_2)
	v_cndmask_b32_e32 v5, 0, v5, vcc_lo
	v_cmp_nlt_f32_e32 vcc_lo, 0x42b17218, v4
	s_wait_alu 0xfffd
	v_cndmask_b32_e32 v4, 0x7f800000, v5, vcc_lo
	s_delay_alu instid0(VALU_DEP_1) | instskip(NEXT) | instid1(VALU_DEP_1)
	v_add_f32_e32 v4, 1.0, v4
	v_div_scale_f32 v5, null, v4, v4, v3
	v_div_scale_f32 v8, vcc_lo, v3, v4, v3
	s_delay_alu instid0(VALU_DEP_2) | instskip(NEXT) | instid1(TRANS32_DEP_1)
	v_rcp_f32_e32 v6, v5
	v_fma_f32 v7, -v5, v6, 1.0
	s_delay_alu instid0(VALU_DEP_1) | instskip(NEXT) | instid1(VALU_DEP_1)
	v_fmac_f32_e32 v6, v7, v6
	v_mul_f32_e32 v7, v8, v6
	s_delay_alu instid0(VALU_DEP_1) | instskip(NEXT) | instid1(VALU_DEP_1)
	v_fma_f32 v9, -v5, v7, v8
	v_fmac_f32_e32 v7, v9, v6
	s_delay_alu instid0(VALU_DEP_1) | instskip(SKIP_2) | instid1(VALU_DEP_2)
	v_fma_f32 v5, -v5, v7, v8
	v_max_num_f32_e32 v8, v0, v0
	s_wait_alu 0xfffd
	v_div_fmas_f32 v5, v5, v6, v7
	s_wait_alu 0xfffe
	s_delay_alu instid0(VALU_DEP_2) | instskip(SKIP_1) | instid1(VALU_DEP_2)
	v_minmax_num_f32 v6, v8, 0x40e00000, s3
	s_mov_b32 s3, 0
	v_div_fixup_f32 v3, v5, v4, v3
	s_delay_alu instid0(VALU_DEP_2) | instskip(NEXT) | instid1(VALU_DEP_1)
	v_add_f32_e32 v4, 1.0, v6
	v_mul_f32_e32 v3, v4, v3
	s_branch .LBB109_28
.LBB109_24:
                                        ; implicit-def: $sgpr28
	s_clause 0x1
	s_load_b32 s31, s[0:1], 0x50
	s_load_b32 s29, s[0:1], 0x78
	s_branch .LBB109_2
.LBB109_25:
	s_mov_b32 s3, 0
                                        ; implicit-def: $vgpr3
	s_cbranch_execnz .LBB109_32
	s_branch .LBB109_33
.LBB109_26:
	s_mov_b32 s5, -1
	s_mov_b32 s3, 0
                                        ; implicit-def: $vgpr3
	s_branch .LBB109_29
.LBB109_27:
	s_mov_b32 s3, -1
                                        ; implicit-def: $vgpr3
.LBB109_28:
	s_mov_b32 s5, 0
.LBB109_29:
	s_wait_alu 0xfffe
	s_and_b32 vcc_lo, exec_lo, s5
	s_wait_alu 0xfffe
	s_cbranch_vccz .LBB109_31
; %bb.30:
	v_mul_f32_e32 v3, 0xbfb8aa3b, v1
	v_cmp_nlt_f32_e32 vcc_lo, 0x42ce8ed0, v1
	s_delay_alu instid0(VALU_DEP_2) | instskip(SKIP_1) | instid1(VALU_DEP_2)
	v_rndne_f32_e32 v4, v3
	v_fma_f32 v5, 0xbfb8aa3b, v1, -v3
	v_sub_f32_e32 v3, v3, v4
	s_delay_alu instid0(VALU_DEP_2) | instskip(SKIP_1) | instid1(VALU_DEP_2)
	v_fmamk_f32 v5, v1, 0xb2a5705f, v5
	v_cvt_i32_f32_e32 v4, v4
	v_add_f32_e32 v3, v3, v5
	s_delay_alu instid0(VALU_DEP_1) | instskip(NEXT) | instid1(TRANS32_DEP_1)
	v_exp_f32_e32 v3, v3
	v_ldexp_f32 v3, v3, v4
	s_wait_alu 0xfffd
	s_delay_alu instid0(VALU_DEP_1) | instskip(SKIP_2) | instid1(VALU_DEP_2)
	v_cndmask_b32_e32 v3, 0, v3, vcc_lo
	v_cmp_ngt_f32_e32 vcc_lo, 0xc2b17218, v1
	s_wait_alu 0xfffd
	v_cndmask_b32_e32 v3, 0x7f800000, v3, vcc_lo
	s_delay_alu instid0(VALU_DEP_1) | instskip(NEXT) | instid1(VALU_DEP_1)
	v_add_f32_e32 v3, 1.0, v3
	v_div_scale_f32 v4, null, v3, v3, v1
	s_delay_alu instid0(VALU_DEP_1) | instskip(NEXT) | instid1(TRANS32_DEP_1)
	v_rcp_f32_e32 v5, v4
	v_fma_f32 v6, -v4, v5, 1.0
	s_delay_alu instid0(VALU_DEP_1) | instskip(SKIP_1) | instid1(VALU_DEP_1)
	v_fmac_f32_e32 v5, v6, v5
	v_div_scale_f32 v6, vcc_lo, v1, v3, v1
	v_mul_f32_e32 v7, v6, v5
	s_delay_alu instid0(VALU_DEP_1) | instskip(NEXT) | instid1(VALU_DEP_1)
	v_fma_f32 v8, -v4, v7, v6
	v_fmac_f32_e32 v7, v8, v5
	s_delay_alu instid0(VALU_DEP_1) | instskip(SKIP_1) | instid1(VALU_DEP_1)
	v_fma_f32 v4, -v4, v7, v6
	s_wait_alu 0xfffd
	v_div_fmas_f32 v4, v4, v5, v7
	s_delay_alu instid0(VALU_DEP_1) | instskip(NEXT) | instid1(VALU_DEP_1)
	v_div_fixup_f32 v3, v4, v3, v1
	v_mul_f32_e32 v3, v0, v3
.LBB109_31:
	s_branch .LBB109_33
.LBB109_32:
	s_cmp_lg_u32 s4, 1
	s_mov_b32 s2, -1
	s_cselect_b32 s3, -1, 0
.LBB109_33:
	s_wait_alu 0xfffe
	s_and_not1_b32 vcc_lo, exec_lo, s3
	s_wait_alu 0xfffe
	s_cbranch_vccz .LBB109_35
; %bb.34:
	s_and_not1_b32 vcc_lo, exec_lo, s2
	s_wait_alu 0xfffe
	s_cbranch_vccz .LBB109_36
	s_branch .LBB109_41
.LBB109_35:
	v_mul_f32_e32 v3, v1, v0
	s_cbranch_execnz .LBB109_41
.LBB109_36:
	v_mul_f32_e32 v3, 0x3d372713, v1
	v_mul_f32_e32 v4, 0x3f4c422a, v1
	s_delay_alu instid0(VALU_DEP_2) | instskip(NEXT) | instid1(VALU_DEP_1)
	v_fma_f32 v3, v1, v3, 1.0
	v_mul_f32_e32 v3, v4, v3
                                        ; implicit-def: $vgpr4
	s_delay_alu instid0(VALU_DEP_1)
	v_cmp_ngt_f32_e64 s2, 0x3f200000, |v3|
	s_and_saveexec_b32 s3, s2
	s_wait_alu 0xfffe
	s_xor_b32 s2, exec_lo, s3
	s_cbranch_execz .LBB109_38
; %bb.37:
	v_add_f32_e64 v4, |v3|, |v3|
	s_delay_alu instid0(VALU_DEP_1) | instskip(SKIP_1) | instid1(VALU_DEP_2)
	v_mul_f32_e32 v5, 0x3fb8aa3b, v4
	v_cmp_ngt_f32_e32 vcc_lo, 0xc2ce8ed0, v4
	v_rndne_f32_e32 v6, v5
	v_fma_f32 v7, 0x3fb8aa3b, v4, -v5
	s_delay_alu instid0(VALU_DEP_2) | instskip(NEXT) | instid1(VALU_DEP_2)
	v_sub_f32_e32 v5, v5, v6
	v_fmamk_f32 v7, v4, 0x32a5705f, v7
	v_cvt_i32_f32_e32 v6, v6
	s_delay_alu instid0(VALU_DEP_2) | instskip(NEXT) | instid1(VALU_DEP_1)
	v_add_f32_e32 v5, v5, v7
	v_exp_f32_e32 v5, v5
	s_delay_alu instid0(TRANS32_DEP_1) | instskip(SKIP_1) | instid1(VALU_DEP_1)
	v_ldexp_f32 v5, v5, v6
	s_wait_alu 0xfffd
	v_cndmask_b32_e32 v5, 0, v5, vcc_lo
	v_cmp_nlt_f32_e32 vcc_lo, 0x42b17218, v4
	s_wait_alu 0xfffd
	s_delay_alu instid0(VALU_DEP_2) | instskip(NEXT) | instid1(VALU_DEP_1)
	v_cndmask_b32_e32 v4, 0x7f800000, v5, vcc_lo
	v_add_f32_e32 v4, 1.0, v4
	s_delay_alu instid0(VALU_DEP_1) | instskip(NEXT) | instid1(TRANS32_DEP_1)
	v_rcp_f32_e32 v4, v4
	v_fma_f32 v4, v4, -2.0, 1.0
.LBB109_38:
	s_wait_alu 0xfffe
	s_and_not1_saveexec_b32 s2, s2
	s_cbranch_execz .LBB109_40
; %bb.39:
	v_mul_f32_e32 v4, v3, v3
	s_mov_b32 s3, 0xbbbac73d
	s_wait_alu 0xfffe
	s_delay_alu instid0(VALU_DEP_1) | instskip(NEXT) | instid1(VALU_DEP_1)
	v_fmaak_f32 v5, s3, v4, 0x3ca908c9
	v_fmaak_f32 v5, v4, v5, 0xbd5c1c4e
	s_delay_alu instid0(VALU_DEP_1) | instskip(NEXT) | instid1(VALU_DEP_1)
	v_fmaak_f32 v5, v4, v5, 0x3e088382
	v_fmaak_f32 v5, v4, v5, 0xbeaaaa99
	s_delay_alu instid0(VALU_DEP_1) | instskip(NEXT) | instid1(VALU_DEP_1)
	v_mul_f32_e64 v5, |v3|, v5
	v_fma_f32 v4, v4, v5, |v3|
.LBB109_40:
	s_wait_alu 0xfffe
	s_or_b32 exec_lo, exec_lo, s2
	s_delay_alu instid0(VALU_DEP_1) | instskip(SKIP_1) | instid1(VALU_DEP_2)
	v_bfi_b32 v3, 0x7fffffff, v4, v3
	v_mul_f32_e32 v1, 0.5, v1
	v_add_f32_e32 v3, 1.0, v3
	s_delay_alu instid0(VALU_DEP_1) | instskip(NEXT) | instid1(VALU_DEP_1)
	v_mul_f32_e32 v1, v1, v3
	v_mul_f32_e32 v3, v0, v1
.LBB109_41:
	s_delay_alu instid0(VALU_DEP_1)
	v_mov_b32_e32 v0, v3
.LBB109_42:
	s_load_b64 s[0:1], s[0:1], 0x38
	s_mul_i32 s2, s6, s27
	s_wait_kmcnt 0x0
	s_mul_i32 s3, s26, s21
	s_wait_alu 0xfffe
	s_add_co_i32 s2, s2, ttmp9
	v_lshlrev_b32_e32 v1, 2, v2
	s_wait_alu 0xfffe
	s_add_co_i32 s2, s2, s3
	s_mov_b32 s3, 0
	s_wait_alu 0xfffe
	s_lshl_b64 s[2:3], s[2:3], 2
	s_wait_alu 0xfffe
	s_add_nc_u64 s[0:1], s[0:1], s[2:3]
	global_store_b32 v1, v0, s[0:1]
.LBB109_43:
	s_endpgm
	.section	.rodata,"a",@progbits
	.p2align	6, 0x0
	.amdhsa_kernel _ZL13mul_mat_vec_qIL9ggml_type11ELi1ELb1ELb1EEvPKvS2_PKi31ggml_cuda_mm_fusion_args_devicePfj15HIP_vector_typeIjLj3EEjjjS8_jjjS8_jjjj
		.amdhsa_group_segment_fixed_size 0
		.amdhsa_private_segment_fixed_size 0
		.amdhsa_kernarg_size 144
		.amdhsa_user_sgpr_count 2
		.amdhsa_user_sgpr_dispatch_ptr 0
		.amdhsa_user_sgpr_queue_ptr 0
		.amdhsa_user_sgpr_kernarg_segment_ptr 1
		.amdhsa_user_sgpr_dispatch_id 0
		.amdhsa_user_sgpr_private_segment_size 0
		.amdhsa_wavefront_size32 1
		.amdhsa_uses_dynamic_stack 0
		.amdhsa_enable_private_segment 0
		.amdhsa_system_sgpr_workgroup_id_x 1
		.amdhsa_system_sgpr_workgroup_id_y 1
		.amdhsa_system_sgpr_workgroup_id_z 1
		.amdhsa_system_sgpr_workgroup_info 0
		.amdhsa_system_vgpr_workitem_id 1
		.amdhsa_next_free_vgpr 72
		.amdhsa_next_free_sgpr 38
		.amdhsa_reserve_vcc 1
		.amdhsa_float_round_mode_32 0
		.amdhsa_float_round_mode_16_64 0
		.amdhsa_float_denorm_mode_32 3
		.amdhsa_float_denorm_mode_16_64 3
		.amdhsa_fp16_overflow 0
		.amdhsa_workgroup_processor_mode 1
		.amdhsa_memory_ordered 1
		.amdhsa_forward_progress 1
		.amdhsa_inst_pref_size 37
		.amdhsa_round_robin_scheduling 0
		.amdhsa_exception_fp_ieee_invalid_op 0
		.amdhsa_exception_fp_denorm_src 0
		.amdhsa_exception_fp_ieee_div_zero 0
		.amdhsa_exception_fp_ieee_overflow 0
		.amdhsa_exception_fp_ieee_underflow 0
		.amdhsa_exception_fp_ieee_inexact 0
		.amdhsa_exception_int_div_zero 0
	.end_amdhsa_kernel
	.section	.text._ZL13mul_mat_vec_qIL9ggml_type11ELi1ELb1ELb1EEvPKvS2_PKi31ggml_cuda_mm_fusion_args_devicePfj15HIP_vector_typeIjLj3EEjjjS8_jjjS8_jjjj,"axG",@progbits,_ZL13mul_mat_vec_qIL9ggml_type11ELi1ELb1ELb1EEvPKvS2_PKi31ggml_cuda_mm_fusion_args_devicePfj15HIP_vector_typeIjLj3EEjjjS8_jjjS8_jjjj,comdat
.Lfunc_end109:
	.size	_ZL13mul_mat_vec_qIL9ggml_type11ELi1ELb1ELb1EEvPKvS2_PKi31ggml_cuda_mm_fusion_args_devicePfj15HIP_vector_typeIjLj3EEjjjS8_jjjS8_jjjj, .Lfunc_end109-_ZL13mul_mat_vec_qIL9ggml_type11ELi1ELb1ELb1EEvPKvS2_PKi31ggml_cuda_mm_fusion_args_devicePfj15HIP_vector_typeIjLj3EEjjjS8_jjjS8_jjjj
                                        ; -- End function
	.set _ZL13mul_mat_vec_qIL9ggml_type11ELi1ELb1ELb1EEvPKvS2_PKi31ggml_cuda_mm_fusion_args_devicePfj15HIP_vector_typeIjLj3EEjjjS8_jjjS8_jjjj.num_vgpr, 72
	.set _ZL13mul_mat_vec_qIL9ggml_type11ELi1ELb1ELb1EEvPKvS2_PKi31ggml_cuda_mm_fusion_args_devicePfj15HIP_vector_typeIjLj3EEjjjS8_jjjS8_jjjj.num_agpr, 0
	.set _ZL13mul_mat_vec_qIL9ggml_type11ELi1ELb1ELb1EEvPKvS2_PKi31ggml_cuda_mm_fusion_args_devicePfj15HIP_vector_typeIjLj3EEjjjS8_jjjS8_jjjj.numbered_sgpr, 38
	.set _ZL13mul_mat_vec_qIL9ggml_type11ELi1ELb1ELb1EEvPKvS2_PKi31ggml_cuda_mm_fusion_args_devicePfj15HIP_vector_typeIjLj3EEjjjS8_jjjS8_jjjj.num_named_barrier, 0
	.set _ZL13mul_mat_vec_qIL9ggml_type11ELi1ELb1ELb1EEvPKvS2_PKi31ggml_cuda_mm_fusion_args_devicePfj15HIP_vector_typeIjLj3EEjjjS8_jjjS8_jjjj.private_seg_size, 0
	.set _ZL13mul_mat_vec_qIL9ggml_type11ELi1ELb1ELb1EEvPKvS2_PKi31ggml_cuda_mm_fusion_args_devicePfj15HIP_vector_typeIjLj3EEjjjS8_jjjS8_jjjj.uses_vcc, 1
	.set _ZL13mul_mat_vec_qIL9ggml_type11ELi1ELb1ELb1EEvPKvS2_PKi31ggml_cuda_mm_fusion_args_devicePfj15HIP_vector_typeIjLj3EEjjjS8_jjjS8_jjjj.uses_flat_scratch, 0
	.set _ZL13mul_mat_vec_qIL9ggml_type11ELi1ELb1ELb1EEvPKvS2_PKi31ggml_cuda_mm_fusion_args_devicePfj15HIP_vector_typeIjLj3EEjjjS8_jjjS8_jjjj.has_dyn_sized_stack, 0
	.set _ZL13mul_mat_vec_qIL9ggml_type11ELi1ELb1ELb1EEvPKvS2_PKi31ggml_cuda_mm_fusion_args_devicePfj15HIP_vector_typeIjLj3EEjjjS8_jjjS8_jjjj.has_recursion, 0
	.set _ZL13mul_mat_vec_qIL9ggml_type11ELi1ELb1ELb1EEvPKvS2_PKi31ggml_cuda_mm_fusion_args_devicePfj15HIP_vector_typeIjLj3EEjjjS8_jjjS8_jjjj.has_indirect_call, 0
	.section	.AMDGPU.csdata,"",@progbits
; Kernel info:
; codeLenInByte = 4696
; TotalNumSgprs: 40
; NumVgprs: 72
; ScratchSize: 0
; MemoryBound: 0
; FloatMode: 240
; IeeeMode: 1
; LDSByteSize: 0 bytes/workgroup (compile time only)
; SGPRBlocks: 0
; VGPRBlocks: 8
; NumSGPRsForWavesPerEU: 40
; NumVGPRsForWavesPerEU: 72
; Occupancy: 16
; WaveLimiterHint : 0
; COMPUTE_PGM_RSRC2:SCRATCH_EN: 0
; COMPUTE_PGM_RSRC2:USER_SGPR: 2
; COMPUTE_PGM_RSRC2:TRAP_HANDLER: 0
; COMPUTE_PGM_RSRC2:TGID_X_EN: 1
; COMPUTE_PGM_RSRC2:TGID_Y_EN: 1
; COMPUTE_PGM_RSRC2:TGID_Z_EN: 1
; COMPUTE_PGM_RSRC2:TIDIG_COMP_CNT: 1
	.section	.text._ZL13mul_mat_vec_qIL9ggml_type11ELi1ELb0ELb1EEvPKvS2_PKi31ggml_cuda_mm_fusion_args_devicePfj15HIP_vector_typeIjLj3EEjjjS8_jjjS8_jjjj,"axG",@progbits,_ZL13mul_mat_vec_qIL9ggml_type11ELi1ELb0ELb1EEvPKvS2_PKi31ggml_cuda_mm_fusion_args_devicePfj15HIP_vector_typeIjLj3EEjjjS8_jjjS8_jjjj,comdat
	.globl	_ZL13mul_mat_vec_qIL9ggml_type11ELi1ELb0ELb1EEvPKvS2_PKi31ggml_cuda_mm_fusion_args_devicePfj15HIP_vector_typeIjLj3EEjjjS8_jjjS8_jjjj ; -- Begin function _ZL13mul_mat_vec_qIL9ggml_type11ELi1ELb0ELb1EEvPKvS2_PKi31ggml_cuda_mm_fusion_args_devicePfj15HIP_vector_typeIjLj3EEjjjS8_jjjS8_jjjj
	.p2align	8
	.type	_ZL13mul_mat_vec_qIL9ggml_type11ELi1ELb0ELb1EEvPKvS2_PKi31ggml_cuda_mm_fusion_args_devicePfj15HIP_vector_typeIjLj3EEjjjS8_jjjS8_jjjj,@function
_ZL13mul_mat_vec_qIL9ggml_type11ELi1ELb0ELb1EEvPKvS2_PKi31ggml_cuda_mm_fusion_args_devicePfj15HIP_vector_typeIjLj3EEjjjS8_jjjS8_jjjj: ; @_ZL13mul_mat_vec_qIL9ggml_type11ELi1ELb0ELb1EEvPKvS2_PKi31ggml_cuda_mm_fusion_args_devicePfj15HIP_vector_typeIjLj3EEjjjS8_jjjS8_jjjj
; %bb.0:
	s_clause 0x1
	s_load_b64 s[2:3], s[0:1], 0x10
	s_load_b128 s[8:11], s[0:1], 0x40
	s_and_b32 s15, ttmp7, 0xffff
	s_wait_kmcnt 0x0
	s_cmp_lg_u64 s[2:3], 0
	s_cselect_b32 s12, -1, 0
	s_cmp_eq_u64 s[2:3], 0
	s_cbranch_scc1 .LBB110_13
; %bb.1:
	s_lshl_b32 s4, s15, 2
	s_load_b32 s2, s[2:3], s4 offset:0x0
	s_clause 0x1
	s_load_b128 s[4:7], s[0:1], 0x68
	s_load_b32 s3, s[0:1], 0x50
	s_cbranch_execnz .LBB110_3
.LBB110_2:
	s_load_b64 s[16:17], s[0:1], 0x5c
	s_wait_kmcnt 0x0
	s_mul_hi_u32 s2, s16, s15
	s_delay_alu instid0(SALU_CYCLE_1) | instskip(NEXT) | instid1(SALU_CYCLE_1)
	s_add_co_i32 s2, s15, s2
	s_lshr_b32 s2, s2, s17
.LBB110_3:
	s_load_b32 s20, s[0:1], 0x78
	s_and_not1_b32 vcc_lo, exec_lo, s12
	s_mov_b32 s19, s15
	s_cbranch_vccnz .LBB110_5
; %bb.4:
	s_mul_hi_u32 s9, s9, s15
	s_delay_alu instid0(SALU_CYCLE_1) | instskip(NEXT) | instid1(SALU_CYCLE_1)
	s_add_co_i32 s9, s15, s9
	s_lshr_b32 s9, s9, s10
	s_delay_alu instid0(SALU_CYCLE_1) | instskip(NEXT) | instid1(SALU_CYCLE_1)
	s_mul_i32 s9, s9, s11
	s_sub_co_i32 s19, s15, s9
.LBB110_5:
	s_load_b96 s[12:14], s[0:1], 0x80
	v_bfe_u32 v3, v0, 10, 10
	v_dual_mov_b32 v5, 0 :: v_dual_and_b32 v2, 0x3ff, v0
	s_lshr_b32 s18, s8, 8
	s_lshr_b32 s16, ttmp7, 16
	s_mov_b32 s17, exec_lo
	s_delay_alu instid0(VALU_DEP_1) | instskip(NEXT) | instid1(VALU_DEP_1)
	v_lshl_or_b32 v0, v3, 5, v2
	v_lshrrev_b32_e32 v4, 4, v0
	s_delay_alu instid0(VALU_DEP_1)
	v_cmpx_gt_u32_e64 s18, v4
	s_cbranch_execz .LBB110_9
; %bb.6:
	s_load_b128 s[8:11], s[0:1], 0x0
	v_and_b32_e32 v1, 8, v2
	v_bfe_u32 v6, v2, 2, 1
	v_lshrrev_b32_e32 v5, 1, v2
	v_lshlrev_b32_e32 v8, 1, v2
	v_bfe_u32 v12, v2, 3, 1
	s_wait_kmcnt 0x0
	s_mul_hi_u32 s7, s7, s16
	v_or_b32_e32 v10, v6, v1
	v_and_b32_e32 v7, 4, v5
	v_mov_b32_e32 v5, 0
	v_and_b32_e32 v15, 30, v8
	v_lshrrev_b32_e32 v8, 1, v1
	v_lshrrev_b32_e32 v17, 4, v0
	v_mul_hi_u32_u24_e32 v1, 0x90, v12
	v_mul_u32_u24_e32 v0, 0x90, v12
	s_add_co_i32 s7, s16, s7
	s_mul_i32 s21, s3, ttmp9
	s_lshr_b32 s3, s7, s20
	s_mul_i32 s7, s2, s4
	s_mul_i32 s20, s3, s12
	;; [unrolled: 1-line block ×3, first 2 shown]
	s_mov_b32 s3, 0
	v_and_b32_e32 v14, 7, v2
	v_or_b32_e32 v13, 6, v10
	v_mad_co_u64_u32 v[0:1], null, 0x120, v17, v[0:1]
	s_mul_i32 s4, s19, s5
	s_mov_b32 s5, s3
	s_mul_u64 s[12:13], s[2:3], 36
	s_mul_u64 s[4:5], s[4:5], 36
	s_add_nc_u64 s[10:11], s[10:11], s[12:13]
	v_or_b32_e32 v11, 4, v10
	v_lshlrev_b32_e32 v16, 1, v14
	v_lshrrev_b32_e32 v18, 1, v13
	s_add_nc_u64 s[4:5], s[10:11], s[4:5]
	v_and_b32_e32 v12, 3, v13
	v_add_co_u32 v0, vcc_lo, s4, v0
	v_and_b32_e32 v9, 5, v11
	v_lshrrev_b32_e32 v10, 1, v11
	v_and_b32_e32 v11, 7, v13
	v_and_b32_e32 v13, 6, v18
	v_lshlrev_b32_e32 v14, 2, v14
	v_add_co_ci_u32_e64 v1, null, s5, v1, vcc_lo
	v_lshlrev_b32_e32 v15, 1, v15
	v_lshlrev_b32_e32 v16, 1, v16
	s_add_co_i32 s20, s20, s21
	s_delay_alu instid0(SALU_CYCLE_1)
	s_add_co_i32 s4, s7, s20
.LBB110_7:                              ; =>This Inner Loop Header: Depth=1
	s_wait_alu 0xfffe
	v_add_nc_u32_e32 v19, s4, v4
	v_add_co_u32 v17, vcc_lo, v0, v14
	s_wait_alu 0xfffd
	v_add_co_ci_u32_e64 v18, null, 0, v1, vcc_lo
	s_delay_alu instid0(VALU_DEP_3) | instskip(SKIP_1) | instid1(VALU_DEP_1)
	v_mad_co_i64_i32 v[19:20], null, 0x6e, v19, s[8:9]
	v_add_nc_u32_e32 v4, 2, v4
	v_cmp_le_u32_e64 s2, s18, v4
	s_delay_alu instid0(VALU_DEP_3) | instskip(SKIP_1) | instid1(VALU_DEP_4)
	v_add_co_u32 v21, vcc_lo, v19, v15
	s_wait_alu 0xfffd
	v_add_co_ci_u32_e64 v22, null, 0, v20, vcc_lo
	v_add_co_u32 v23, vcc_lo, v19, v16
	s_wait_alu 0xfffd
	v_add_co_ci_u32_e64 v24, null, 0, v20, vcc_lo
	;; [unrolled: 3-line block ×6, first 2 shown]
	s_clause 0x9
	global_load_u16 v19, v[19:20], off offset:108
	global_load_b32 v20, v[21:22], off offset:32
	global_load_b32 v21, v[23:24], off
	global_load_u8 v22, v[25:26], off offset:96
	global_load_u8 v23, v[25:26], off offset:104
	;; [unrolled: 1-line block ×7, first 2 shown]
	s_clause 0x7
	global_load_b32 v26, v[17:18], off offset:4
	global_load_b32 v30, v[17:18], off offset:40
	;; [unrolled: 1-line block ×4, first 2 shown]
	global_load_b32 v18, v[0:1], off
	global_load_b32 v32, v[0:1], off offset:36
	global_load_b32 v33, v[0:1], off offset:72
	;; [unrolled: 1-line block ×3, first 2 shown]
	v_add_co_u32 v0, vcc_lo, 0x240, v0
	s_wait_alu 0xfffd
	v_add_co_ci_u32_e64 v1, null, 0, v1, vcc_lo
	s_or_b32 s3, s2, s3
	s_wait_loadcnt 0x10
	v_lshrrev_b32_e32 v39, 4, v20
	s_wait_loadcnt 0xf
	v_ashrrev_i32_e32 v21, v7, v21
	s_wait_loadcnt 0xe
	v_bfe_u32 v22, v22, v8, 4
	s_wait_loadcnt 0xd
	v_lshrrev_b32_e32 v35, v8, v23
	v_lshrrev_b32_e32 v23, v10, v23
	v_and_b32_e32 v36, 0x3030303, v20
	v_not_b32_e32 v21, v21
	s_wait_loadcnt 0xc
	v_lshrrev_b32_e32 v24, v8, v24
	v_lshlrev_b32_e32 v35, 4, v35
	v_lshrrev_b32_e32 v38, 2, v20
	s_wait_loadcnt 0xb
	v_bfe_u32 v27, v27, v8, 4
	s_wait_loadcnt 0x9
	v_lshrrev_b32_e32 v29, v13, v29
	v_lshrrev_b32_e32 v40, 6, v20
	v_and_or_b32 v22, v35, 48, v22
	v_lshlrev_b32_e32 v35, 2, v21
	v_lshlrev_b32_e32 v23, 4, v23
	v_and_b32_e32 v44, 0x3030303, v39
	v_lshlrev_b32_e32 v46, 1, v21
	v_and_b32_e32 v48, 0x4040404, v21
	v_lshrrev_b32_e32 v21, 1, v21
	v_and_b32_e32 v35, 0x4040404, v35
	v_bfe_u32 v37, v20, 24, 2
	s_wait_loadcnt 0x8
	v_bfe_u32 v25, v25, v8, 4
	v_bfe_u32 v28, v28, v8, 4
	v_lshrrev_b32_e32 v41, 16, v36
	v_lshrrev_b16 v42, 8, v36
	v_lshlrev_b32_e32 v24, 4, v24
	v_and_b32_e32 v43, 0x3030303, v38
	v_bfe_u32 v39, v39, 24, 2
	v_lshlrev_b32_e32 v29, 4, v29
	v_and_b32_e32 v40, 0x3030303, v40
	v_and_or_b32 v23, v23, 48, v27
	v_lshrrev_b32_e32 v27, 16, v44
	v_lshrrev_b16 v47, 8, v44
	v_and_b32_e32 v46, 0x4040404, v46
	v_lshrrev_b32_e32 v50, 16, v48
	v_lshrrev_b32_e32 v51, 24, v48
	v_lshrrev_b16 v52, 8, v48
	v_sub_nc_u16 v44, v44, v48
	v_and_b32_e32 v21, 0x4040404, v21
	v_lshrrev_b32_e32 v48, 16, v35
	v_lshrrev_b32_e32 v53, 24, v35
	v_lshrrev_b16 v54, 8, v35
	v_bfe_u32 v38, v38, 24, 2
	v_and_or_b32 v24, v24, 48, v25
	v_lshrrev_b32_e32 v25, 16, v43
	v_lshrrev_b16 v45, 8, v43
	v_and_or_b32 v28, v29, 48, v28
	v_lshrrev_b32_e32 v29, 16, v40
	v_lshrrev_b16 v49, 8, v40
	v_sub_nc_u16 v35, v36, v35
	v_lshrrev_b32_e32 v36, 16, v46
	v_lshrrev_b32_e32 v55, 24, v46
	v_lshrrev_b16 v56, 8, v46
	v_sub_nc_u16 v43, v43, v46
	v_sub_nc_u16 v46, v47, v52
	;; [unrolled: 1-line block ×4, first 2 shown]
	v_lshrrev_b32_e32 v47, 16, v21
	v_lshrrev_b32_e32 v50, 24, v21
	v_lshrrev_b16 v51, 8, v21
	v_sub_nc_u16 v21, v40, v21
	v_sub_nc_u16 v40, v42, v54
	;; [unrolled: 1-line block ×4, first 2 shown]
	v_and_b32_e32 v35, 0xff, v35
	v_and_b32_e32 v42, 0xff, v43
	v_sub_nc_u16 v43, v45, v56
	v_sub_nc_u16 v38, v38, v55
	;; [unrolled: 1-line block ×3, first 2 shown]
	v_lshlrev_b16 v40, 8, v40
	v_lshlrev_b16 v37, 8, v37
	v_and_b32_e32 v41, 0xff, v41
	v_lshrrev_b32_e32 v20, 30, v20
	v_lshlrev_b16 v43, 8, v43
	v_lshlrev_b16 v38, 8, v38
	v_and_b32_e32 v25, 0xff, v25
	v_or_b32_e32 v35, v35, v40
	v_or_b32_e32 v37, v41, v37
	v_and_b32_e32 v44, 0xff, v44
	v_lshlrev_b16 v36, 8, v46
	v_lshlrev_b16 v39, 8, v39
	v_and_b32_e32 v27, 0xff, v27
	v_sub_nc_u16 v45, v49, v51
	v_sub_nc_u16 v20, v20, v50
	;; [unrolled: 1-line block ×3, first 2 shown]
	v_or_b32_e32 v40, v42, v43
	v_or_b32_e32 v25, v25, v38
	v_and_b32_e32 v35, 0xffff, v35
	v_lshlrev_b32_e32 v37, 16, v37
	v_and_b32_e32 v21, 0xff, v21
	v_or_b32_e32 v36, v44, v36
	v_or_b32_e32 v27, v27, v39
	v_lshlrev_b16 v39, 8, v45
	v_lshlrev_b16 v20, 8, v20
	v_and_b32_e32 v29, 0xff, v29
	v_and_b32_e32 v38, 0xffff, v40
	v_lshlrev_b32_e32 v25, 16, v25
	v_or_b32_e32 v35, v35, v37
	v_subrev_nc_u32_e32 v22, 32, v22
	v_and_b32_e32 v36, 0xffff, v36
	v_lshlrev_b32_e32 v27, 16, v27
	v_or_b32_e32 v21, v21, v39
	v_or_b32_e32 v20, v29, v20
	;; [unrolled: 1-line block ×3, first 2 shown]
	s_wait_loadcnt 0x7
	v_dot4_i32_iu8 v26, v35, v26, 0 neg_lo:[1,1,0]
	v_subrev_nc_u32_e32 v24, 32, v24
	v_or_b32_e32 v27, v36, v27
	v_and_b32_e32 v21, 0xffff, v21
	v_lshlrev_b32_e32 v20, 16, v20
	s_wait_loadcnt 0x6
	v_dot4_i32_iu8 v25, v25, v30, 0 neg_lo:[1,1,0]
	v_mul_lo_u32 v22, v22, v26
	v_subrev_nc_u32_e32 v23, 32, v23
	s_wait_loadcnt 0x5
	v_dot4_i32_iu8 v26, v27, v31, 0 neg_lo:[1,1,0]
	v_or_b32_e32 v20, v21, v20
	v_mul_lo_u32 v21, v24, v25
	v_subrev_nc_u32_e32 v28, 32, v28
	s_delay_alu instid0(VALU_DEP_4)
	v_mul_lo_u32 v23, v23, v26
	v_cvt_f32_i32_e32 v22, v22
	s_wait_loadcnt 0x4
	v_dot4_i32_iu8 v17, v20, v17, 0 neg_lo:[1,1,0]
	v_cvt_f32_i32_e32 v20, v21
	s_wait_loadcnt 0x3
	v_fma_mix_f32 v18, v18, v22, 0 op_sel_hi:[1,0,0]
	s_delay_alu instid0(VALU_DEP_3) | instskip(SKIP_2) | instid1(VALU_DEP_3)
	v_mul_lo_u32 v17, v28, v17
	v_cvt_f32_i32_e32 v21, v23
	s_wait_loadcnt 0x2
	v_fma_mix_f32 v18, v32, v20, v18 op_sel_hi:[1,0,0]
	s_delay_alu instid0(VALU_DEP_3) | instskip(SKIP_1) | instid1(VALU_DEP_2)
	v_cvt_f32_i32_e32 v17, v17
	s_wait_loadcnt 0x1
	v_fma_mix_f32 v18, v33, v21, v18 op_sel_hi:[1,0,0]
	s_wait_loadcnt 0x0
	s_delay_alu instid0(VALU_DEP_1) | instskip(NEXT) | instid1(VALU_DEP_1)
	v_fma_mix_f32 v17, v34, v17, v18 op_sel_hi:[1,0,0]
	v_fma_mix_f32 v5, v17, v19, v5 op_sel_hi:[0,1,0]
	s_and_not1_b32 exec_lo, exec_lo, s3
	s_cbranch_execnz .LBB110_7
; %bb.8:
	s_or_b32 exec_lo, exec_lo, s3
.LBB110_9:
	s_delay_alu instid0(SALU_CYCLE_1)
	s_or_b32 exec_lo, exec_lo, s17
	; wave barrier
	global_inv scope:SCOPE_SE
	s_wait_kmcnt 0x0
	s_mov_b32 s2, exec_lo
	v_cmpx_eq_u32_e32 0, v3
	s_cbranch_execz .LBB110_12
; %bb.10:
	v_mbcnt_lo_u32_b32 v0, -1, 0
	s_delay_alu instid0(VALU_DEP_1) | instskip(SKIP_2) | instid1(VALU_DEP_3)
	v_xor_b32_e32 v1, 16, v0
	v_xor_b32_e32 v3, 8, v0
	;; [unrolled: 1-line block ×3, first 2 shown]
	v_cmp_gt_i32_e32 vcc_lo, 32, v1
	s_wait_alu 0xfffd
	v_cndmask_b32_e32 v1, v0, v1, vcc_lo
	v_cmp_gt_i32_e32 vcc_lo, 32, v3
	s_wait_alu 0xfffd
	v_cndmask_b32_e32 v3, v0, v3, vcc_lo
	v_cmp_gt_i32_e32 vcc_lo, 32, v4
	s_wait_alu 0xfffd
	s_delay_alu instid0(VALU_DEP_2) | instskip(NEXT) | instid1(VALU_DEP_1)
	v_dual_cndmask_b32 v4, v0, v4 :: v_dual_lshlrev_b32 v3, 2, v3
	v_lshlrev_b32_e32 v4, 2, v4
	v_lshlrev_b32_e32 v1, 2, v1
	ds_bpermute_b32 v1, v1, v5
	s_wait_dscnt 0x0
	v_add_f32_e32 v1, v5, v1
	ds_bpermute_b32 v3, v3, v1
	s_wait_dscnt 0x0
	v_add_f32_e32 v1, v1, v3
	ds_bpermute_b32 v3, v4, v1
	v_xor_b32_e32 v4, 2, v0
	s_delay_alu instid0(VALU_DEP_1) | instskip(SKIP_3) | instid1(VALU_DEP_1)
	v_cmp_gt_i32_e32 vcc_lo, 32, v4
	s_wait_alu 0xfffd
	v_cndmask_b32_e32 v4, v0, v4, vcc_lo
	s_wait_dscnt 0x0
	v_dual_add_f32 v1, v1, v3 :: v_dual_lshlrev_b32 v4, 2, v4
	ds_bpermute_b32 v3, v4, v1
	v_xor_b32_e32 v4, 1, v0
	s_delay_alu instid0(VALU_DEP_1) | instskip(SKIP_3) | instid1(VALU_DEP_2)
	v_cmp_gt_i32_e32 vcc_lo, 32, v4
	s_wait_alu 0xfffd
	v_cndmask_b32_e32 v0, v0, v4, vcc_lo
	v_cmp_eq_u32_e32 vcc_lo, 0, v2
	v_lshlrev_b32_e32 v4, 2, v0
	s_wait_dscnt 0x0
	v_add_f32_e32 v0, v1, v3
	ds_bpermute_b32 v1, v4, v0
	s_and_b32 exec_lo, exec_lo, vcc_lo
	s_cbranch_execz .LBB110_12
; %bb.11:
	s_load_b64 s[0:1], s[0:1], 0x38
	s_mul_i32 s2, s6, s15
	s_mul_i32 s3, s14, s16
	s_add_co_i32 s2, s2, ttmp9
	s_wait_dscnt 0x0
	v_dual_add_f32 v0, v0, v1 :: v_dual_mov_b32 v1, 0
	s_add_co_i32 s2, s2, s3
	s_mov_b32 s3, 0
	s_delay_alu instid0(SALU_CYCLE_1)
	s_lshl_b64 s[2:3], s[2:3], 2
	s_wait_kmcnt 0x0
	s_add_nc_u64 s[0:1], s[0:1], s[2:3]
	global_store_b32 v1, v0, s[0:1]
.LBB110_12:
	s_endpgm
.LBB110_13:
                                        ; implicit-def: $sgpr2
	s_clause 0x1
	s_load_b128 s[4:7], s[0:1], 0x68
	s_load_b32 s3, s[0:1], 0x50
	s_branch .LBB110_2
	.section	.rodata,"a",@progbits
	.p2align	6, 0x0
	.amdhsa_kernel _ZL13mul_mat_vec_qIL9ggml_type11ELi1ELb0ELb1EEvPKvS2_PKi31ggml_cuda_mm_fusion_args_devicePfj15HIP_vector_typeIjLj3EEjjjS8_jjjS8_jjjj
		.amdhsa_group_segment_fixed_size 0
		.amdhsa_private_segment_fixed_size 0
		.amdhsa_kernarg_size 144
		.amdhsa_user_sgpr_count 2
		.amdhsa_user_sgpr_dispatch_ptr 0
		.amdhsa_user_sgpr_queue_ptr 0
		.amdhsa_user_sgpr_kernarg_segment_ptr 1
		.amdhsa_user_sgpr_dispatch_id 0
		.amdhsa_user_sgpr_private_segment_size 0
		.amdhsa_wavefront_size32 1
		.amdhsa_uses_dynamic_stack 0
		.amdhsa_enable_private_segment 0
		.amdhsa_system_sgpr_workgroup_id_x 1
		.amdhsa_system_sgpr_workgroup_id_y 1
		.amdhsa_system_sgpr_workgroup_id_z 1
		.amdhsa_system_sgpr_workgroup_info 0
		.amdhsa_system_vgpr_workitem_id 1
		.amdhsa_next_free_vgpr 57
		.amdhsa_next_free_sgpr 22
		.amdhsa_reserve_vcc 1
		.amdhsa_float_round_mode_32 0
		.amdhsa_float_round_mode_16_64 0
		.amdhsa_float_denorm_mode_32 3
		.amdhsa_float_denorm_mode_16_64 3
		.amdhsa_fp16_overflow 0
		.amdhsa_workgroup_processor_mode 1
		.amdhsa_memory_ordered 1
		.amdhsa_forward_progress 1
		.amdhsa_inst_pref_size 17
		.amdhsa_round_robin_scheduling 0
		.amdhsa_exception_fp_ieee_invalid_op 0
		.amdhsa_exception_fp_denorm_src 0
		.amdhsa_exception_fp_ieee_div_zero 0
		.amdhsa_exception_fp_ieee_overflow 0
		.amdhsa_exception_fp_ieee_underflow 0
		.amdhsa_exception_fp_ieee_inexact 0
		.amdhsa_exception_int_div_zero 0
	.end_amdhsa_kernel
	.section	.text._ZL13mul_mat_vec_qIL9ggml_type11ELi1ELb0ELb1EEvPKvS2_PKi31ggml_cuda_mm_fusion_args_devicePfj15HIP_vector_typeIjLj3EEjjjS8_jjjS8_jjjj,"axG",@progbits,_ZL13mul_mat_vec_qIL9ggml_type11ELi1ELb0ELb1EEvPKvS2_PKi31ggml_cuda_mm_fusion_args_devicePfj15HIP_vector_typeIjLj3EEjjjS8_jjjS8_jjjj,comdat
.Lfunc_end110:
	.size	_ZL13mul_mat_vec_qIL9ggml_type11ELi1ELb0ELb1EEvPKvS2_PKi31ggml_cuda_mm_fusion_args_devicePfj15HIP_vector_typeIjLj3EEjjjS8_jjjS8_jjjj, .Lfunc_end110-_ZL13mul_mat_vec_qIL9ggml_type11ELi1ELb0ELb1EEvPKvS2_PKi31ggml_cuda_mm_fusion_args_devicePfj15HIP_vector_typeIjLj3EEjjjS8_jjjS8_jjjj
                                        ; -- End function
	.set _ZL13mul_mat_vec_qIL9ggml_type11ELi1ELb0ELb1EEvPKvS2_PKi31ggml_cuda_mm_fusion_args_devicePfj15HIP_vector_typeIjLj3EEjjjS8_jjjS8_jjjj.num_vgpr, 57
	.set _ZL13mul_mat_vec_qIL9ggml_type11ELi1ELb0ELb1EEvPKvS2_PKi31ggml_cuda_mm_fusion_args_devicePfj15HIP_vector_typeIjLj3EEjjjS8_jjjS8_jjjj.num_agpr, 0
	.set _ZL13mul_mat_vec_qIL9ggml_type11ELi1ELb0ELb1EEvPKvS2_PKi31ggml_cuda_mm_fusion_args_devicePfj15HIP_vector_typeIjLj3EEjjjS8_jjjS8_jjjj.numbered_sgpr, 22
	.set _ZL13mul_mat_vec_qIL9ggml_type11ELi1ELb0ELb1EEvPKvS2_PKi31ggml_cuda_mm_fusion_args_devicePfj15HIP_vector_typeIjLj3EEjjjS8_jjjS8_jjjj.num_named_barrier, 0
	.set _ZL13mul_mat_vec_qIL9ggml_type11ELi1ELb0ELb1EEvPKvS2_PKi31ggml_cuda_mm_fusion_args_devicePfj15HIP_vector_typeIjLj3EEjjjS8_jjjS8_jjjj.private_seg_size, 0
	.set _ZL13mul_mat_vec_qIL9ggml_type11ELi1ELb0ELb1EEvPKvS2_PKi31ggml_cuda_mm_fusion_args_devicePfj15HIP_vector_typeIjLj3EEjjjS8_jjjS8_jjjj.uses_vcc, 1
	.set _ZL13mul_mat_vec_qIL9ggml_type11ELi1ELb0ELb1EEvPKvS2_PKi31ggml_cuda_mm_fusion_args_devicePfj15HIP_vector_typeIjLj3EEjjjS8_jjjS8_jjjj.uses_flat_scratch, 0
	.set _ZL13mul_mat_vec_qIL9ggml_type11ELi1ELb0ELb1EEvPKvS2_PKi31ggml_cuda_mm_fusion_args_devicePfj15HIP_vector_typeIjLj3EEjjjS8_jjjS8_jjjj.has_dyn_sized_stack, 0
	.set _ZL13mul_mat_vec_qIL9ggml_type11ELi1ELb0ELb1EEvPKvS2_PKi31ggml_cuda_mm_fusion_args_devicePfj15HIP_vector_typeIjLj3EEjjjS8_jjjS8_jjjj.has_recursion, 0
	.set _ZL13mul_mat_vec_qIL9ggml_type11ELi1ELb0ELb1EEvPKvS2_PKi31ggml_cuda_mm_fusion_args_devicePfj15HIP_vector_typeIjLj3EEjjjS8_jjjS8_jjjj.has_indirect_call, 0
	.section	.AMDGPU.csdata,"",@progbits
; Kernel info:
; codeLenInByte = 2144
; TotalNumSgprs: 24
; NumVgprs: 57
; ScratchSize: 0
; MemoryBound: 0
; FloatMode: 240
; IeeeMode: 1
; LDSByteSize: 0 bytes/workgroup (compile time only)
; SGPRBlocks: 0
; VGPRBlocks: 7
; NumSGPRsForWavesPerEU: 24
; NumVGPRsForWavesPerEU: 57
; Occupancy: 16
; WaveLimiterHint : 0
; COMPUTE_PGM_RSRC2:SCRATCH_EN: 0
; COMPUTE_PGM_RSRC2:USER_SGPR: 2
; COMPUTE_PGM_RSRC2:TRAP_HANDLER: 0
; COMPUTE_PGM_RSRC2:TGID_X_EN: 1
; COMPUTE_PGM_RSRC2:TGID_Y_EN: 1
; COMPUTE_PGM_RSRC2:TGID_Z_EN: 1
; COMPUTE_PGM_RSRC2:TIDIG_COMP_CNT: 1
	.section	.text._ZL13mul_mat_vec_qIL9ggml_type11ELi1ELb1ELb0EEvPKvS2_PKi31ggml_cuda_mm_fusion_args_devicePfj15HIP_vector_typeIjLj3EEjjjS8_jjjS8_jjjj,"axG",@progbits,_ZL13mul_mat_vec_qIL9ggml_type11ELi1ELb1ELb0EEvPKvS2_PKi31ggml_cuda_mm_fusion_args_devicePfj15HIP_vector_typeIjLj3EEjjjS8_jjjS8_jjjj,comdat
	.globl	_ZL13mul_mat_vec_qIL9ggml_type11ELi1ELb1ELb0EEvPKvS2_PKi31ggml_cuda_mm_fusion_args_devicePfj15HIP_vector_typeIjLj3EEjjjS8_jjjS8_jjjj ; -- Begin function _ZL13mul_mat_vec_qIL9ggml_type11ELi1ELb1ELb0EEvPKvS2_PKi31ggml_cuda_mm_fusion_args_devicePfj15HIP_vector_typeIjLj3EEjjjS8_jjjS8_jjjj
	.p2align	8
	.type	_ZL13mul_mat_vec_qIL9ggml_type11ELi1ELb1ELb0EEvPKvS2_PKi31ggml_cuda_mm_fusion_args_devicePfj15HIP_vector_typeIjLj3EEjjjS8_jjjS8_jjjj,@function
_ZL13mul_mat_vec_qIL9ggml_type11ELi1ELb1ELb0EEvPKvS2_PKi31ggml_cuda_mm_fusion_args_devicePfj15HIP_vector_typeIjLj3EEjjjS8_jjjS8_jjjj: ; @_ZL13mul_mat_vec_qIL9ggml_type11ELi1ELb1ELb0EEvPKvS2_PKi31ggml_cuda_mm_fusion_args_devicePfj15HIP_vector_typeIjLj3EEjjjS8_jjjS8_jjjj
; %bb.0:
	s_clause 0x3
	s_load_b256 s[8:15], s[0:1], 0x0
	s_load_b128 s[16:19], s[0:1], 0x20
	s_load_b128 s[20:23], s[0:1], 0x40
	;; [unrolled: 1-line block ×3, first 2 shown]
	s_and_b32 s27, ttmp7, 0xffff
	s_wait_kmcnt 0x0
	s_cmp_lg_u64 s[12:13], 0
	s_cselect_b32 s2, -1, 0
	s_cmp_eq_u64 s[12:13], 0
	s_cbranch_scc1 .LBB111_24
; %bb.1:
	s_lshl_b32 s3, s27, 2
	s_load_b32 s28, s[12:13], s3 offset:0x0
	s_clause 0x1
	s_load_b32 s31, s[0:1], 0x50
	s_load_b32 s29, s[0:1], 0x78
	s_cbranch_execnz .LBB111_3
.LBB111_2:
	s_load_b64 s[12:13], s[0:1], 0x5c
	s_wait_kmcnt 0x0
	s_mul_hi_u32 s3, s12, s27
	s_delay_alu instid0(SALU_CYCLE_1) | instskip(NEXT) | instid1(SALU_CYCLE_1)
	s_add_co_i32 s3, s27, s3
	s_lshr_b32 s28, s3, s13
.LBB111_3:
	s_and_not1_b32 vcc_lo, exec_lo, s2
	s_mov_b32 s3, s27
	s_mov_b32 s30, s27
	s_cbranch_vccnz .LBB111_5
; %bb.4:
	s_mul_hi_u32 s2, s21, s27
	s_wait_kmcnt 0x0
	s_mov_b32 s3, s28
	s_add_co_i32 s2, s27, s2
	s_delay_alu instid0(SALU_CYCLE_1) | instskip(NEXT) | instid1(SALU_CYCLE_1)
	s_lshr_b32 s2, s2, s22
	s_mul_i32 s2, s2, s23
	s_delay_alu instid0(SALU_CYCLE_1)
	s_sub_co_i32 s30, s27, s2
.LBB111_5:
	s_load_b96 s[24:26], s[0:1], 0x80
	v_bfe_u32 v5, v0, 10, 10
	v_dual_mov_b32 v3, 0 :: v_dual_and_b32 v2, 0x3ff, v0
	s_lshr_b32 s21, ttmp7, 16
	s_cmp_lg_u64 s[14:15], 0
	v_mov_b32_e32 v4, 0
	s_delay_alu instid0(VALU_DEP_2) | instskip(SKIP_3) | instid1(VALU_DEP_1)
	v_or_b32_e32 v0, v2, v5
	s_cselect_b32 s2, -1, 0
	s_mov_b32 s23, 0
	s_mul_i32 s12, s3, s6
	v_cmp_eq_u32_e32 vcc_lo, 0, v0
	s_and_b32 s13, s2, vcc_lo
	s_delay_alu instid0(SALU_CYCLE_1)
	s_and_saveexec_b32 s3, s13
	s_cbranch_execz .LBB111_7
; %bb.6:
	s_wait_kmcnt 0x0
	s_mul_i32 s22, s26, s21
	s_mov_b32 s13, s23
	s_lshl_b64 s[22:23], s[22:23], 2
	s_mov_b32 s34, ttmp9
	s_lshl_b64 s[36:37], s[12:13], 2
	s_add_nc_u64 s[14:15], s[14:15], s[22:23]
	s_ashr_i32 s35, ttmp9, 31
	v_lshlrev_b32_e32 v0, 2, v2
	s_add_nc_u64 s[14:15], s[14:15], s[36:37]
	s_lshl_b64 s[22:23], s[34:35], 2
	s_delay_alu instid0(SALU_CYCLE_1)
	s_add_nc_u64 s[14:15], s[14:15], s[22:23]
	global_load_b32 v4, v0, s[14:15]
.LBB111_7:
	s_or_b32 exec_lo, exec_lo, s3
	s_cmp_lg_u64 s[16:17], 0
	s_cselect_b32 s14, -1, 0
	s_cmp_lg_u64 s[18:19], 0
	s_cselect_b32 s3, -1, 0
	s_delay_alu instid0(SALU_CYCLE_1) | instskip(NEXT) | instid1(SALU_CYCLE_1)
	s_and_b32 s13, s3, s14
	s_and_b32 s13, s13, vcc_lo
	s_delay_alu instid0(SALU_CYCLE_1)
	s_and_saveexec_b32 s15, s13
	s_cbranch_execz .LBB111_9
; %bb.8:
	s_wait_kmcnt 0x0
	s_mul_i32 s34, s26, s21
	s_mov_b32 s35, 0
	s_mov_b32 s22, ttmp9
	s_lshl_b64 s[36:37], s[34:35], 2
	s_mov_b32 s13, s35
	s_add_nc_u64 s[18:19], s[18:19], s[36:37]
	s_lshl_b64 s[12:13], s[12:13], 2
	s_ashr_i32 s23, ttmp9, 31
	v_lshlrev_b32_e32 v0, 2, v2
	s_add_nc_u64 s[12:13], s[18:19], s[12:13]
	s_lshl_b64 s[18:19], s[22:23], 2
	s_delay_alu instid0(SALU_CYCLE_1)
	s_add_nc_u64 s[12:13], s[12:13], s[18:19]
	global_load_b32 v3, v0, s[12:13]
.LBB111_9:
	s_or_b32 exec_lo, exec_lo, s15
	v_lshl_add_u32 v0, v5, 5, v2
	v_dual_mov_b32 v8, 0 :: v_dual_mov_b32 v9, 0
	v_cndmask_b32_e64 v6, 0, 1, s14
	s_lshr_b32 s15, s20, 8
	s_delay_alu instid0(VALU_DEP_3) | instskip(SKIP_2) | instid1(VALU_DEP_1)
	v_lshrrev_b32_e32 v7, 4, v0
	s_mov_b32 s18, exec_lo
	s_wait_alu 0xfffe
	v_cmpx_gt_u32_e64 s15, v7
	s_cbranch_execz .LBB111_15
; %bb.10:
	v_and_b32_e32 v1, 8, v2
	v_bfe_u32 v10, v2, 2, 1
	v_lshrrev_b32_e32 v8, 1, v2
	v_bfe_u32 v16, v2, 3, 1
	v_lshlrev_b32_e32 v9, 1, v2
	v_lshrrev_b32_e32 v19, 4, v0
	s_mul_hi_u32 s7, s7, s21
	v_dual_mov_b32 v8, 0 :: v_dual_and_b32 v11, 4, v8
	v_or_b32_e32 v14, v10, v1
	v_lshrrev_b32_e32 v12, 1, v1
	v_mul_hi_u32_u24_e32 v1, 0x90, v16
	v_mul_u32_u24_e32 v0, 0x90, v16
	s_add_co_i32 s7, s21, s7
	s_wait_kmcnt 0x0
	s_mul_i32 s19, s28, s4
	s_lshr_b32 s4, s7, s29
	s_mul_i32 s12, s25, s21
	s_mov_b32 s13, 0
	v_and_b32_e32 v18, 7, v2
	v_and_b32_e32 v9, 30, v9
	v_or_b32_e32 v17, 6, v14
	v_mad_co_u64_u32 v[0:1], null, 0x120, v19, v[0:1]
	s_mul_i32 s7, s4, s24
	s_mul_i32 s4, s30, s5
	s_mov_b32 s5, s13
	s_mul_u64 s[22:23], s[12:13], 36
	s_mul_u64 s[4:5], s[4:5], 36
	s_add_nc_u64 s[10:11], s[10:11], s[22:23]
	v_or_b32_e32 v15, 4, v14
	v_lshrrev_b32_e32 v21, 1, v17
	v_lshlrev_b32_e32 v19, 1, v9
	v_dual_mov_b32 v9, 0 :: v_dual_lshlrev_b32 v20, 1, v18
	s_add_nc_u64 s[4:5], s[10:11], s[4:5]
	s_mul_i32 s31, s31, ttmp9
	v_add_co_u32 v0, vcc_lo, s4, v0
	v_and_b32_e32 v13, 5, v15
	v_lshrrev_b32_e32 v14, 1, v15
	v_and_b32_e32 v15, 7, v17
	v_and_b32_e32 v16, 3, v17
	;; [unrolled: 1-line block ×3, first 2 shown]
	v_lshlrev_b32_e32 v18, 2, v18
	v_add_co_ci_u32_e64 v1, null, s5, v1, vcc_lo
	v_lshlrev_b32_e32 v20, 1, v20
	s_add_co_i32 s7, s7, s31
	s_delay_alu instid0(SALU_CYCLE_1)
	s_add_co_i32 s5, s19, s7
	s_branch .LBB111_12
.LBB111_11:                             ;   in Loop: Header=BB111_12 Depth=1
	v_ashrrev_i32_e32 v34, v11, v34
	v_and_b32_e32 v39, 0x3030303, v24
	v_bfe_u32 v40, v24, 24, 2
	s_wait_loadcnt 0x5
	v_and_b32_e32 v37, 0xff, v37
	v_and_b32_e32 v38, 0xff, v38
	v_not_b32_e32 v34, v34
	v_lshrrev_b32_e32 v45, 16, v39
	v_lshrrev_b16 v46, 8, v39
	v_lshrrev_b32_e32 v42, 2, v24
	v_lshrrev_b32_e32 v44, v12, v37
	v_lshlrev_b32_e32 v41, 2, v34
	v_bfe_u32 v38, v38, v12, 4
	s_wait_loadcnt 0x4
	v_and_b32_e32 v35, 0xff, v35
	v_and_b32_e32 v47, 0x3030303, v42
	v_lshlrev_b32_e32 v44, 4, v44
	v_and_b32_e32 v41, 0x4040404, v41
	v_bfe_u32 v42, v42, 24, 2
	s_wait_loadcnt 0x0
	v_and_b32_e32 v36, 0xff, v36
	v_lshrrev_b32_e32 v35, v12, v35
	v_and_or_b32 v38, v44, 48, v38
	v_lshrrev_b16 v48, 8, v41
	v_lshrrev_b32_e32 v49, 16, v41
	v_lshrrev_b32_e32 v50, 24, v41
	v_sub_nc_u16 v39, v39, v41
	v_lshrrev_b16 v44, 8, v47
	v_sub_nc_u16 v41, v46, v48
	v_sub_nc_u16 v45, v45, v49
	;; [unrolled: 1-line block ×3, first 2 shown]
	v_and_b32_e32 v39, 0xff, v39
	v_lshlrev_b32_e32 v46, 1, v34
	v_lshlrev_b16 v41, 8, v41
	v_and_b32_e32 v45, 0xff, v45
	v_lshlrev_b16 v40, 8, v40
	v_lshrrev_b32_e32 v48, 16, v47
	v_subrev_nc_u32_e32 v38, 32, v38
	v_or_b32_e32 v39, v39, v41
	v_and_b32_e32 v41, 0x4040404, v46
	v_or_b32_e32 v40, v45, v40
	v_lshrrev_b32_e32 v43, 4, v24
	v_bfe_u32 v36, v36, v12, 4
	v_and_b32_e32 v39, 0xffff, v39
	v_lshrrev_b16 v45, 8, v41
	v_lshlrev_b32_e32 v40, 16, v40
	v_lshrrev_b32_e32 v46, 24, v41
	v_lshrrev_b32_e32 v49, 16, v41
	v_sub_nc_u16 v41, v47, v41
	v_lshlrev_b32_e32 v35, 4, v35
	v_or_b32_e32 v39, v39, v40
	v_sub_nc_u16 v40, v44, v45
	v_sub_nc_u16 v42, v42, v46
	;; [unrolled: 1-line block ×3, first 2 shown]
	v_and_b32_e32 v41, 0xff, v41
	v_dot4_i32_iu8 v32, v39, v32, 0 neg_lo:[1,1,0]
	v_lshlrev_b16 v39, 8, v40
	v_lshlrev_b16 v40, 8, v42
	v_and_b32_e32 v42, 0xff, v44
	v_and_or_b32 v35, v35, 48, v36
	v_mul_lo_u32 v32, v38, v32
	v_or_b32_e32 v38, v41, v39
	v_and_b32_e32 v33, 0xff, v33
	v_or_b32_e32 v39, v42, v40
	v_and_b32_e32 v40, 0x3030303, v43
	v_lshrrev_b32_e32 v37, v14, v37
	v_and_b32_e32 v36, 0xffff, v38
	v_bfe_u32 v33, v33, v12, 4
	v_lshlrev_b32_e32 v38, 16, v39
	v_and_b32_e32 v39, 0x4040404, v34
	v_lshlrev_b32_e32 v37, 4, v37
	v_lshrrev_b32_e32 v34, 1, v34
	v_and_b32_e32 v30, 0xff, v30
	v_or_b32_e32 v36, v36, v38
	v_lshrrev_b16 v38, 8, v40
	v_lshrrev_b16 v41, 8, v39
	v_sub_nc_u16 v42, v40, v39
	v_and_or_b32 v33, v37, 48, v33
	v_dot4_i32_iu8 v31, v36, v31, 0 neg_lo:[1,1,0]
	v_bfe_u32 v36, v43, 24, 2
	v_sub_nc_u16 v38, v38, v41
	v_and_b32_e32 v37, 0xff, v42
	v_lshrrev_b32_e32 v41, 24, v39
	v_lshrrev_b32_e32 v40, 16, v40
	;; [unrolled: 1-line block ×3, first 2 shown]
	v_lshlrev_b16 v38, 8, v38
	v_lshrrev_b32_e32 v42, 6, v24
	v_sub_nc_u16 v36, v36, v41
	v_and_b32_e32 v34, 0x4040404, v34
	v_lshrrev_b32_e32 v24, 30, v24
	v_or_b32_e32 v37, v37, v38
	v_sub_nc_u16 v38, v40, v39
	v_and_b32_e32 v39, 0x3030303, v42
	v_lshlrev_b16 v36, 8, v36
	v_lshrrev_b16 v42, 8, v34
	v_lshrrev_b32_e32 v43, 24, v34
	v_and_b32_e32 v38, 0xff, v38
	v_lshrrev_b32_e32 v40, 16, v39
	v_lshrrev_b16 v41, 8, v39
	v_lshrrev_b32_e32 v44, 16, v34
	v_sub_nc_u16 v34, v39, v34
	v_or_b32_e32 v36, v38, v36
	v_sub_nc_u16 v24, v24, v43
	v_sub_nc_u16 v38, v41, v42
	;; [unrolled: 1-line block ×3, first 2 shown]
	v_and_b32_e32 v34, 0xff, v34
	v_and_b32_e32 v37, 0xffff, v37
	v_lshlrev_b16 v24, 8, v24
	v_lshlrev_b16 v38, 8, v38
	v_and_b32_e32 v39, 0xff, v39
	v_lshlrev_b32_e32 v36, 16, v36
	v_and_b32_e32 v29, 0xff, v29
	v_lshrrev_b32_e32 v30, v17, v30
	v_or_b32_e32 v34, v34, v38
	v_or_b32_e32 v24, v39, v24
	v_subrev_nc_u32_e32 v35, 32, v35
	v_or_b32_e32 v36, v37, v36
	v_bfe_u32 v29, v29, v12, 4
	v_lshlrev_b32_e32 v30, 4, v30
	v_and_b32_e32 v34, 0xffff, v34
	v_lshlrev_b32_e32 v24, 16, v24
	v_mul_lo_u32 v31, v35, v31
	v_subrev_nc_u32_e32 v33, 32, v33
	v_dot4_i32_iu8 v23, v36, v23, 0 neg_lo:[1,1,0]
	v_and_or_b32 v29, v30, 48, v29
	v_or_b32_e32 v24, v34, v24
	v_cvt_f32_i32_e32 v32, v32
	v_add_nc_u32_e32 v7, 2, v7
	v_mul_lo_u32 v23, v33, v23
	v_subrev_nc_u32_e32 v29, 32, v29
	v_dot4_i32_iu8 v22, v24, v22, 0 neg_lo:[1,1,0]
	v_fma_f32 v28, v28, v32, 0
	v_cvt_f32_i32_e32 v24, v31
	v_cmp_le_u32_e32 vcc_lo, s15, v7
	v_add_co_u32 v0, s4, 0x240, v0
	v_mul_lo_u32 v22, v29, v22
	s_delay_alu instid0(VALU_DEP_4)
	v_fmac_f32_e32 v28, v27, v24
	v_cvt_f32_i32_e32 v23, v23
	s_wait_alu 0xf1ff
	v_add_co_ci_u32_e64 v1, null, 0, v1, s4
	s_or_b32 s13, vcc_lo, s13
	v_fmac_f32_e32 v28, v26, v23
	v_cvt_f32_i32_e32 v22, v22
	s_delay_alu instid0(VALU_DEP_1) | instskip(NEXT) | instid1(VALU_DEP_1)
	v_fmac_f32_e32 v28, v25, v22
	v_fma_mix_f32 v8, v28, v21, v8 op_sel_hi:[0,1,0]
	s_and_not1_b32 exec_lo, exec_lo, s13
	s_cbranch_execz .LBB111_14
.LBB111_12:                             ; =>This Inner Loop Header: Depth=1
	s_wait_alu 0xfffe
	v_add_nc_u32_e32 v39, s5, v7
	s_delay_alu instid0(VALU_DEP_1) | instskip(NEXT) | instid1(VALU_DEP_1)
	v_mad_co_i64_i32 v[25:26], null, 0x6e, v39, s[8:9]
	v_add_co_u32 v22, vcc_lo, v25, v19
	s_wait_alu 0xfffd
	s_delay_alu instid0(VALU_DEP_2)
	v_add_co_ci_u32_e64 v23, null, 0, v26, vcc_lo
	v_add_co_u32 v27, vcc_lo, v25, v20
	s_wait_alu 0xfffd
	v_add_co_ci_u32_e64 v28, null, 0, v26, vcc_lo
	v_add_co_u32 v29, vcc_lo, v0, v18
	s_wait_alu 0xfffd
	v_add_co_ci_u32_e64 v30, null, 0, v1, vcc_lo
	s_clause 0x2
	global_load_u16 v21, v[25:26], off offset:108
	global_load_b32 v24, v[22:23], off offset:32
	global_load_b32 v34, v[27:28], off
	s_clause 0x7
	global_load_b32 v32, v[29:30], off offset:4
	global_load_b32 v31, v[29:30], off offset:40
	;; [unrolled: 1-line block ×4, first 2 shown]
	global_load_b32 v42, v[0:1], off
	global_load_b32 v43, v[0:1], off offset:36
	global_load_b32 v44, v[0:1], off offset:72
	;; [unrolled: 1-line block ×3, first 2 shown]
	v_add_co_u32 v27, vcc_lo, v25, v10
	s_wait_alu 0xfffd
	v_add_co_ci_u32_e64 v28, null, 0, v26, vcc_lo
	v_add_co_u32 v29, vcc_lo, v25, v13
	s_wait_alu 0xfffd
	v_add_co_ci_u32_e64 v30, null, 0, v26, vcc_lo
	v_add_co_u32 v40, vcc_lo, v25, v15
	s_wait_alu 0xfffd
	v_add_co_ci_u32_e64 v41, null, 0, v26, vcc_lo
	v_add_co_u32 v25, vcc_lo, v25, v16
	s_wait_alu 0xfffd
	v_add_co_ci_u32_e64 v26, null, 0, v26, vcc_lo
	s_clause 0x6
	global_load_u8 v38, v[27:28], off offset:96
	global_load_u8 v37, v[27:28], off offset:104
	;; [unrolled: 1-line block ×7, first 2 shown]
	s_and_not1_b32 vcc_lo, exec_lo, s14
	s_wait_loadcnt 0xa
	v_cvt_f32_f16_e32 v28, v42
	s_wait_loadcnt 0x9
	v_cvt_f32_f16_e32 v27, v43
	;; [unrolled: 2-line block ×4, first 2 shown]
	s_wait_alu 0xfffe
	s_cbranch_vccnz .LBB111_11
; %bb.13:                               ;   in Loop: Header=BB111_12 Depth=1
	v_mad_co_i64_i32 v[39:40], null, 0x6e, v39, s[16:17]
	s_delay_alu instid0(VALU_DEP_1) | instskip(SKIP_1) | instid1(VALU_DEP_2)
	v_add_co_u32 v41, vcc_lo, v39, v15
	s_wait_alu 0xfffd
	v_add_co_ci_u32_e64 v42, null, 0, v40, vcc_lo
	v_add_co_u32 v43, vcc_lo, v39, v10
	s_wait_alu 0xfffd
	v_add_co_ci_u32_e64 v44, null, 0, v40, vcc_lo
	v_add_co_u32 v45, vcc_lo, v39, v20
	s_wait_alu 0xfffd
	v_add_co_ci_u32_e64 v46, null, 0, v40, vcc_lo
	v_add_co_u32 v47, vcc_lo, v39, v19
	s_wait_alu 0xfffd
	v_add_co_ci_u32_e64 v48, null, 0, v40, vcc_lo
	v_add_co_u32 v49, vcc_lo, v39, v13
	s_wait_alu 0xfffd
	v_add_co_ci_u32_e64 v50, null, 0, v40, vcc_lo
	s_clause 0x6
	global_load_b32 v47, v[47:48], off offset:32
	global_load_b32 v45, v[45:46], off
	global_load_u8 v46, v[43:44], off offset:96
	global_load_u8 v48, v[43:44], off offset:104
	;; [unrolled: 1-line block ×5, first 2 shown]
	v_add_co_u32 v43, vcc_lo, v39, v16
	s_wait_alu 0xfffd
	v_add_co_ci_u32_e64 v44, null, 0, v40, vcc_lo
	s_clause 0x2
	global_load_u8 v41, v[41:42], off offset:96
	global_load_u8 v42, v[43:44], off offset:104
	global_load_u16 v39, v[39:40], off offset:108
	s_wait_loadcnt 0x9
	v_lshrrev_b32_e32 v53, 4, v47
	s_wait_loadcnt 0x8
	v_ashrrev_i32_e32 v40, v11, v45
	s_wait_loadcnt 0x7
	v_bfe_u32 v43, v46, v12, 4
	s_wait_loadcnt 0x6
	v_lshrrev_b32_e32 v44, v12, v48
	v_lshrrev_b32_e32 v48, v14, v48
	v_and_b32_e32 v45, 0x3030303, v47
	v_not_b32_e32 v40, v40
	s_wait_loadcnt 0x5
	v_lshrrev_b32_e32 v51, v12, v51
	v_lshlrev_b32_e32 v44, 4, v44
	v_lshrrev_b32_e32 v52, 2, v47
	s_wait_loadcnt 0x4
	v_bfe_u32 v49, v49, v12, 4
	v_lshrrev_b32_e32 v54, 6, v47
	v_lshlrev_b32_e32 v48, 4, v48
	v_and_or_b32 v43, v44, 48, v43
	v_lshlrev_b32_e32 v44, 2, v40
	v_and_b32_e32 v58, 0x3030303, v53
	v_lshlrev_b32_e32 v60, 1, v40
	v_and_b32_e32 v62, 0x4040404, v40
	v_lshrrev_b32_e32 v40, 1, v40
	v_and_b32_e32 v44, 0x4040404, v44
	v_bfe_u32 v46, v47, 24, 2
	s_wait_loadcnt 0x3
	v_bfe_u32 v50, v50, v12, 4
	v_lshrrev_b32_e32 v55, 16, v45
	v_lshrrev_b16 v56, 8, v45
	v_lshlrev_b32_e32 v51, 4, v51
	v_and_b32_e32 v57, 0x3030303, v52
	v_bfe_u32 v53, v53, 24, 2
	v_and_b32_e32 v54, 0x3030303, v54
	v_and_or_b32 v48, v48, 48, v49
	v_lshrrev_b32_e32 v49, 16, v58
	v_lshrrev_b16 v61, 8, v58
	v_and_b32_e32 v60, 0x4040404, v60
	v_lshrrev_b32_e32 v65, 16, v62
	v_lshrrev_b32_e32 v66, 24, v62
	v_lshrrev_b16 v67, 8, v62
	v_sub_nc_u16 v58, v58, v62
	v_and_b32_e32 v40, 0x4040404, v40
	v_lshrrev_b32_e32 v62, 16, v44
	v_lshrrev_b32_e32 v68, 24, v44
	v_lshrrev_b16 v69, 8, v44
	v_bfe_u32 v52, v52, 24, 2
	v_and_or_b32 v50, v51, 48, v50
	v_lshrrev_b32_e32 v51, 16, v57
	v_lshrrev_b16 v59, 8, v57
	v_lshrrev_b32_e32 v63, 16, v54
	v_lshrrev_b16 v64, 8, v54
	v_sub_nc_u16 v44, v45, v44
	v_lshrrev_b32_e32 v45, 16, v60
	v_lshrrev_b32_e32 v70, 24, v60
	v_lshrrev_b16 v71, 8, v60
	v_sub_nc_u16 v57, v57, v60
	v_sub_nc_u16 v60, v61, v67
	;; [unrolled: 1-line block ×4, first 2 shown]
	v_lshrrev_b32_e32 v61, 16, v40
	v_lshrrev_b32_e32 v65, 24, v40
	v_lshrrev_b16 v66, 8, v40
	v_sub_nc_u16 v40, v54, v40
	v_sub_nc_u16 v54, v56, v69
	;; [unrolled: 1-line block ×4, first 2 shown]
	v_and_b32_e32 v44, 0xff, v44
	v_and_b32_e32 v56, 0xff, v57
	v_sub_nc_u16 v57, v59, v71
	v_sub_nc_u16 v52, v52, v70
	;; [unrolled: 1-line block ×3, first 2 shown]
	v_lshlrev_b16 v54, 8, v54
	v_lshlrev_b16 v46, 8, v46
	v_and_b32_e32 v55, 0xff, v55
	v_lshrrev_b32_e32 v47, 30, v47
	v_lshlrev_b16 v57, 8, v57
	v_lshlrev_b16 v52, 8, v52
	v_and_b32_e32 v45, 0xff, v45
	v_or_b32_e32 v44, v44, v54
	v_or_b32_e32 v46, v55, v46
	v_and_b32_e32 v58, 0xff, v58
	v_lshlrev_b16 v51, 8, v60
	v_lshlrev_b16 v53, 8, v53
	v_and_b32_e32 v49, 0xff, v49
	v_sub_nc_u16 v59, v64, v66
	v_sub_nc_u16 v47, v47, v65
	v_sub_nc_u16 v60, v63, v61
	v_or_b32_e32 v54, v56, v57
	v_or_b32_e32 v45, v45, v52
	v_and_b32_e32 v44, 0xffff, v44
	v_lshlrev_b32_e32 v46, 16, v46
	v_and_b32_e32 v40, 0xff, v40
	v_or_b32_e32 v51, v58, v51
	v_or_b32_e32 v49, v49, v53
	v_lshlrev_b16 v53, 8, v59
	v_lshlrev_b16 v47, 8, v47
	v_and_b32_e32 v52, 0xff, v60
	v_and_b32_e32 v54, 0xffff, v54
	v_lshlrev_b32_e32 v45, 16, v45
	v_or_b32_e32 v44, v44, v46
	s_wait_loadcnt 0x1
	v_lshrrev_b32_e32 v42, v17, v42
	v_subrev_nc_u32_e32 v43, 32, v43
	v_and_b32_e32 v46, 0xffff, v51
	v_lshlrev_b32_e32 v49, 16, v49
	v_or_b32_e32 v40, v40, v53
	v_or_b32_e32 v45, v54, v45
	v_dot4_i32_iu8 v44, v44, v32, 0 neg_lo:[1,1,0]
	v_or_b32_e32 v47, v52, v47
	v_bfe_u32 v41, v41, v12, 4
	v_lshlrev_b32_e32 v42, 4, v42
	v_subrev_nc_u32_e32 v50, 32, v50
	v_or_b32_e32 v46, v46, v49
	v_and_b32_e32 v40, 0xffff, v40
	v_dot4_i32_iu8 v45, v45, v31, 0 neg_lo:[1,1,0]
	v_mul_lo_u32 v43, v43, v44
	v_lshlrev_b32_e32 v44, 16, v47
	v_subrev_nc_u32_e32 v47, 32, v48
	v_dot4_i32_iu8 v46, v46, v23, 0 neg_lo:[1,1,0]
	v_mul_lo_u32 v45, v50, v45
	v_and_or_b32 v41, v42, 48, v41
	v_or_b32_e32 v40, v40, v44
	v_cvt_f32_i32_e32 v42, v43
	v_mul_lo_u32 v43, v47, v46
	s_delay_alu instid0(VALU_DEP_4) | instskip(NEXT) | instid1(VALU_DEP_4)
	v_subrev_nc_u32_e32 v41, 32, v41
	v_dot4_i32_iu8 v40, v40, v22, 0 neg_lo:[1,1,0]
	v_cvt_f32_i32_e32 v44, v45
	v_fma_f32 v42, v28, v42, 0
	s_delay_alu instid0(VALU_DEP_3) | instskip(SKIP_1) | instid1(VALU_DEP_3)
	v_mul_lo_u32 v40, v41, v40
	v_cvt_f32_i32_e32 v41, v43
	v_fmac_f32_e32 v42, v27, v44
	s_delay_alu instid0(VALU_DEP_1) | instskip(NEXT) | instid1(VALU_DEP_4)
	v_fmac_f32_e32 v42, v26, v41
	v_cvt_f32_i32_e32 v40, v40
	s_delay_alu instid0(VALU_DEP_1) | instskip(SKIP_1) | instid1(VALU_DEP_1)
	v_fmac_f32_e32 v42, v25, v40
	s_wait_loadcnt 0x0
	v_fma_mix_f32 v9, v42, v39, v9 op_sel_hi:[0,1,0]
	s_branch .LBB111_11
.LBB111_14:
	s_or_b32 exec_lo, exec_lo, s13
.LBB111_15:
	s_delay_alu instid0(SALU_CYCLE_1)
	s_or_b32 exec_lo, exec_lo, s18
	s_load_b32 s4, s[0:1], 0x30
	s_wait_loadcnt 0x0
	; wave barrier
	global_inv scope:SCOPE_SE
	s_mov_b32 s5, exec_lo
	v_cmpx_eq_u32_e32 0, v5
	s_cbranch_execz .LBB111_43
; %bb.16:
	v_mbcnt_lo_u32_b32 v1, -1, 0
	s_delay_alu instid0(VALU_DEP_1) | instskip(SKIP_1) | instid1(VALU_DEP_2)
	v_xor_b32_e32 v0, 16, v1
	v_xor_b32_e32 v7, 8, v1
	v_cmp_gt_i32_e32 vcc_lo, 32, v0
	s_wait_alu 0xfffd
	v_cndmask_b32_e32 v0, v1, v0, vcc_lo
	s_delay_alu instid0(VALU_DEP_3) | instskip(SKIP_2) | instid1(VALU_DEP_1)
	v_cmp_gt_i32_e32 vcc_lo, 32, v7
	s_wait_alu 0xfffd
	v_cndmask_b32_e32 v7, v1, v7, vcc_lo
	v_lshlrev_b32_e32 v7, 2, v7
	v_lshlrev_b32_e32 v0, 2, v0
	ds_bpermute_b32 v5, v0, v8
	s_wait_dscnt 0x0
	v_add_f32_e32 v5, v8, v5
	v_xor_b32_e32 v8, 4, v1
	ds_bpermute_b32 v10, v7, v5
	v_cmp_gt_i32_e32 vcc_lo, 32, v8
	s_wait_alu 0xfffd
	v_cndmask_b32_e32 v8, v1, v8, vcc_lo
	s_wait_dscnt 0x0
	s_delay_alu instid0(VALU_DEP_1)
	v_dual_add_f32 v5, v5, v10 :: v_dual_lshlrev_b32 v8, 2, v8
	v_xor_b32_e32 v10, 2, v1
	ds_bpermute_b32 v11, v8, v5
	v_cmp_gt_i32_e32 vcc_lo, 32, v10
	s_wait_alu 0xfffd
	v_cndmask_b32_e32 v10, v1, v10, vcc_lo
	s_wait_dscnt 0x0
	s_delay_alu instid0(VALU_DEP_1)
	v_dual_add_f32 v5, v5, v11 :: v_dual_lshlrev_b32 v10, 2, v10
	v_xor_b32_e32 v11, 1, v1
	ds_bpermute_b32 v12, v10, v5
	v_cmp_gt_i32_e32 vcc_lo, 32, v11
	s_wait_alu 0xfffd
	v_cndmask_b32_e32 v1, v1, v11, vcc_lo
	v_cmp_ne_u32_e32 vcc_lo, 1, v6
	s_delay_alu instid0(VALU_DEP_2)
	v_lshlrev_b32_e32 v11, 2, v1
	s_wait_dscnt 0x0
	v_add_f32_e32 v1, v5, v12
	ds_bpermute_b32 v5, v11, v1
	s_cbranch_vccnz .LBB111_18
; %bb.17:
	ds_bpermute_b32 v0, v0, v9
	s_wait_dscnt 0x0
	v_add_f32_e32 v0, v9, v0
	ds_bpermute_b32 v7, v7, v0
	s_wait_dscnt 0x0
	v_add_f32_e32 v0, v0, v7
	;; [unrolled: 3-line block ×5, first 2 shown]
.LBB111_18:
	v_cmp_eq_u32_e32 vcc_lo, 0, v2
	s_and_b32 exec_lo, exec_lo, vcc_lo
	s_cbranch_execz .LBB111_43
; %bb.19:
	s_wait_dscnt 0x0
	v_add_f32_e32 v0, v1, v5
	v_cmp_ne_u32_e32 vcc_lo, 1, v6
	s_delay_alu instid0(VALU_DEP_2) | instskip(NEXT) | instid1(VALU_DEP_1)
	v_add_f32_e32 v1, v4, v0
	v_cndmask_b32_e64 v0, v0, v1, s2
	s_cbranch_vccnz .LBB111_42
; %bb.20:
	v_add_f32_e32 v1, v3, v9
	s_wait_kmcnt 0x0
	s_cmp_lt_i32 s4, 2
	s_mov_b32 s2, 0
	s_delay_alu instid0(VALU_DEP_1)
	v_cndmask_b32_e64 v1, v9, v1, s3
	s_cbranch_scc1 .LBB111_25
; %bb.21:
	s_cmp_gt_i32 s4, 2
	s_cbranch_scc0 .LBB111_26
; %bb.22:
	s_cmp_eq_u32 s4, 3
	s_cbranch_scc0 .LBB111_27
; %bb.23:
	v_max_num_f32_e32 v3, v1, v1
	s_mov_b32 s3, 0xc0e00000
	s_delay_alu instid0(VALU_DEP_1) | instskip(NEXT) | instid1(VALU_DEP_1)
	v_min_num_f32_e32 v3, 0x40e00000, v3
	v_mul_f32_e32 v4, 0xbfd9db23, v3
	s_delay_alu instid0(VALU_DEP_1) | instskip(NEXT) | instid1(VALU_DEP_1)
	v_mul_f32_e32 v5, 0x3fb8aa3b, v4
	v_fma_f32 v6, 0x3fb8aa3b, v4, -v5
	v_rndne_f32_e32 v7, v5
	s_delay_alu instid0(VALU_DEP_1) | instskip(NEXT) | instid1(VALU_DEP_1)
	v_dual_fmamk_f32 v6, v4, 0x32a5705f, v6 :: v_dual_sub_f32 v5, v5, v7
	v_add_f32_e32 v5, v5, v6
	v_cvt_i32_f32_e32 v6, v7
	v_cmp_ngt_f32_e32 vcc_lo, 0xc2ce8ed0, v4
	s_delay_alu instid0(VALU_DEP_3) | instskip(NEXT) | instid1(TRANS32_DEP_1)
	v_exp_f32_e32 v5, v5
	v_ldexp_f32 v5, v5, v6
	s_wait_alu 0xfffd
	s_delay_alu instid0(VALU_DEP_1) | instskip(SKIP_2) | instid1(VALU_DEP_2)
	v_cndmask_b32_e32 v5, 0, v5, vcc_lo
	v_cmp_nlt_f32_e32 vcc_lo, 0x42b17218, v4
	s_wait_alu 0xfffd
	v_cndmask_b32_e32 v4, 0x7f800000, v5, vcc_lo
	s_delay_alu instid0(VALU_DEP_1) | instskip(NEXT) | instid1(VALU_DEP_1)
	v_add_f32_e32 v4, 1.0, v4
	v_div_scale_f32 v5, null, v4, v4, v3
	v_div_scale_f32 v8, vcc_lo, v3, v4, v3
	s_delay_alu instid0(VALU_DEP_2) | instskip(NEXT) | instid1(TRANS32_DEP_1)
	v_rcp_f32_e32 v6, v5
	v_fma_f32 v7, -v5, v6, 1.0
	s_delay_alu instid0(VALU_DEP_1) | instskip(NEXT) | instid1(VALU_DEP_1)
	v_fmac_f32_e32 v6, v7, v6
	v_mul_f32_e32 v7, v8, v6
	s_delay_alu instid0(VALU_DEP_1) | instskip(NEXT) | instid1(VALU_DEP_1)
	v_fma_f32 v9, -v5, v7, v8
	v_fmac_f32_e32 v7, v9, v6
	s_delay_alu instid0(VALU_DEP_1) | instskip(SKIP_2) | instid1(VALU_DEP_2)
	v_fma_f32 v5, -v5, v7, v8
	v_max_num_f32_e32 v8, v0, v0
	s_wait_alu 0xfffd
	v_div_fmas_f32 v5, v5, v6, v7
	s_wait_alu 0xfffe
	s_delay_alu instid0(VALU_DEP_2) | instskip(SKIP_1) | instid1(VALU_DEP_2)
	v_minmax_num_f32 v6, v8, 0x40e00000, s3
	s_mov_b32 s3, 0
	v_div_fixup_f32 v3, v5, v4, v3
	s_delay_alu instid0(VALU_DEP_2) | instskip(NEXT) | instid1(VALU_DEP_1)
	v_add_f32_e32 v4, 1.0, v6
	v_mul_f32_e32 v3, v4, v3
	s_branch .LBB111_28
.LBB111_24:
                                        ; implicit-def: $sgpr28
	s_clause 0x1
	s_load_b32 s31, s[0:1], 0x50
	s_load_b32 s29, s[0:1], 0x78
	s_branch .LBB111_2
.LBB111_25:
	s_mov_b32 s3, 0
                                        ; implicit-def: $vgpr3
	s_cbranch_execnz .LBB111_32
	s_branch .LBB111_33
.LBB111_26:
	s_mov_b32 s5, -1
	s_mov_b32 s3, 0
                                        ; implicit-def: $vgpr3
	s_branch .LBB111_29
.LBB111_27:
	s_mov_b32 s3, -1
                                        ; implicit-def: $vgpr3
.LBB111_28:
	s_mov_b32 s5, 0
.LBB111_29:
	s_wait_alu 0xfffe
	s_and_b32 vcc_lo, exec_lo, s5
	s_wait_alu 0xfffe
	s_cbranch_vccz .LBB111_31
; %bb.30:
	v_mul_f32_e32 v3, 0xbfb8aa3b, v1
	v_cmp_nlt_f32_e32 vcc_lo, 0x42ce8ed0, v1
	s_delay_alu instid0(VALU_DEP_2) | instskip(SKIP_1) | instid1(VALU_DEP_2)
	v_rndne_f32_e32 v4, v3
	v_fma_f32 v5, 0xbfb8aa3b, v1, -v3
	v_sub_f32_e32 v3, v3, v4
	s_delay_alu instid0(VALU_DEP_2) | instskip(SKIP_1) | instid1(VALU_DEP_2)
	v_fmamk_f32 v5, v1, 0xb2a5705f, v5
	v_cvt_i32_f32_e32 v4, v4
	v_add_f32_e32 v3, v3, v5
	s_delay_alu instid0(VALU_DEP_1) | instskip(NEXT) | instid1(TRANS32_DEP_1)
	v_exp_f32_e32 v3, v3
	v_ldexp_f32 v3, v3, v4
	s_wait_alu 0xfffd
	s_delay_alu instid0(VALU_DEP_1) | instskip(SKIP_2) | instid1(VALU_DEP_2)
	v_cndmask_b32_e32 v3, 0, v3, vcc_lo
	v_cmp_ngt_f32_e32 vcc_lo, 0xc2b17218, v1
	s_wait_alu 0xfffd
	v_cndmask_b32_e32 v3, 0x7f800000, v3, vcc_lo
	s_delay_alu instid0(VALU_DEP_1) | instskip(NEXT) | instid1(VALU_DEP_1)
	v_add_f32_e32 v3, 1.0, v3
	v_div_scale_f32 v4, null, v3, v3, v1
	s_delay_alu instid0(VALU_DEP_1) | instskip(NEXT) | instid1(TRANS32_DEP_1)
	v_rcp_f32_e32 v5, v4
	v_fma_f32 v6, -v4, v5, 1.0
	s_delay_alu instid0(VALU_DEP_1) | instskip(SKIP_1) | instid1(VALU_DEP_1)
	v_fmac_f32_e32 v5, v6, v5
	v_div_scale_f32 v6, vcc_lo, v1, v3, v1
	v_mul_f32_e32 v7, v6, v5
	s_delay_alu instid0(VALU_DEP_1) | instskip(NEXT) | instid1(VALU_DEP_1)
	v_fma_f32 v8, -v4, v7, v6
	v_fmac_f32_e32 v7, v8, v5
	s_delay_alu instid0(VALU_DEP_1) | instskip(SKIP_1) | instid1(VALU_DEP_1)
	v_fma_f32 v4, -v4, v7, v6
	s_wait_alu 0xfffd
	v_div_fmas_f32 v4, v4, v5, v7
	s_delay_alu instid0(VALU_DEP_1) | instskip(NEXT) | instid1(VALU_DEP_1)
	v_div_fixup_f32 v3, v4, v3, v1
	v_mul_f32_e32 v3, v0, v3
.LBB111_31:
	s_branch .LBB111_33
.LBB111_32:
	s_cmp_lg_u32 s4, 1
	s_mov_b32 s2, -1
	s_cselect_b32 s3, -1, 0
.LBB111_33:
	s_wait_alu 0xfffe
	s_and_not1_b32 vcc_lo, exec_lo, s3
	s_wait_alu 0xfffe
	s_cbranch_vccz .LBB111_35
; %bb.34:
	s_and_not1_b32 vcc_lo, exec_lo, s2
	s_wait_alu 0xfffe
	s_cbranch_vccz .LBB111_36
	s_branch .LBB111_41
.LBB111_35:
	v_mul_f32_e32 v3, v1, v0
	s_cbranch_execnz .LBB111_41
.LBB111_36:
	v_mul_f32_e32 v3, 0x3d372713, v1
	v_mul_f32_e32 v4, 0x3f4c422a, v1
	s_delay_alu instid0(VALU_DEP_2) | instskip(NEXT) | instid1(VALU_DEP_1)
	v_fma_f32 v3, v1, v3, 1.0
	v_mul_f32_e32 v3, v4, v3
                                        ; implicit-def: $vgpr4
	s_delay_alu instid0(VALU_DEP_1)
	v_cmp_ngt_f32_e64 s2, 0x3f200000, |v3|
	s_and_saveexec_b32 s3, s2
	s_wait_alu 0xfffe
	s_xor_b32 s2, exec_lo, s3
	s_cbranch_execz .LBB111_38
; %bb.37:
	v_add_f32_e64 v4, |v3|, |v3|
	s_delay_alu instid0(VALU_DEP_1) | instskip(SKIP_1) | instid1(VALU_DEP_2)
	v_mul_f32_e32 v5, 0x3fb8aa3b, v4
	v_cmp_ngt_f32_e32 vcc_lo, 0xc2ce8ed0, v4
	v_rndne_f32_e32 v6, v5
	v_fma_f32 v7, 0x3fb8aa3b, v4, -v5
	s_delay_alu instid0(VALU_DEP_2) | instskip(NEXT) | instid1(VALU_DEP_2)
	v_sub_f32_e32 v5, v5, v6
	v_fmamk_f32 v7, v4, 0x32a5705f, v7
	v_cvt_i32_f32_e32 v6, v6
	s_delay_alu instid0(VALU_DEP_2) | instskip(NEXT) | instid1(VALU_DEP_1)
	v_add_f32_e32 v5, v5, v7
	v_exp_f32_e32 v5, v5
	s_delay_alu instid0(TRANS32_DEP_1) | instskip(SKIP_1) | instid1(VALU_DEP_1)
	v_ldexp_f32 v5, v5, v6
	s_wait_alu 0xfffd
	v_cndmask_b32_e32 v5, 0, v5, vcc_lo
	v_cmp_nlt_f32_e32 vcc_lo, 0x42b17218, v4
	s_wait_alu 0xfffd
	s_delay_alu instid0(VALU_DEP_2) | instskip(NEXT) | instid1(VALU_DEP_1)
	v_cndmask_b32_e32 v4, 0x7f800000, v5, vcc_lo
	v_add_f32_e32 v4, 1.0, v4
	s_delay_alu instid0(VALU_DEP_1) | instskip(NEXT) | instid1(TRANS32_DEP_1)
	v_rcp_f32_e32 v4, v4
	v_fma_f32 v4, v4, -2.0, 1.0
.LBB111_38:
	s_wait_alu 0xfffe
	s_and_not1_saveexec_b32 s2, s2
	s_cbranch_execz .LBB111_40
; %bb.39:
	v_mul_f32_e32 v4, v3, v3
	s_mov_b32 s3, 0xbbbac73d
	s_wait_alu 0xfffe
	s_delay_alu instid0(VALU_DEP_1) | instskip(NEXT) | instid1(VALU_DEP_1)
	v_fmaak_f32 v5, s3, v4, 0x3ca908c9
	v_fmaak_f32 v5, v4, v5, 0xbd5c1c4e
	s_delay_alu instid0(VALU_DEP_1) | instskip(NEXT) | instid1(VALU_DEP_1)
	v_fmaak_f32 v5, v4, v5, 0x3e088382
	v_fmaak_f32 v5, v4, v5, 0xbeaaaa99
	s_delay_alu instid0(VALU_DEP_1) | instskip(NEXT) | instid1(VALU_DEP_1)
	v_mul_f32_e64 v5, |v3|, v5
	v_fma_f32 v4, v4, v5, |v3|
.LBB111_40:
	s_wait_alu 0xfffe
	s_or_b32 exec_lo, exec_lo, s2
	s_delay_alu instid0(VALU_DEP_1) | instskip(SKIP_1) | instid1(VALU_DEP_2)
	v_bfi_b32 v3, 0x7fffffff, v4, v3
	v_mul_f32_e32 v1, 0.5, v1
	v_add_f32_e32 v3, 1.0, v3
	s_delay_alu instid0(VALU_DEP_1) | instskip(NEXT) | instid1(VALU_DEP_1)
	v_mul_f32_e32 v1, v1, v3
	v_mul_f32_e32 v3, v0, v1
.LBB111_41:
	s_delay_alu instid0(VALU_DEP_1)
	v_mov_b32_e32 v0, v3
.LBB111_42:
	s_load_b64 s[0:1], s[0:1], 0x38
	s_mul_i32 s2, s6, s27
	s_wait_kmcnt 0x0
	s_mul_i32 s3, s26, s21
	s_wait_alu 0xfffe
	s_add_co_i32 s2, s2, ttmp9
	v_lshlrev_b32_e32 v1, 2, v2
	s_wait_alu 0xfffe
	s_add_co_i32 s2, s2, s3
	s_mov_b32 s3, 0
	s_wait_alu 0xfffe
	s_lshl_b64 s[2:3], s[2:3], 2
	s_wait_alu 0xfffe
	s_add_nc_u64 s[0:1], s[0:1], s[2:3]
	global_store_b32 v1, v0, s[0:1]
.LBB111_43:
	s_endpgm
	.section	.rodata,"a",@progbits
	.p2align	6, 0x0
	.amdhsa_kernel _ZL13mul_mat_vec_qIL9ggml_type11ELi1ELb1ELb0EEvPKvS2_PKi31ggml_cuda_mm_fusion_args_devicePfj15HIP_vector_typeIjLj3EEjjjS8_jjjS8_jjjj
		.amdhsa_group_segment_fixed_size 0
		.amdhsa_private_segment_fixed_size 0
		.amdhsa_kernarg_size 144
		.amdhsa_user_sgpr_count 2
		.amdhsa_user_sgpr_dispatch_ptr 0
		.amdhsa_user_sgpr_queue_ptr 0
		.amdhsa_user_sgpr_kernarg_segment_ptr 1
		.amdhsa_user_sgpr_dispatch_id 0
		.amdhsa_user_sgpr_private_segment_size 0
		.amdhsa_wavefront_size32 1
		.amdhsa_uses_dynamic_stack 0
		.amdhsa_enable_private_segment 0
		.amdhsa_system_sgpr_workgroup_id_x 1
		.amdhsa_system_sgpr_workgroup_id_y 1
		.amdhsa_system_sgpr_workgroup_id_z 1
		.amdhsa_system_sgpr_workgroup_info 0
		.amdhsa_system_vgpr_workitem_id 1
		.amdhsa_next_free_vgpr 72
		.amdhsa_next_free_sgpr 38
		.amdhsa_reserve_vcc 1
		.amdhsa_float_round_mode_32 0
		.amdhsa_float_round_mode_16_64 0
		.amdhsa_float_denorm_mode_32 3
		.amdhsa_float_denorm_mode_16_64 3
		.amdhsa_fp16_overflow 0
		.amdhsa_workgroup_processor_mode 1
		.amdhsa_memory_ordered 1
		.amdhsa_forward_progress 1
		.amdhsa_inst_pref_size 37
		.amdhsa_round_robin_scheduling 0
		.amdhsa_exception_fp_ieee_invalid_op 0
		.amdhsa_exception_fp_denorm_src 0
		.amdhsa_exception_fp_ieee_div_zero 0
		.amdhsa_exception_fp_ieee_overflow 0
		.amdhsa_exception_fp_ieee_underflow 0
		.amdhsa_exception_fp_ieee_inexact 0
		.amdhsa_exception_int_div_zero 0
	.end_amdhsa_kernel
	.section	.text._ZL13mul_mat_vec_qIL9ggml_type11ELi1ELb1ELb0EEvPKvS2_PKi31ggml_cuda_mm_fusion_args_devicePfj15HIP_vector_typeIjLj3EEjjjS8_jjjS8_jjjj,"axG",@progbits,_ZL13mul_mat_vec_qIL9ggml_type11ELi1ELb1ELb0EEvPKvS2_PKi31ggml_cuda_mm_fusion_args_devicePfj15HIP_vector_typeIjLj3EEjjjS8_jjjS8_jjjj,comdat
.Lfunc_end111:
	.size	_ZL13mul_mat_vec_qIL9ggml_type11ELi1ELb1ELb0EEvPKvS2_PKi31ggml_cuda_mm_fusion_args_devicePfj15HIP_vector_typeIjLj3EEjjjS8_jjjS8_jjjj, .Lfunc_end111-_ZL13mul_mat_vec_qIL9ggml_type11ELi1ELb1ELb0EEvPKvS2_PKi31ggml_cuda_mm_fusion_args_devicePfj15HIP_vector_typeIjLj3EEjjjS8_jjjS8_jjjj
                                        ; -- End function
	.set _ZL13mul_mat_vec_qIL9ggml_type11ELi1ELb1ELb0EEvPKvS2_PKi31ggml_cuda_mm_fusion_args_devicePfj15HIP_vector_typeIjLj3EEjjjS8_jjjS8_jjjj.num_vgpr, 72
	.set _ZL13mul_mat_vec_qIL9ggml_type11ELi1ELb1ELb0EEvPKvS2_PKi31ggml_cuda_mm_fusion_args_devicePfj15HIP_vector_typeIjLj3EEjjjS8_jjjS8_jjjj.num_agpr, 0
	.set _ZL13mul_mat_vec_qIL9ggml_type11ELi1ELb1ELb0EEvPKvS2_PKi31ggml_cuda_mm_fusion_args_devicePfj15HIP_vector_typeIjLj3EEjjjS8_jjjS8_jjjj.numbered_sgpr, 38
	.set _ZL13mul_mat_vec_qIL9ggml_type11ELi1ELb1ELb0EEvPKvS2_PKi31ggml_cuda_mm_fusion_args_devicePfj15HIP_vector_typeIjLj3EEjjjS8_jjjS8_jjjj.num_named_barrier, 0
	.set _ZL13mul_mat_vec_qIL9ggml_type11ELi1ELb1ELb0EEvPKvS2_PKi31ggml_cuda_mm_fusion_args_devicePfj15HIP_vector_typeIjLj3EEjjjS8_jjjS8_jjjj.private_seg_size, 0
	.set _ZL13mul_mat_vec_qIL9ggml_type11ELi1ELb1ELb0EEvPKvS2_PKi31ggml_cuda_mm_fusion_args_devicePfj15HIP_vector_typeIjLj3EEjjjS8_jjjS8_jjjj.uses_vcc, 1
	.set _ZL13mul_mat_vec_qIL9ggml_type11ELi1ELb1ELb0EEvPKvS2_PKi31ggml_cuda_mm_fusion_args_devicePfj15HIP_vector_typeIjLj3EEjjjS8_jjjS8_jjjj.uses_flat_scratch, 0
	.set _ZL13mul_mat_vec_qIL9ggml_type11ELi1ELb1ELb0EEvPKvS2_PKi31ggml_cuda_mm_fusion_args_devicePfj15HIP_vector_typeIjLj3EEjjjS8_jjjS8_jjjj.has_dyn_sized_stack, 0
	.set _ZL13mul_mat_vec_qIL9ggml_type11ELi1ELb1ELb0EEvPKvS2_PKi31ggml_cuda_mm_fusion_args_devicePfj15HIP_vector_typeIjLj3EEjjjS8_jjjS8_jjjj.has_recursion, 0
	.set _ZL13mul_mat_vec_qIL9ggml_type11ELi1ELb1ELb0EEvPKvS2_PKi31ggml_cuda_mm_fusion_args_devicePfj15HIP_vector_typeIjLj3EEjjjS8_jjjS8_jjjj.has_indirect_call, 0
	.section	.AMDGPU.csdata,"",@progbits
; Kernel info:
; codeLenInByte = 4696
; TotalNumSgprs: 40
; NumVgprs: 72
; ScratchSize: 0
; MemoryBound: 0
; FloatMode: 240
; IeeeMode: 1
; LDSByteSize: 0 bytes/workgroup (compile time only)
; SGPRBlocks: 0
; VGPRBlocks: 8
; NumSGPRsForWavesPerEU: 40
; NumVGPRsForWavesPerEU: 72
; Occupancy: 16
; WaveLimiterHint : 0
; COMPUTE_PGM_RSRC2:SCRATCH_EN: 0
; COMPUTE_PGM_RSRC2:USER_SGPR: 2
; COMPUTE_PGM_RSRC2:TRAP_HANDLER: 0
; COMPUTE_PGM_RSRC2:TGID_X_EN: 1
; COMPUTE_PGM_RSRC2:TGID_Y_EN: 1
; COMPUTE_PGM_RSRC2:TGID_Z_EN: 1
; COMPUTE_PGM_RSRC2:TIDIG_COMP_CNT: 1
	.section	.text._ZL13mul_mat_vec_qIL9ggml_type11ELi1ELb0ELb0EEvPKvS2_PKi31ggml_cuda_mm_fusion_args_devicePfj15HIP_vector_typeIjLj3EEjjjS8_jjjS8_jjjj,"axG",@progbits,_ZL13mul_mat_vec_qIL9ggml_type11ELi1ELb0ELb0EEvPKvS2_PKi31ggml_cuda_mm_fusion_args_devicePfj15HIP_vector_typeIjLj3EEjjjS8_jjjS8_jjjj,comdat
	.globl	_ZL13mul_mat_vec_qIL9ggml_type11ELi1ELb0ELb0EEvPKvS2_PKi31ggml_cuda_mm_fusion_args_devicePfj15HIP_vector_typeIjLj3EEjjjS8_jjjS8_jjjj ; -- Begin function _ZL13mul_mat_vec_qIL9ggml_type11ELi1ELb0ELb0EEvPKvS2_PKi31ggml_cuda_mm_fusion_args_devicePfj15HIP_vector_typeIjLj3EEjjjS8_jjjS8_jjjj
	.p2align	8
	.type	_ZL13mul_mat_vec_qIL9ggml_type11ELi1ELb0ELb0EEvPKvS2_PKi31ggml_cuda_mm_fusion_args_devicePfj15HIP_vector_typeIjLj3EEjjjS8_jjjS8_jjjj,@function
_ZL13mul_mat_vec_qIL9ggml_type11ELi1ELb0ELb0EEvPKvS2_PKi31ggml_cuda_mm_fusion_args_devicePfj15HIP_vector_typeIjLj3EEjjjS8_jjjS8_jjjj: ; @_ZL13mul_mat_vec_qIL9ggml_type11ELi1ELb0ELb0EEvPKvS2_PKi31ggml_cuda_mm_fusion_args_devicePfj15HIP_vector_typeIjLj3EEjjjS8_jjjS8_jjjj
; %bb.0:
	s_clause 0x1
	s_load_b64 s[2:3], s[0:1], 0x10
	s_load_b128 s[8:11], s[0:1], 0x40
	s_and_b32 s15, ttmp7, 0xffff
	s_wait_kmcnt 0x0
	s_cmp_lg_u64 s[2:3], 0
	s_cselect_b32 s12, -1, 0
	s_cmp_eq_u64 s[2:3], 0
	s_cbranch_scc1 .LBB112_13
; %bb.1:
	s_lshl_b32 s4, s15, 2
	s_load_b32 s2, s[2:3], s4 offset:0x0
	s_clause 0x1
	s_load_b128 s[4:7], s[0:1], 0x68
	s_load_b32 s3, s[0:1], 0x50
	s_cbranch_execnz .LBB112_3
.LBB112_2:
	s_load_b64 s[16:17], s[0:1], 0x5c
	s_wait_kmcnt 0x0
	s_mul_hi_u32 s2, s16, s15
	s_delay_alu instid0(SALU_CYCLE_1) | instskip(NEXT) | instid1(SALU_CYCLE_1)
	s_add_co_i32 s2, s15, s2
	s_lshr_b32 s2, s2, s17
.LBB112_3:
	s_load_b32 s20, s[0:1], 0x78
	s_and_not1_b32 vcc_lo, exec_lo, s12
	s_mov_b32 s19, s15
	s_cbranch_vccnz .LBB112_5
; %bb.4:
	s_mul_hi_u32 s9, s9, s15
	s_delay_alu instid0(SALU_CYCLE_1) | instskip(NEXT) | instid1(SALU_CYCLE_1)
	s_add_co_i32 s9, s15, s9
	s_lshr_b32 s9, s9, s10
	s_delay_alu instid0(SALU_CYCLE_1) | instskip(NEXT) | instid1(SALU_CYCLE_1)
	s_mul_i32 s9, s9, s11
	s_sub_co_i32 s19, s15, s9
.LBB112_5:
	s_load_b96 s[12:14], s[0:1], 0x80
	v_bfe_u32 v3, v0, 10, 10
	v_dual_mov_b32 v5, 0 :: v_dual_and_b32 v2, 0x3ff, v0
	s_lshr_b32 s18, s8, 8
	s_lshr_b32 s16, ttmp7, 16
	s_mov_b32 s17, exec_lo
	s_delay_alu instid0(VALU_DEP_1) | instskip(NEXT) | instid1(VALU_DEP_1)
	v_lshl_or_b32 v0, v3, 5, v2
	v_lshrrev_b32_e32 v4, 4, v0
	s_delay_alu instid0(VALU_DEP_1)
	v_cmpx_gt_u32_e64 s18, v4
	s_cbranch_execz .LBB112_9
; %bb.6:
	s_load_b128 s[8:11], s[0:1], 0x0
	v_and_b32_e32 v1, 8, v2
	v_bfe_u32 v6, v2, 2, 1
	v_lshrrev_b32_e32 v5, 1, v2
	v_lshlrev_b32_e32 v8, 1, v2
	v_bfe_u32 v12, v2, 3, 1
	s_wait_kmcnt 0x0
	s_mul_hi_u32 s7, s7, s16
	v_or_b32_e32 v10, v6, v1
	v_and_b32_e32 v7, 4, v5
	v_mov_b32_e32 v5, 0
	v_and_b32_e32 v15, 30, v8
	v_lshrrev_b32_e32 v8, 1, v1
	v_lshrrev_b32_e32 v17, 4, v0
	v_mul_hi_u32_u24_e32 v1, 0x90, v12
	v_mul_u32_u24_e32 v0, 0x90, v12
	s_add_co_i32 s7, s16, s7
	s_mul_i32 s21, s3, ttmp9
	s_lshr_b32 s3, s7, s20
	s_mul_i32 s7, s2, s4
	s_mul_i32 s20, s3, s12
	;; [unrolled: 1-line block ×3, first 2 shown]
	s_mov_b32 s3, 0
	v_and_b32_e32 v14, 7, v2
	v_or_b32_e32 v13, 6, v10
	v_mad_co_u64_u32 v[0:1], null, 0x120, v17, v[0:1]
	s_mul_i32 s4, s19, s5
	s_mov_b32 s5, s3
	s_mul_u64 s[12:13], s[2:3], 36
	s_mul_u64 s[4:5], s[4:5], 36
	s_add_nc_u64 s[10:11], s[10:11], s[12:13]
	v_or_b32_e32 v11, 4, v10
	v_lshlrev_b32_e32 v16, 1, v14
	v_lshrrev_b32_e32 v18, 1, v13
	s_add_nc_u64 s[4:5], s[10:11], s[4:5]
	v_and_b32_e32 v12, 3, v13
	v_add_co_u32 v0, vcc_lo, s4, v0
	v_and_b32_e32 v9, 5, v11
	v_lshrrev_b32_e32 v10, 1, v11
	v_and_b32_e32 v11, 7, v13
	v_and_b32_e32 v13, 6, v18
	v_lshlrev_b32_e32 v14, 2, v14
	v_add_co_ci_u32_e64 v1, null, s5, v1, vcc_lo
	v_lshlrev_b32_e32 v15, 1, v15
	v_lshlrev_b32_e32 v16, 1, v16
	s_add_co_i32 s20, s20, s21
	s_delay_alu instid0(SALU_CYCLE_1)
	s_add_co_i32 s4, s7, s20
.LBB112_7:                              ; =>This Inner Loop Header: Depth=1
	s_wait_alu 0xfffe
	v_add_nc_u32_e32 v19, s4, v4
	v_add_co_u32 v17, vcc_lo, v0, v14
	s_wait_alu 0xfffd
	v_add_co_ci_u32_e64 v18, null, 0, v1, vcc_lo
	s_delay_alu instid0(VALU_DEP_3) | instskip(SKIP_1) | instid1(VALU_DEP_1)
	v_mad_co_i64_i32 v[19:20], null, 0x6e, v19, s[8:9]
	v_add_nc_u32_e32 v4, 2, v4
	v_cmp_le_u32_e64 s2, s18, v4
	s_delay_alu instid0(VALU_DEP_3) | instskip(SKIP_1) | instid1(VALU_DEP_4)
	v_add_co_u32 v21, vcc_lo, v19, v15
	s_wait_alu 0xfffd
	v_add_co_ci_u32_e64 v22, null, 0, v20, vcc_lo
	v_add_co_u32 v23, vcc_lo, v19, v16
	s_wait_alu 0xfffd
	v_add_co_ci_u32_e64 v24, null, 0, v20, vcc_lo
	;; [unrolled: 3-line block ×6, first 2 shown]
	s_clause 0x9
	global_load_u16 v19, v[19:20], off offset:108
	global_load_b32 v20, v[21:22], off offset:32
	global_load_b32 v21, v[23:24], off
	global_load_u8 v22, v[25:26], off offset:96
	global_load_u8 v23, v[25:26], off offset:104
	global_load_u8 v24, v[25:26], off offset:106
	global_load_u8 v27, v[27:28], off offset:96
	global_load_u8 v28, v[29:30], off offset:96
	global_load_u8 v29, v[31:32], off offset:104
	global_load_u8 v25, v[25:26], off offset:98
	s_clause 0x7
	global_load_b32 v26, v[17:18], off offset:4
	global_load_b32 v30, v[17:18], off offset:40
	;; [unrolled: 1-line block ×4, first 2 shown]
	global_load_b32 v18, v[0:1], off
	global_load_b32 v32, v[0:1], off offset:36
	global_load_b32 v33, v[0:1], off offset:72
	;; [unrolled: 1-line block ×3, first 2 shown]
	v_add_co_u32 v0, vcc_lo, 0x240, v0
	s_wait_alu 0xfffd
	v_add_co_ci_u32_e64 v1, null, 0, v1, vcc_lo
	s_or_b32 s3, s2, s3
	s_wait_loadcnt 0x10
	v_lshrrev_b32_e32 v39, 4, v20
	s_wait_loadcnt 0xf
	v_ashrrev_i32_e32 v21, v7, v21
	s_wait_loadcnt 0xe
	v_bfe_u32 v22, v22, v8, 4
	s_wait_loadcnt 0xd
	v_lshrrev_b32_e32 v35, v8, v23
	v_lshrrev_b32_e32 v23, v10, v23
	v_and_b32_e32 v36, 0x3030303, v20
	v_not_b32_e32 v21, v21
	s_wait_loadcnt 0xc
	v_lshrrev_b32_e32 v24, v8, v24
	v_lshlrev_b32_e32 v35, 4, v35
	v_lshrrev_b32_e32 v38, 2, v20
	s_wait_loadcnt 0xb
	v_bfe_u32 v27, v27, v8, 4
	s_wait_loadcnt 0x9
	v_lshrrev_b32_e32 v29, v13, v29
	v_lshrrev_b32_e32 v40, 6, v20
	v_and_or_b32 v22, v35, 48, v22
	v_lshlrev_b32_e32 v35, 2, v21
	v_lshlrev_b32_e32 v23, 4, v23
	v_and_b32_e32 v44, 0x3030303, v39
	v_lshlrev_b32_e32 v46, 1, v21
	v_and_b32_e32 v48, 0x4040404, v21
	v_lshrrev_b32_e32 v21, 1, v21
	v_and_b32_e32 v35, 0x4040404, v35
	v_bfe_u32 v37, v20, 24, 2
	s_wait_loadcnt 0x8
	v_bfe_u32 v25, v25, v8, 4
	v_bfe_u32 v28, v28, v8, 4
	v_lshrrev_b32_e32 v41, 16, v36
	v_lshrrev_b16 v42, 8, v36
	v_lshlrev_b32_e32 v24, 4, v24
	v_and_b32_e32 v43, 0x3030303, v38
	v_bfe_u32 v39, v39, 24, 2
	v_lshlrev_b32_e32 v29, 4, v29
	v_and_b32_e32 v40, 0x3030303, v40
	v_and_or_b32 v23, v23, 48, v27
	v_lshrrev_b32_e32 v27, 16, v44
	v_lshrrev_b16 v47, 8, v44
	v_and_b32_e32 v46, 0x4040404, v46
	v_lshrrev_b32_e32 v50, 16, v48
	v_lshrrev_b32_e32 v51, 24, v48
	v_lshrrev_b16 v52, 8, v48
	v_sub_nc_u16 v44, v44, v48
	v_and_b32_e32 v21, 0x4040404, v21
	v_lshrrev_b32_e32 v48, 16, v35
	v_lshrrev_b32_e32 v53, 24, v35
	v_lshrrev_b16 v54, 8, v35
	v_bfe_u32 v38, v38, 24, 2
	v_and_or_b32 v24, v24, 48, v25
	v_lshrrev_b32_e32 v25, 16, v43
	v_lshrrev_b16 v45, 8, v43
	v_and_or_b32 v28, v29, 48, v28
	v_lshrrev_b32_e32 v29, 16, v40
	v_lshrrev_b16 v49, 8, v40
	v_sub_nc_u16 v35, v36, v35
	v_lshrrev_b32_e32 v36, 16, v46
	v_lshrrev_b32_e32 v55, 24, v46
	v_lshrrev_b16 v56, 8, v46
	v_sub_nc_u16 v43, v43, v46
	v_sub_nc_u16 v46, v47, v52
	;; [unrolled: 1-line block ×4, first 2 shown]
	v_lshrrev_b32_e32 v47, 16, v21
	v_lshrrev_b32_e32 v50, 24, v21
	v_lshrrev_b16 v51, 8, v21
	v_sub_nc_u16 v21, v40, v21
	v_sub_nc_u16 v40, v42, v54
	;; [unrolled: 1-line block ×4, first 2 shown]
	v_and_b32_e32 v35, 0xff, v35
	v_and_b32_e32 v42, 0xff, v43
	v_sub_nc_u16 v43, v45, v56
	v_sub_nc_u16 v38, v38, v55
	;; [unrolled: 1-line block ×3, first 2 shown]
	v_lshlrev_b16 v40, 8, v40
	v_lshlrev_b16 v37, 8, v37
	v_and_b32_e32 v41, 0xff, v41
	v_lshrrev_b32_e32 v20, 30, v20
	v_lshlrev_b16 v43, 8, v43
	v_lshlrev_b16 v38, 8, v38
	v_and_b32_e32 v25, 0xff, v25
	v_or_b32_e32 v35, v35, v40
	v_or_b32_e32 v37, v41, v37
	v_and_b32_e32 v44, 0xff, v44
	v_lshlrev_b16 v36, 8, v46
	v_lshlrev_b16 v39, 8, v39
	v_and_b32_e32 v27, 0xff, v27
	v_sub_nc_u16 v45, v49, v51
	v_sub_nc_u16 v20, v20, v50
	;; [unrolled: 1-line block ×3, first 2 shown]
	v_or_b32_e32 v40, v42, v43
	v_or_b32_e32 v25, v25, v38
	v_and_b32_e32 v35, 0xffff, v35
	v_lshlrev_b32_e32 v37, 16, v37
	v_and_b32_e32 v21, 0xff, v21
	v_or_b32_e32 v36, v44, v36
	v_or_b32_e32 v27, v27, v39
	v_lshlrev_b16 v39, 8, v45
	v_lshlrev_b16 v20, 8, v20
	v_and_b32_e32 v29, 0xff, v29
	v_and_b32_e32 v38, 0xffff, v40
	v_lshlrev_b32_e32 v25, 16, v25
	v_or_b32_e32 v35, v35, v37
	v_subrev_nc_u32_e32 v22, 32, v22
	v_and_b32_e32 v36, 0xffff, v36
	v_lshlrev_b32_e32 v27, 16, v27
	v_or_b32_e32 v21, v21, v39
	v_or_b32_e32 v20, v29, v20
	;; [unrolled: 1-line block ×3, first 2 shown]
	s_wait_loadcnt 0x7
	v_dot4_i32_iu8 v26, v35, v26, 0 neg_lo:[1,1,0]
	v_subrev_nc_u32_e32 v24, 32, v24
	v_or_b32_e32 v27, v36, v27
	v_and_b32_e32 v21, 0xffff, v21
	v_lshlrev_b32_e32 v20, 16, v20
	s_wait_loadcnt 0x6
	v_dot4_i32_iu8 v25, v25, v30, 0 neg_lo:[1,1,0]
	v_mul_lo_u32 v22, v22, v26
	v_subrev_nc_u32_e32 v23, 32, v23
	s_wait_loadcnt 0x5
	v_dot4_i32_iu8 v26, v27, v31, 0 neg_lo:[1,1,0]
	v_or_b32_e32 v20, v21, v20
	v_mul_lo_u32 v21, v24, v25
	v_subrev_nc_u32_e32 v28, 32, v28
	s_delay_alu instid0(VALU_DEP_4)
	v_mul_lo_u32 v23, v23, v26
	v_cvt_f32_i32_e32 v22, v22
	s_wait_loadcnt 0x4
	v_dot4_i32_iu8 v17, v20, v17, 0 neg_lo:[1,1,0]
	v_cvt_f32_i32_e32 v20, v21
	s_wait_loadcnt 0x3
	v_fma_mix_f32 v18, v18, v22, 0 op_sel_hi:[1,0,0]
	s_delay_alu instid0(VALU_DEP_3) | instskip(SKIP_2) | instid1(VALU_DEP_3)
	v_mul_lo_u32 v17, v28, v17
	v_cvt_f32_i32_e32 v21, v23
	s_wait_loadcnt 0x2
	v_fma_mix_f32 v18, v32, v20, v18 op_sel_hi:[1,0,0]
	s_delay_alu instid0(VALU_DEP_3) | instskip(SKIP_1) | instid1(VALU_DEP_2)
	v_cvt_f32_i32_e32 v17, v17
	s_wait_loadcnt 0x1
	v_fma_mix_f32 v18, v33, v21, v18 op_sel_hi:[1,0,0]
	s_wait_loadcnt 0x0
	s_delay_alu instid0(VALU_DEP_1) | instskip(NEXT) | instid1(VALU_DEP_1)
	v_fma_mix_f32 v17, v34, v17, v18 op_sel_hi:[1,0,0]
	v_fma_mix_f32 v5, v17, v19, v5 op_sel_hi:[0,1,0]
	s_and_not1_b32 exec_lo, exec_lo, s3
	s_cbranch_execnz .LBB112_7
; %bb.8:
	s_or_b32 exec_lo, exec_lo, s3
.LBB112_9:
	s_delay_alu instid0(SALU_CYCLE_1)
	s_or_b32 exec_lo, exec_lo, s17
	; wave barrier
	global_inv scope:SCOPE_SE
	s_wait_kmcnt 0x0
	s_mov_b32 s2, exec_lo
	v_cmpx_eq_u32_e32 0, v3
	s_cbranch_execz .LBB112_12
; %bb.10:
	v_mbcnt_lo_u32_b32 v0, -1, 0
	s_delay_alu instid0(VALU_DEP_1) | instskip(SKIP_2) | instid1(VALU_DEP_3)
	v_xor_b32_e32 v1, 16, v0
	v_xor_b32_e32 v3, 8, v0
	;; [unrolled: 1-line block ×3, first 2 shown]
	v_cmp_gt_i32_e32 vcc_lo, 32, v1
	s_wait_alu 0xfffd
	v_cndmask_b32_e32 v1, v0, v1, vcc_lo
	v_cmp_gt_i32_e32 vcc_lo, 32, v3
	s_wait_alu 0xfffd
	v_cndmask_b32_e32 v3, v0, v3, vcc_lo
	v_cmp_gt_i32_e32 vcc_lo, 32, v4
	s_wait_alu 0xfffd
	s_delay_alu instid0(VALU_DEP_2) | instskip(NEXT) | instid1(VALU_DEP_1)
	v_dual_cndmask_b32 v4, v0, v4 :: v_dual_lshlrev_b32 v3, 2, v3
	v_lshlrev_b32_e32 v4, 2, v4
	v_lshlrev_b32_e32 v1, 2, v1
	ds_bpermute_b32 v1, v1, v5
	s_wait_dscnt 0x0
	v_add_f32_e32 v1, v5, v1
	ds_bpermute_b32 v3, v3, v1
	s_wait_dscnt 0x0
	v_add_f32_e32 v1, v1, v3
	ds_bpermute_b32 v3, v4, v1
	v_xor_b32_e32 v4, 2, v0
	s_delay_alu instid0(VALU_DEP_1) | instskip(SKIP_3) | instid1(VALU_DEP_1)
	v_cmp_gt_i32_e32 vcc_lo, 32, v4
	s_wait_alu 0xfffd
	v_cndmask_b32_e32 v4, v0, v4, vcc_lo
	s_wait_dscnt 0x0
	v_dual_add_f32 v1, v1, v3 :: v_dual_lshlrev_b32 v4, 2, v4
	ds_bpermute_b32 v3, v4, v1
	v_xor_b32_e32 v4, 1, v0
	s_delay_alu instid0(VALU_DEP_1) | instskip(SKIP_3) | instid1(VALU_DEP_2)
	v_cmp_gt_i32_e32 vcc_lo, 32, v4
	s_wait_alu 0xfffd
	v_cndmask_b32_e32 v0, v0, v4, vcc_lo
	v_cmp_eq_u32_e32 vcc_lo, 0, v2
	v_lshlrev_b32_e32 v4, 2, v0
	s_wait_dscnt 0x0
	v_add_f32_e32 v0, v1, v3
	ds_bpermute_b32 v1, v4, v0
	s_and_b32 exec_lo, exec_lo, vcc_lo
	s_cbranch_execz .LBB112_12
; %bb.11:
	s_load_b64 s[0:1], s[0:1], 0x38
	s_mul_i32 s2, s6, s15
	s_mul_i32 s3, s14, s16
	s_add_co_i32 s2, s2, ttmp9
	s_wait_dscnt 0x0
	v_dual_add_f32 v0, v0, v1 :: v_dual_mov_b32 v1, 0
	s_add_co_i32 s2, s2, s3
	s_mov_b32 s3, 0
	s_delay_alu instid0(SALU_CYCLE_1)
	s_lshl_b64 s[2:3], s[2:3], 2
	s_wait_kmcnt 0x0
	s_add_nc_u64 s[0:1], s[0:1], s[2:3]
	global_store_b32 v1, v0, s[0:1]
.LBB112_12:
	s_endpgm
.LBB112_13:
                                        ; implicit-def: $sgpr2
	s_clause 0x1
	s_load_b128 s[4:7], s[0:1], 0x68
	s_load_b32 s3, s[0:1], 0x50
	s_branch .LBB112_2
	.section	.rodata,"a",@progbits
	.p2align	6, 0x0
	.amdhsa_kernel _ZL13mul_mat_vec_qIL9ggml_type11ELi1ELb0ELb0EEvPKvS2_PKi31ggml_cuda_mm_fusion_args_devicePfj15HIP_vector_typeIjLj3EEjjjS8_jjjS8_jjjj
		.amdhsa_group_segment_fixed_size 0
		.amdhsa_private_segment_fixed_size 0
		.amdhsa_kernarg_size 144
		.amdhsa_user_sgpr_count 2
		.amdhsa_user_sgpr_dispatch_ptr 0
		.amdhsa_user_sgpr_queue_ptr 0
		.amdhsa_user_sgpr_kernarg_segment_ptr 1
		.amdhsa_user_sgpr_dispatch_id 0
		.amdhsa_user_sgpr_private_segment_size 0
		.amdhsa_wavefront_size32 1
		.amdhsa_uses_dynamic_stack 0
		.amdhsa_enable_private_segment 0
		.amdhsa_system_sgpr_workgroup_id_x 1
		.amdhsa_system_sgpr_workgroup_id_y 1
		.amdhsa_system_sgpr_workgroup_id_z 1
		.amdhsa_system_sgpr_workgroup_info 0
		.amdhsa_system_vgpr_workitem_id 1
		.amdhsa_next_free_vgpr 57
		.amdhsa_next_free_sgpr 22
		.amdhsa_reserve_vcc 1
		.amdhsa_float_round_mode_32 0
		.amdhsa_float_round_mode_16_64 0
		.amdhsa_float_denorm_mode_32 3
		.amdhsa_float_denorm_mode_16_64 3
		.amdhsa_fp16_overflow 0
		.amdhsa_workgroup_processor_mode 1
		.amdhsa_memory_ordered 1
		.amdhsa_forward_progress 1
		.amdhsa_inst_pref_size 17
		.amdhsa_round_robin_scheduling 0
		.amdhsa_exception_fp_ieee_invalid_op 0
		.amdhsa_exception_fp_denorm_src 0
		.amdhsa_exception_fp_ieee_div_zero 0
		.amdhsa_exception_fp_ieee_overflow 0
		.amdhsa_exception_fp_ieee_underflow 0
		.amdhsa_exception_fp_ieee_inexact 0
		.amdhsa_exception_int_div_zero 0
	.end_amdhsa_kernel
	.section	.text._ZL13mul_mat_vec_qIL9ggml_type11ELi1ELb0ELb0EEvPKvS2_PKi31ggml_cuda_mm_fusion_args_devicePfj15HIP_vector_typeIjLj3EEjjjS8_jjjS8_jjjj,"axG",@progbits,_ZL13mul_mat_vec_qIL9ggml_type11ELi1ELb0ELb0EEvPKvS2_PKi31ggml_cuda_mm_fusion_args_devicePfj15HIP_vector_typeIjLj3EEjjjS8_jjjS8_jjjj,comdat
.Lfunc_end112:
	.size	_ZL13mul_mat_vec_qIL9ggml_type11ELi1ELb0ELb0EEvPKvS2_PKi31ggml_cuda_mm_fusion_args_devicePfj15HIP_vector_typeIjLj3EEjjjS8_jjjS8_jjjj, .Lfunc_end112-_ZL13mul_mat_vec_qIL9ggml_type11ELi1ELb0ELb0EEvPKvS2_PKi31ggml_cuda_mm_fusion_args_devicePfj15HIP_vector_typeIjLj3EEjjjS8_jjjS8_jjjj
                                        ; -- End function
	.set _ZL13mul_mat_vec_qIL9ggml_type11ELi1ELb0ELb0EEvPKvS2_PKi31ggml_cuda_mm_fusion_args_devicePfj15HIP_vector_typeIjLj3EEjjjS8_jjjS8_jjjj.num_vgpr, 57
	.set _ZL13mul_mat_vec_qIL9ggml_type11ELi1ELb0ELb0EEvPKvS2_PKi31ggml_cuda_mm_fusion_args_devicePfj15HIP_vector_typeIjLj3EEjjjS8_jjjS8_jjjj.num_agpr, 0
	.set _ZL13mul_mat_vec_qIL9ggml_type11ELi1ELb0ELb0EEvPKvS2_PKi31ggml_cuda_mm_fusion_args_devicePfj15HIP_vector_typeIjLj3EEjjjS8_jjjS8_jjjj.numbered_sgpr, 22
	.set _ZL13mul_mat_vec_qIL9ggml_type11ELi1ELb0ELb0EEvPKvS2_PKi31ggml_cuda_mm_fusion_args_devicePfj15HIP_vector_typeIjLj3EEjjjS8_jjjS8_jjjj.num_named_barrier, 0
	.set _ZL13mul_mat_vec_qIL9ggml_type11ELi1ELb0ELb0EEvPKvS2_PKi31ggml_cuda_mm_fusion_args_devicePfj15HIP_vector_typeIjLj3EEjjjS8_jjjS8_jjjj.private_seg_size, 0
	.set _ZL13mul_mat_vec_qIL9ggml_type11ELi1ELb0ELb0EEvPKvS2_PKi31ggml_cuda_mm_fusion_args_devicePfj15HIP_vector_typeIjLj3EEjjjS8_jjjS8_jjjj.uses_vcc, 1
	.set _ZL13mul_mat_vec_qIL9ggml_type11ELi1ELb0ELb0EEvPKvS2_PKi31ggml_cuda_mm_fusion_args_devicePfj15HIP_vector_typeIjLj3EEjjjS8_jjjS8_jjjj.uses_flat_scratch, 0
	.set _ZL13mul_mat_vec_qIL9ggml_type11ELi1ELb0ELb0EEvPKvS2_PKi31ggml_cuda_mm_fusion_args_devicePfj15HIP_vector_typeIjLj3EEjjjS8_jjjS8_jjjj.has_dyn_sized_stack, 0
	.set _ZL13mul_mat_vec_qIL9ggml_type11ELi1ELb0ELb0EEvPKvS2_PKi31ggml_cuda_mm_fusion_args_devicePfj15HIP_vector_typeIjLj3EEjjjS8_jjjS8_jjjj.has_recursion, 0
	.set _ZL13mul_mat_vec_qIL9ggml_type11ELi1ELb0ELb0EEvPKvS2_PKi31ggml_cuda_mm_fusion_args_devicePfj15HIP_vector_typeIjLj3EEjjjS8_jjjS8_jjjj.has_indirect_call, 0
	.section	.AMDGPU.csdata,"",@progbits
; Kernel info:
; codeLenInByte = 2144
; TotalNumSgprs: 24
; NumVgprs: 57
; ScratchSize: 0
; MemoryBound: 0
; FloatMode: 240
; IeeeMode: 1
; LDSByteSize: 0 bytes/workgroup (compile time only)
; SGPRBlocks: 0
; VGPRBlocks: 7
; NumSGPRsForWavesPerEU: 24
; NumVGPRsForWavesPerEU: 57
; Occupancy: 16
; WaveLimiterHint : 0
; COMPUTE_PGM_RSRC2:SCRATCH_EN: 0
; COMPUTE_PGM_RSRC2:USER_SGPR: 2
; COMPUTE_PGM_RSRC2:TRAP_HANDLER: 0
; COMPUTE_PGM_RSRC2:TGID_X_EN: 1
; COMPUTE_PGM_RSRC2:TGID_Y_EN: 1
; COMPUTE_PGM_RSRC2:TGID_Z_EN: 1
; COMPUTE_PGM_RSRC2:TIDIG_COMP_CNT: 1
	.section	.text._ZL13mul_mat_vec_qIL9ggml_type11ELi2ELb0ELb0EEvPKvS2_PKi31ggml_cuda_mm_fusion_args_devicePfj15HIP_vector_typeIjLj3EEjjjS8_jjjS8_jjjj,"axG",@progbits,_ZL13mul_mat_vec_qIL9ggml_type11ELi2ELb0ELb0EEvPKvS2_PKi31ggml_cuda_mm_fusion_args_devicePfj15HIP_vector_typeIjLj3EEjjjS8_jjjS8_jjjj,comdat
	.globl	_ZL13mul_mat_vec_qIL9ggml_type11ELi2ELb0ELb0EEvPKvS2_PKi31ggml_cuda_mm_fusion_args_devicePfj15HIP_vector_typeIjLj3EEjjjS8_jjjS8_jjjj ; -- Begin function _ZL13mul_mat_vec_qIL9ggml_type11ELi2ELb0ELb0EEvPKvS2_PKi31ggml_cuda_mm_fusion_args_devicePfj15HIP_vector_typeIjLj3EEjjjS8_jjjS8_jjjj
	.p2align	8
	.type	_ZL13mul_mat_vec_qIL9ggml_type11ELi2ELb0ELb0EEvPKvS2_PKi31ggml_cuda_mm_fusion_args_devicePfj15HIP_vector_typeIjLj3EEjjjS8_jjjS8_jjjj,@function
_ZL13mul_mat_vec_qIL9ggml_type11ELi2ELb0ELb0EEvPKvS2_PKi31ggml_cuda_mm_fusion_args_devicePfj15HIP_vector_typeIjLj3EEjjjS8_jjjS8_jjjj: ; @_ZL13mul_mat_vec_qIL9ggml_type11ELi2ELb0ELb0EEvPKvS2_PKi31ggml_cuda_mm_fusion_args_devicePfj15HIP_vector_typeIjLj3EEjjjS8_jjjS8_jjjj
; %bb.0:
	s_clause 0x5
	s_load_b96 s[16:18], s[0:1], 0x80
	s_load_b32 s2, s[0:1], 0x40
	s_load_b128 s[4:7], s[0:1], 0x50
	s_load_b32 s23, s[0:1], 0x60
	s_load_b128 s[8:11], s[0:1], 0x68
	s_load_b32 s24, s[0:1], 0x78
	v_bfe_u32 v5, v0, 10, 10
	v_dual_mov_b32 v7, 0 :: v_dual_and_b32 v4, 0x3ff, v0
	v_mov_b32_e32 v8, 0
	s_and_b32 s19, ttmp7, 0xffff
	s_lshr_b32 s20, ttmp7, 16
	s_delay_alu instid0(VALU_DEP_2) | instskip(SKIP_1) | instid1(VALU_DEP_1)
	v_lshl_or_b32 v0, v5, 5, v4
	s_mov_b32 s22, exec_lo
	v_lshrrev_b32_e32 v6, 4, v0
	s_wait_kmcnt 0x0
	s_lshr_b32 s21, s2, 8
	s_delay_alu instid0(VALU_DEP_1) | instid1(SALU_CYCLE_1)
	v_cmpx_gt_u32_e64 s21, v6
	s_cbranch_execz .LBB113_4
; %bb.1:
	s_load_b128 s[12:15], s[0:1], 0x0
	v_and_b32_e32 v11, 8, v4
	v_bfe_u32 v9, v4, 2, 1
	v_lshl_add_u32 v2, v5, 5, v4
	v_bfe_u32 v13, v4, 3, 1
	s_mul_hi_u32 s7, s7, s19
	v_lshrrev_b32_e32 v0, 1, v4
	v_or_b32_e32 v12, v9, v11
	v_lshrrev_b32_e32 v14, 4, v2
	v_mul_hi_u32_u24_e32 v3, 0x90, v13
	v_mul_u32_u24_e32 v2, 0x90, v13
	s_mul_hi_u32 s11, s11, s20
	s_mul_i32 s2, s17, s20
	s_mov_b32 s3, 0
	s_add_co_i32 s7, s19, s7
	v_dual_mov_b32 v7, 0 :: v_dual_and_b32 v8, 7, v4
	v_lshlrev_b32_e32 v1, 1, v4
	v_or_b32_e32 v15, 6, v12
	v_mad_co_u64_u32 v[2:3], null, 0x120, v14, v[2:3]
	s_add_co_i32 s11, s20, s11
	s_mul_u64 s[26:27], s[2:3], 36
	s_mul_i32 s2, s9, s19
	s_lshr_b32 s7, s7, s23
	v_and_b32_e32 v10, 4, v0
	s_lshr_b32 s11, s11, s24
	s_mul_u64 s[24:25], s[2:3], 36
	s_mul_i32 s2, s7, s8
	s_wait_kmcnt 0x0
	s_add_nc_u64 s[8:9], s[14:15], s[26:27]
	v_lshlrev_b32_e32 v20, 1, v8
	s_add_nc_u64 s[8:9], s[8:9], s[24:25]
	v_or_b32_e32 v13, 4, v12
	v_lshrrev_b32_e32 v16, 1, v15
	v_lshlrev_b32_e32 v17, 2, v8
	v_dual_mov_b32 v8, 0 :: v_dual_lshlrev_b32 v21, 2, v8
	v_and_b32_e32 v19, 30, v1
	v_mad_co_u64_u32 v[0:1], null, v10, 36, s[8:9]
	v_add_co_u32 v2, vcc_lo, s8, v2
	s_mul_i32 s4, s4, ttmp9
	v_lshrrev_b32_e32 v11, 1, v11
	v_and_b32_e32 v12, 5, v13
	v_lshrrev_b32_e32 v13, 1, v13
	v_and_b32_e32 v14, 7, v15
	v_and_b32_e32 v15, 3, v15
	;; [unrolled: 1-line block ×3, first 2 shown]
	v_add_co_ci_u32_e64 v3, null, s9, v3, vcc_lo
	v_lshl_add_u32 v18, v6, 3, s5
	v_lshlrev_b32_e32 v19, 1, v19
	v_lshlrev_b32_e32 v20, 1, v20
	s_mul_i32 s7, s11, s16
	s_add_co_i32 s2, s2, s4
	s_delay_alu instid0(SALU_CYCLE_1)
	s_add_co_i32 s2, s7, s2
.LBB113_2:                              ; =>This Inner Loop Header: Depth=1
	s_delay_alu instid0(SALU_CYCLE_1) | instskip(SKIP_2) | instid1(VALU_DEP_3)
	v_add_nc_u32_e32 v26, s2, v6
	v_mad_co_u64_u32 v[24:25], null, v18, 36, v[0:1]
	v_add_co_u32 v22, vcc_lo, v2, v17
	v_mad_co_i64_i32 v[26:27], null, 0x6e, v26, s[12:13]
	s_wait_alu 0xfffd
	v_add_co_ci_u32_e64 v23, null, 0, v3, vcc_lo
	s_clause 0x4
	global_load_b32 v40, v[2:3], off
	global_load_b32 v41, v[22:23], off offset:4
	global_load_b32 v42, v[22:23], off offset:40
	;; [unrolled: 1-line block ×4, first 2 shown]
	v_add_co_u32 v22, vcc_lo, v24, v21
	s_wait_alu 0xfffd
	v_add_co_ci_u32_e64 v23, null, 0, v25, vcc_lo
	v_add_co_u32 v28, vcc_lo, v26, v19
	s_wait_alu 0xfffd
	v_add_co_ci_u32_e64 v29, null, 0, v27, vcc_lo
	;; [unrolled: 3-line block ×7, first 2 shown]
	s_clause 0x2
	global_load_b32 v45, v[22:23], off offset:4
	global_load_b32 v46, v[22:23], off offset:40
	;; [unrolled: 1-line block ×3, first 2 shown]
	s_clause 0x9
	global_load_u16 v26, v[26:27], off offset:108
	global_load_b32 v27, v[28:29], off offset:32
	global_load_b32 v28, v[30:31], off
	global_load_u8 v29, v[32:33], off offset:96
	global_load_u8 v30, v[32:33], off offset:104
	;; [unrolled: 1-line block ×7, first 2 shown]
	s_clause 0x1
	global_load_b32 v22, v[22:23], off offset:112
	global_load_b32 v23, v[24:25], off
	global_load_b32 v36, v[2:3], off offset:36
	global_load_b32 v37, v[24:25], off offset:36
	;; [unrolled: 1-line block ×6, first 2 shown]
	v_add_nc_u32_e32 v6, 2, v6
	v_add_co_u32 v2, vcc_lo, 0x240, v2
	s_wait_alu 0xfffd
	v_add_co_ci_u32_e64 v3, null, 0, v3, vcc_lo
	s_delay_alu instid0(VALU_DEP_3)
	v_cmp_le_u32_e32 vcc_lo, s21, v6
	v_add_nc_u32_e32 v18, 16, v18
	s_or_b32 s3, vcc_lo, s3
	s_wait_loadcnt 0x10
	v_lshrrev_b32_e32 v52, 4, v27
	s_wait_loadcnt 0xf
	v_ashrrev_i32_e32 v25, v10, v28
	s_wait_loadcnt 0xe
	v_bfe_u32 v28, v29, v11, 4
	s_wait_loadcnt 0xd
	v_lshrrev_b32_e32 v29, v11, v30
	v_lshrrev_b32_e32 v30, v13, v30
	v_and_b32_e32 v49, 0x3030303, v27
	v_not_b32_e32 v25, v25
	s_wait_loadcnt 0xc
	v_lshrrev_b32_e32 v31, v11, v31
	v_lshlrev_b32_e32 v29, 4, v29
	v_lshrrev_b32_e32 v51, 2, v27
	s_wait_loadcnt 0xb
	v_bfe_u32 v34, v34, v11, 4
	s_wait_loadcnt 0x8
	v_lshrrev_b32_e32 v35, v16, v35
	v_lshrrev_b32_e32 v53, 6, v27
	v_and_or_b32 v28, v29, 48, v28
	v_lshlrev_b32_e32 v29, 2, v25
	v_lshlrev_b32_e32 v30, 4, v30
	v_and_b32_e32 v57, 0x3030303, v52
	v_lshlrev_b32_e32 v59, 1, v25
	v_and_b32_e32 v61, 0x4040404, v25
	v_lshrrev_b32_e32 v25, 1, v25
	v_and_b32_e32 v29, 0x4040404, v29
	v_bfe_u32 v50, v27, 24, 2
	v_bfe_u32 v32, v32, v11, 4
	;; [unrolled: 1-line block ×3, first 2 shown]
	v_lshrrev_b32_e32 v54, 16, v49
	v_lshrrev_b16 v55, 8, v49
	v_lshlrev_b32_e32 v31, 4, v31
	v_and_b32_e32 v56, 0x3030303, v51
	v_bfe_u32 v52, v52, 24, 2
	v_lshlrev_b32_e32 v35, 4, v35
	v_and_b32_e32 v53, 0x3030303, v53
	v_and_or_b32 v30, v30, 48, v34
	v_lshrrev_b32_e32 v34, 16, v57
	v_lshrrev_b16 v60, 8, v57
	v_and_b32_e32 v59, 0x4040404, v59
	v_lshrrev_b32_e32 v63, 16, v61
	v_lshrrev_b32_e32 v64, 24, v61
	v_lshrrev_b16 v65, 8, v61
	v_sub_nc_u16 v57, v57, v61
	v_and_b32_e32 v25, 0x4040404, v25
	v_lshrrev_b32_e32 v61, 16, v29
	v_lshrrev_b32_e32 v66, 24, v29
	v_lshrrev_b16 v67, 8, v29
	v_lshrrev_b32_e32 v27, 30, v27
	v_bfe_u32 v51, v51, 24, 2
	v_and_or_b32 v31, v31, 48, v32
	v_lshrrev_b32_e32 v32, 16, v56
	v_lshrrev_b16 v58, 8, v56
	v_and_or_b32 v33, v35, 48, v33
	v_lshrrev_b32_e32 v35, 16, v53
	v_lshrrev_b16 v62, 8, v53
	v_sub_nc_u16 v29, v49, v29
	v_lshrrev_b32_e32 v49, 16, v59
	v_lshrrev_b32_e32 v68, 24, v59
	v_lshrrev_b16 v69, 8, v59
	v_sub_nc_u16 v56, v56, v59
	v_sub_nc_u16 v59, v60, v65
	;; [unrolled: 1-line block ×4, first 2 shown]
	v_lshrrev_b32_e32 v60, 16, v25
	v_lshrrev_b32_e32 v63, 24, v25
	v_lshrrev_b16 v64, 8, v25
	v_sub_nc_u16 v25, v53, v25
	v_sub_nc_u16 v53, v55, v67
	;; [unrolled: 1-line block ×4, first 2 shown]
	v_and_b32_e32 v29, 0xff, v29
	v_and_b32_e32 v55, 0xff, v56
	v_sub_nc_u16 v56, v58, v69
	v_sub_nc_u16 v51, v51, v68
	;; [unrolled: 1-line block ×5, first 2 shown]
	v_lshlrev_b16 v53, 8, v53
	v_lshlrev_b16 v50, 8, v50
	v_and_b32_e32 v54, 0xff, v54
	v_and_b32_e32 v57, 0xff, v57
	v_lshlrev_b16 v49, 8, v59
	v_lshlrev_b16 v52, 8, v52
	v_and_b32_e32 v34, 0xff, v34
	v_sub_nc_u16 v58, v62, v64
	v_lshlrev_b16 v56, 8, v56
	v_lshlrev_b16 v51, 8, v51
	v_and_b32_e32 v32, 0xff, v32
	v_lshlrev_b16 v27, 8, v27
	v_and_b32_e32 v35, 0xff, v35
	v_or_b32_e32 v29, v29, v53
	v_or_b32_e32 v50, v54, v50
	v_and_b32_e32 v25, 0xff, v25
	v_or_b32_e32 v49, v57, v49
	v_or_b32_e32 v34, v34, v52
	v_lshlrev_b16 v52, 8, v58
	v_or_b32_e32 v53, v55, v56
	v_or_b32_e32 v32, v32, v51
	;; [unrolled: 1-line block ×3, first 2 shown]
	v_and_b32_e32 v29, 0xffff, v29
	v_lshlrev_b32_e32 v35, 16, v50
	v_and_b32_e32 v49, 0xffff, v49
	v_lshlrev_b32_e32 v34, 16, v34
	v_or_b32_e32 v25, v25, v52
	v_and_b32_e32 v50, 0xffff, v53
	v_lshlrev_b32_e32 v32, 16, v32
	v_or_b32_e32 v29, v29, v35
	v_subrev_nc_u32_e32 v28, 32, v28
	v_and_b32_e32 v25, 0xffff, v25
	v_lshlrev_b32_e32 v27, 16, v27
	v_or_b32_e32 v34, v49, v34
	v_or_b32_e32 v32, v50, v32
	v_dot4_i32_iu8 v35, v29, v41, 0 neg_lo:[1,1,0]
	v_dot4_i32_iu8 v29, v29, v45, 0 neg_lo:[1,1,0]
	v_subrev_nc_u32_e32 v31, 32, v31
	v_subrev_nc_u32_e32 v30, 32, v30
	v_or_b32_e32 v25, v25, v27
	v_dot4_i32_iu8 v27, v34, v43, 0 neg_lo:[1,1,0]
	v_dot4_i32_iu8 v34, v34, v47, 0 neg_lo:[1,1,0]
	;; [unrolled: 1-line block ×4, first 2 shown]
	v_mul_lo_u32 v29, v28, v29
	v_mul_lo_u32 v28, v28, v35
	v_dot4_i32_iu8 v42, v25, v44, 0 neg_lo:[1,1,0]
	s_wait_loadcnt 0x7
	v_dot4_i32_iu8 v22, v25, v22, 0 neg_lo:[1,1,0]
	v_mul_lo_u32 v25, v30, v27
	v_mul_lo_u32 v27, v30, v34
	;; [unrolled: 1-line block ×4, first 2 shown]
	v_cvt_f32_i32_e32 v29, v29
	v_cvt_f32_i32_e32 v28, v28
	v_subrev_nc_u32_e32 v33, 32, v33
	v_cvt_f32_i32_e32 v25, v25
	s_wait_loadcnt 0x6
	v_fma_mix_f32 v23, v23, v29, 0 op_sel_hi:[1,0,0]
	v_cvt_f32_i32_e32 v30, v30
	v_cvt_f32_i32_e32 v31, v31
	v_fma_mix_f32 v28, v40, v28, 0 op_sel_hi:[1,0,0]
	v_mul_lo_u32 v22, v33, v22
	v_mul_lo_u32 v32, v33, v42
	v_cvt_f32_i32_e32 v27, v27
	s_wait_loadcnt 0x4
	v_fma_mix_f32 v23, v37, v31, v23 op_sel_hi:[1,0,0]
	v_fma_mix_f32 v28, v36, v30, v28 op_sel_hi:[1,0,0]
	v_cvt_f32_i32_e32 v22, v22
	v_cvt_f32_i32_e32 v29, v32
	s_wait_loadcnt 0x2
	v_fma_mix_f32 v23, v39, v27, v23 op_sel_hi:[1,0,0]
	v_fma_mix_f32 v25, v38, v25, v28 op_sel_hi:[1,0,0]
	s_wait_loadcnt 0x0
	s_delay_alu instid0(VALU_DEP_2) | instskip(NEXT) | instid1(VALU_DEP_2)
	v_fma_mix_f32 v22, v24, v22, v23 op_sel_hi:[1,0,0]
	v_fma_mix_f32 v23, v48, v29, v25 op_sel_hi:[1,0,0]
	s_delay_alu instid0(VALU_DEP_2) | instskip(NEXT) | instid1(VALU_DEP_2)
	v_fma_mix_f32 v8, v22, v26, v8 op_sel_hi:[0,1,0]
	v_fma_mix_f32 v7, v23, v26, v7 op_sel_hi:[0,1,0]
	s_wait_alu 0xfffe
	s_and_not1_b32 exec_lo, exec_lo, s3
	s_cbranch_execnz .LBB113_2
; %bb.3:
	s_or_b32 exec_lo, exec_lo, s3
.LBB113_4:
	s_delay_alu instid0(SALU_CYCLE_1)
	s_or_b32 exec_lo, exec_lo, s22
	s_mov_b32 s3, 0
	; wave barrier
	global_inv scope:SCOPE_SE
	s_mov_b32 s2, exec_lo
	v_cmpx_eq_u32_e32 0, v5
	s_cbranch_execz .LBB113_9
; %bb.5:
	v_mbcnt_lo_u32_b32 v5, -1, 0
	s_load_b64 s[0:1], s[0:1], 0x38
	s_mul_i32 s2, s10, s19
	s_mul_i32 s4, s18, s20
	s_wait_alu 0xfffe
	s_add_co_i32 s2, s2, ttmp9
	v_xor_b32_e32 v0, 16, v5
	v_xor_b32_e32 v1, 8, v5
	v_xor_b32_e32 v9, 1, v5
	s_wait_alu 0xfffe
	s_add_co_i32 s2, s2, s4
	s_wait_alu 0xfffe
	s_lshl_b64 s[2:3], s[2:3], 2
	v_cmp_gt_i32_e32 vcc_lo, 32, v0
	s_wait_alu 0xfffd
	v_cndmask_b32_e32 v0, v5, v0, vcc_lo
	v_cmp_gt_i32_e32 vcc_lo, 32, v1
	s_wait_kmcnt 0x0
	s_wait_alu 0xfffe
	s_add_nc_u64 s[0:1], s[0:1], s[2:3]
	s_wait_alu 0xfffd
	v_cndmask_b32_e32 v1, v5, v1, vcc_lo
	s_delay_alu instid0(VALU_DEP_1)
	v_lshlrev_b32_e32 v1, 2, v1
	v_lshlrev_b32_e32 v0, 2, v0
	ds_bpermute_b32 v2, v0, v7
	s_wait_dscnt 0x0
	v_add_f32_e32 v3, v7, v2
	v_xor_b32_e32 v2, 4, v5
	ds_bpermute_b32 v6, v1, v3
	v_cmp_gt_i32_e32 vcc_lo, 32, v2
	s_wait_alu 0xfffd
	v_cndmask_b32_e32 v2, v5, v2, vcc_lo
	s_wait_dscnt 0x0
	v_add_f32_e32 v6, v3, v6
	v_xor_b32_e32 v3, 2, v5
	s_delay_alu instid0(VALU_DEP_1) | instskip(SKIP_3) | instid1(VALU_DEP_2)
	v_cmp_gt_i32_e32 vcc_lo, 32, v3
	s_wait_alu 0xfffd
	v_cndmask_b32_e32 v3, v5, v3, vcc_lo
	v_cmp_gt_i32_e32 vcc_lo, 32, v9
	v_lshlrev_b32_e32 v3, 2, v3
	s_wait_alu 0xfffd
	v_dual_cndmask_b32 v5, v5, v9 :: v_dual_lshlrev_b32 v2, 2, v2
	v_cmp_eq_u32_e32 vcc_lo, 0, v4
	ds_bpermute_b32 v7, v2, v6
	s_wait_dscnt 0x0
	v_add_f32_e32 v6, v6, v7
	ds_bpermute_b32 v7, v3, v6
	s_wait_dscnt 0x0
	v_dual_add_f32 v6, v6, v7 :: v_dual_lshlrev_b32 v5, 2, v5
	ds_bpermute_b32 v7, v5, v6
	s_and_saveexec_b32 s2, vcc_lo
	s_cbranch_execz .LBB113_7
; %bb.6:
	s_wait_dscnt 0x0
	v_add_f32_e32 v4, v6, v7
	v_mov_b32_e32 v6, 0
	global_store_b32 v6, v4, s[0:1]
.LBB113_7:
	s_wait_alu 0xfffe
	s_or_b32 exec_lo, exec_lo, s2
	ds_bpermute_b32 v0, v0, v8
	s_wait_dscnt 0x0
	v_add_f32_e32 v0, v8, v0
	ds_bpermute_b32 v1, v1, v0
	s_wait_dscnt 0x0
	v_add_f32_e32 v0, v0, v1
	;; [unrolled: 3-line block ×4, first 2 shown]
	ds_bpermute_b32 v1, v5, v0
	s_and_b32 exec_lo, exec_lo, vcc_lo
	s_cbranch_execz .LBB113_9
; %bb.8:
	s_mov_b32 s7, 0
	s_wait_dscnt 0x0
	v_dual_add_f32 v0, v0, v1 :: v_dual_mov_b32 v1, 0
	s_lshl_b64 s[2:3], s[6:7], 2
	s_wait_alu 0xfffe
	s_add_nc_u64 s[0:1], s[0:1], s[2:3]
	global_store_b32 v1, v0, s[0:1]
.LBB113_9:
	s_endpgm
	.section	.rodata,"a",@progbits
	.p2align	6, 0x0
	.amdhsa_kernel _ZL13mul_mat_vec_qIL9ggml_type11ELi2ELb0ELb0EEvPKvS2_PKi31ggml_cuda_mm_fusion_args_devicePfj15HIP_vector_typeIjLj3EEjjjS8_jjjS8_jjjj
		.amdhsa_group_segment_fixed_size 0
		.amdhsa_private_segment_fixed_size 0
		.amdhsa_kernarg_size 144
		.amdhsa_user_sgpr_count 2
		.amdhsa_user_sgpr_dispatch_ptr 0
		.amdhsa_user_sgpr_queue_ptr 0
		.amdhsa_user_sgpr_kernarg_segment_ptr 1
		.amdhsa_user_sgpr_dispatch_id 0
		.amdhsa_user_sgpr_private_segment_size 0
		.amdhsa_wavefront_size32 1
		.amdhsa_uses_dynamic_stack 0
		.amdhsa_enable_private_segment 0
		.amdhsa_system_sgpr_workgroup_id_x 1
		.amdhsa_system_sgpr_workgroup_id_y 1
		.amdhsa_system_sgpr_workgroup_id_z 1
		.amdhsa_system_sgpr_workgroup_info 0
		.amdhsa_system_vgpr_workitem_id 1
		.amdhsa_next_free_vgpr 70
		.amdhsa_next_free_sgpr 28
		.amdhsa_reserve_vcc 1
		.amdhsa_float_round_mode_32 0
		.amdhsa_float_round_mode_16_64 0
		.amdhsa_float_denorm_mode_32 3
		.amdhsa_float_denorm_mode_16_64 3
		.amdhsa_fp16_overflow 0
		.amdhsa_workgroup_processor_mode 1
		.amdhsa_memory_ordered 1
		.amdhsa_forward_progress 1
		.amdhsa_inst_pref_size 19
		.amdhsa_round_robin_scheduling 0
		.amdhsa_exception_fp_ieee_invalid_op 0
		.amdhsa_exception_fp_denorm_src 0
		.amdhsa_exception_fp_ieee_div_zero 0
		.amdhsa_exception_fp_ieee_overflow 0
		.amdhsa_exception_fp_ieee_underflow 0
		.amdhsa_exception_fp_ieee_inexact 0
		.amdhsa_exception_int_div_zero 0
	.end_amdhsa_kernel
	.section	.text._ZL13mul_mat_vec_qIL9ggml_type11ELi2ELb0ELb0EEvPKvS2_PKi31ggml_cuda_mm_fusion_args_devicePfj15HIP_vector_typeIjLj3EEjjjS8_jjjS8_jjjj,"axG",@progbits,_ZL13mul_mat_vec_qIL9ggml_type11ELi2ELb0ELb0EEvPKvS2_PKi31ggml_cuda_mm_fusion_args_devicePfj15HIP_vector_typeIjLj3EEjjjS8_jjjS8_jjjj,comdat
.Lfunc_end113:
	.size	_ZL13mul_mat_vec_qIL9ggml_type11ELi2ELb0ELb0EEvPKvS2_PKi31ggml_cuda_mm_fusion_args_devicePfj15HIP_vector_typeIjLj3EEjjjS8_jjjS8_jjjj, .Lfunc_end113-_ZL13mul_mat_vec_qIL9ggml_type11ELi2ELb0ELb0EEvPKvS2_PKi31ggml_cuda_mm_fusion_args_devicePfj15HIP_vector_typeIjLj3EEjjjS8_jjjS8_jjjj
                                        ; -- End function
	.set _ZL13mul_mat_vec_qIL9ggml_type11ELi2ELb0ELb0EEvPKvS2_PKi31ggml_cuda_mm_fusion_args_devicePfj15HIP_vector_typeIjLj3EEjjjS8_jjjS8_jjjj.num_vgpr, 70
	.set _ZL13mul_mat_vec_qIL9ggml_type11ELi2ELb0ELb0EEvPKvS2_PKi31ggml_cuda_mm_fusion_args_devicePfj15HIP_vector_typeIjLj3EEjjjS8_jjjS8_jjjj.num_agpr, 0
	.set _ZL13mul_mat_vec_qIL9ggml_type11ELi2ELb0ELb0EEvPKvS2_PKi31ggml_cuda_mm_fusion_args_devicePfj15HIP_vector_typeIjLj3EEjjjS8_jjjS8_jjjj.numbered_sgpr, 28
	.set _ZL13mul_mat_vec_qIL9ggml_type11ELi2ELb0ELb0EEvPKvS2_PKi31ggml_cuda_mm_fusion_args_devicePfj15HIP_vector_typeIjLj3EEjjjS8_jjjS8_jjjj.num_named_barrier, 0
	.set _ZL13mul_mat_vec_qIL9ggml_type11ELi2ELb0ELb0EEvPKvS2_PKi31ggml_cuda_mm_fusion_args_devicePfj15HIP_vector_typeIjLj3EEjjjS8_jjjS8_jjjj.private_seg_size, 0
	.set _ZL13mul_mat_vec_qIL9ggml_type11ELi2ELb0ELb0EEvPKvS2_PKi31ggml_cuda_mm_fusion_args_devicePfj15HIP_vector_typeIjLj3EEjjjS8_jjjS8_jjjj.uses_vcc, 1
	.set _ZL13mul_mat_vec_qIL9ggml_type11ELi2ELb0ELb0EEvPKvS2_PKi31ggml_cuda_mm_fusion_args_devicePfj15HIP_vector_typeIjLj3EEjjjS8_jjjS8_jjjj.uses_flat_scratch, 0
	.set _ZL13mul_mat_vec_qIL9ggml_type11ELi2ELb0ELb0EEvPKvS2_PKi31ggml_cuda_mm_fusion_args_devicePfj15HIP_vector_typeIjLj3EEjjjS8_jjjS8_jjjj.has_dyn_sized_stack, 0
	.set _ZL13mul_mat_vec_qIL9ggml_type11ELi2ELb0ELb0EEvPKvS2_PKi31ggml_cuda_mm_fusion_args_devicePfj15HIP_vector_typeIjLj3EEjjjS8_jjjS8_jjjj.has_recursion, 0
	.set _ZL13mul_mat_vec_qIL9ggml_type11ELi2ELb0ELb0EEvPKvS2_PKi31ggml_cuda_mm_fusion_args_devicePfj15HIP_vector_typeIjLj3EEjjjS8_jjjS8_jjjj.has_indirect_call, 0
	.section	.AMDGPU.csdata,"",@progbits
; Kernel info:
; codeLenInByte = 2416
; TotalNumSgprs: 30
; NumVgprs: 70
; ScratchSize: 0
; MemoryBound: 0
; FloatMode: 240
; IeeeMode: 1
; LDSByteSize: 0 bytes/workgroup (compile time only)
; SGPRBlocks: 0
; VGPRBlocks: 8
; NumSGPRsForWavesPerEU: 30
; NumVGPRsForWavesPerEU: 70
; Occupancy: 16
; WaveLimiterHint : 0
; COMPUTE_PGM_RSRC2:SCRATCH_EN: 0
; COMPUTE_PGM_RSRC2:USER_SGPR: 2
; COMPUTE_PGM_RSRC2:TRAP_HANDLER: 0
; COMPUTE_PGM_RSRC2:TGID_X_EN: 1
; COMPUTE_PGM_RSRC2:TGID_Y_EN: 1
; COMPUTE_PGM_RSRC2:TGID_Z_EN: 1
; COMPUTE_PGM_RSRC2:TIDIG_COMP_CNT: 1
	.section	.text._ZL13mul_mat_vec_qIL9ggml_type11ELi3ELb0ELb0EEvPKvS2_PKi31ggml_cuda_mm_fusion_args_devicePfj15HIP_vector_typeIjLj3EEjjjS8_jjjS8_jjjj,"axG",@progbits,_ZL13mul_mat_vec_qIL9ggml_type11ELi3ELb0ELb0EEvPKvS2_PKi31ggml_cuda_mm_fusion_args_devicePfj15HIP_vector_typeIjLj3EEjjjS8_jjjS8_jjjj,comdat
	.globl	_ZL13mul_mat_vec_qIL9ggml_type11ELi3ELb0ELb0EEvPKvS2_PKi31ggml_cuda_mm_fusion_args_devicePfj15HIP_vector_typeIjLj3EEjjjS8_jjjS8_jjjj ; -- Begin function _ZL13mul_mat_vec_qIL9ggml_type11ELi3ELb0ELb0EEvPKvS2_PKi31ggml_cuda_mm_fusion_args_devicePfj15HIP_vector_typeIjLj3EEjjjS8_jjjS8_jjjj
	.p2align	8
	.type	_ZL13mul_mat_vec_qIL9ggml_type11ELi3ELb0ELb0EEvPKvS2_PKi31ggml_cuda_mm_fusion_args_devicePfj15HIP_vector_typeIjLj3EEjjjS8_jjjS8_jjjj,@function
_ZL13mul_mat_vec_qIL9ggml_type11ELi3ELb0ELb0EEvPKvS2_PKi31ggml_cuda_mm_fusion_args_devicePfj15HIP_vector_typeIjLj3EEjjjS8_jjjS8_jjjj: ; @_ZL13mul_mat_vec_qIL9ggml_type11ELi3ELb0ELb0EEvPKvS2_PKi31ggml_cuda_mm_fusion_args_devicePfj15HIP_vector_typeIjLj3EEjjjS8_jjjS8_jjjj
; %bb.0:
	s_clause 0x5
	s_load_b96 s[16:18], s[0:1], 0x80
	s_load_b32 s2, s[0:1], 0x40
	s_load_b128 s[4:7], s[0:1], 0x50
	s_load_b32 s23, s[0:1], 0x60
	s_load_b128 s[8:11], s[0:1], 0x68
	s_load_b32 s24, s[0:1], 0x78
	v_bfe_u32 v5, v0, 10, 10
	v_dual_mov_b32 v9, 0 :: v_dual_and_b32 v4, 0x3ff, v0
	v_dual_mov_b32 v6, 0 :: v_dual_mov_b32 v7, 0
	s_and_b32 s19, ttmp7, 0xffff
	s_delay_alu instid0(VALU_DEP_2) | instskip(SKIP_2) | instid1(VALU_DEP_1)
	v_lshl_or_b32 v0, v5, 5, v4
	s_lshr_b32 s20, ttmp7, 16
	s_mov_b32 s21, exec_lo
	v_lshrrev_b32_e32 v8, 4, v0
	s_wait_kmcnt 0x0
	s_lshr_b32 s22, s2, 8
	s_delay_alu instid0(VALU_DEP_1) | instid1(SALU_CYCLE_1)
	v_cmpx_gt_u32_e64 s22, v8
	s_cbranch_execz .LBB114_4
; %bb.1:
	s_load_b128 s[12:15], s[0:1], 0x0
	v_and_b32_e32 v9, 8, v4
	v_bfe_u32 v10, v4, 2, 1
	v_lshl_add_u32 v3, v5, 5, v4
	v_bfe_u32 v12, v4, 3, 1
	s_mul_hi_u32 s7, s7, s19
	v_lshrrev_b32_e32 v0, 1, v4
	v_or_b32_e32 v2, v10, v9
	v_lshrrev_b32_e32 v15, 4, v3
	v_mul_hi_u32_u24_e32 v3, 0x90, v12
	s_mul_hi_u32 s11, s11, s20
	s_mul_i32 s2, s17, s20
	v_or_b32_e32 v14, 4, v2
	v_or_b32_e32 v16, 6, v2
	v_mul_u32_u24_e32 v2, 0x90, v12
	s_mov_b32 s3, 0
	s_add_co_i32 s7, s19, s7
	v_dual_mov_b32 v7, 0 :: v_dual_and_b32 v6, 7, v4
	v_lshlrev_b32_e32 v1, 1, v4
	v_lshrrev_b32_e32 v12, 1, v9
	v_lshrrev_b32_e32 v9, 1, v16
	v_mad_co_u64_u32 v[2:3], null, 0x120, v15, v[2:3]
	s_add_co_i32 s11, s20, s11
	s_mul_u64 s[26:27], s[2:3], 36
	s_mul_i32 s2, s9, s19
	s_lshr_b32 s7, s7, s23
	v_and_b32_e32 v11, 4, v0
	s_lshr_b32 s11, s11, s24
	s_mul_u64 s[24:25], s[2:3], 36
	s_mul_i32 s2, s7, s8
	s_wait_kmcnt 0x0
	s_add_nc_u64 s[8:9], s[14:15], s[26:27]
	v_lshlrev_b32_e32 v22, 1, v6
	s_add_nc_u64 s[8:9], s[8:9], s[24:25]
	v_and_b32_e32 v17, 6, v9
	v_lshlrev_b32_e32 v18, 2, v6
	v_lshlrev_b32_e32 v9, 3, v8
	v_dual_mov_b32 v6, 0 :: v_dual_lshlrev_b32 v23, 2, v6
	v_and_b32_e32 v21, 30, v1
	v_mad_co_u64_u32 v[0:1], null, v11, 36, s[8:9]
	v_add_co_u32 v2, vcc_lo, s8, v2
	s_mul_i32 s4, s4, ttmp9
	v_and_b32_e32 v13, 5, v14
	v_lshrrev_b32_e32 v14, 1, v14
	v_and_b32_e32 v15, 7, v16
	v_and_b32_e32 v16, 3, v16
	v_add_co_ci_u32_e64 v3, null, s9, v3, vcc_lo
	v_add_nc_u32_e32 v19, s5, v9
	v_lshl_add_u32 v20, s5, 1, v9
	v_lshlrev_b32_e32 v21, 1, v21
	v_dual_mov_b32 v9, 0 :: v_dual_lshlrev_b32 v22, 1, v22
	s_mul_i32 s7, s11, s16
	s_add_co_i32 s2, s2, s4
	s_delay_alu instid0(SALU_CYCLE_1)
	s_add_co_i32 s2, s7, s2
.LBB114_2:                              ; =>This Inner Loop Header: Depth=1
	s_delay_alu instid0(SALU_CYCLE_1)
	v_add_nc_u32_e32 v30, s2, v8
	v_mad_co_u64_u32 v[26:27], null, v19, 36, v[0:1]
	v_add_co_u32 v24, vcc_lo, v2, v18
	v_mad_co_u64_u32 v[28:29], null, v20, 36, v[0:1]
	s_wait_alu 0xfffd
	v_add_co_ci_u32_e64 v25, null, 0, v3, vcc_lo
	v_mad_co_i64_i32 v[30:31], null, 0x6e, v30, s[12:13]
	s_clause 0x4
	global_load_b32 v46, v[2:3], off
	global_load_b32 v47, v[24:25], off offset:4
	global_load_b32 v48, v[24:25], off offset:40
	;; [unrolled: 1-line block ×4, first 2 shown]
	v_add_co_u32 v24, vcc_lo, v26, v23
	s_wait_alu 0xfffd
	v_add_co_ci_u32_e64 v25, null, 0, v27, vcc_lo
	v_add_co_u32 v32, vcc_lo, v28, v23
	s_wait_alu 0xfffd
	v_add_co_ci_u32_e64 v33, null, 0, v29, vcc_lo
	v_add_co_u32 v34, vcc_lo, v30, v21
	s_wait_alu 0xfffd
	v_add_co_ci_u32_e64 v35, null, 0, v31, vcc_lo
	v_add_co_u32 v36, vcc_lo, v30, v22
	s_wait_alu 0xfffd
	v_add_co_ci_u32_e64 v37, null, 0, v31, vcc_lo
	v_add_co_u32 v38, vcc_lo, v30, v10
	s_wait_alu 0xfffd
	v_add_co_ci_u32_e64 v39, null, 0, v31, vcc_lo
	v_add_co_u32 v40, vcc_lo, v30, v13
	s_wait_alu 0xfffd
	v_add_co_ci_u32_e64 v41, null, 0, v31, vcc_lo
	v_add_co_u32 v42, vcc_lo, v30, v15
	s_wait_alu 0xfffd
	v_add_co_ci_u32_e64 v43, null, 0, v31, vcc_lo
	v_add_co_u32 v44, vcc_lo, v30, v16
	s_wait_alu 0xfffd
	v_add_co_ci_u32_e64 v45, null, 0, v31, vcc_lo
	s_clause 0x6
	global_load_b32 v51, v[24:25], off offset:4
	global_load_b32 v52, v[24:25], off offset:40
	;; [unrolled: 1-line block ×7, first 2 shown]
	s_clause 0x9
	global_load_u16 v30, v[30:31], off offset:108
	global_load_b32 v31, v[34:35], off offset:32
	global_load_b32 v34, v[36:37], off
	global_load_u8 v35, v[38:39], off offset:96
	global_load_u8 v36, v[38:39], off offset:104
	;; [unrolled: 1-line block ×7, first 2 shown]
	s_clause 0x2
	global_load_b32 v32, v[32:33], off offset:112
	global_load_b32 v33, v[26:27], off
	global_load_b32 v42, v[28:29], off
	global_load_b32 v43, v[2:3], off offset:36
	s_clause 0x1
	global_load_b32 v44, v[26:27], off offset:36
	global_load_b32 v45, v[28:29], off offset:36
	global_load_b32 v56, v[2:3], off offset:72
	s_clause 0x1
	global_load_b32 v57, v[26:27], off offset:72
	global_load_b32 v58, v[28:29], off offset:72
	;; [unrolled: 4-line block ×3, first 2 shown]
	v_add_nc_u32_e32 v8, 2, v8
	v_add_co_u32 v2, vcc_lo, 0x240, v2
	s_wait_alu 0xfffd
	v_add_co_ci_u32_e64 v3, null, 0, v3, vcc_lo
	s_delay_alu instid0(VALU_DEP_3)
	v_cmp_le_u32_e32 vcc_lo, s22, v8
	v_add_nc_u32_e32 v19, 16, v19
	v_add_nc_u32_e32 v20, 16, v20
	s_or_b32 s3, vcc_lo, s3
	s_wait_loadcnt 0x14
	v_lshrrev_b32_e32 v62, 4, v31
	s_wait_loadcnt 0x13
	v_ashrrev_i32_e32 v28, v11, v34
	s_wait_loadcnt 0x12
	v_bfe_u32 v29, v35, v12, 4
	s_wait_loadcnt 0x11
	v_lshrrev_b32_e32 v34, v12, v36
	v_lshrrev_b32_e32 v36, v14, v36
	v_and_b32_e32 v35, 0x3030303, v31
	v_not_b32_e32 v28, v28
	s_wait_loadcnt 0x10
	v_lshrrev_b32_e32 v37, v12, v37
	v_lshlrev_b32_e32 v34, 4, v34
	v_lshrrev_b32_e32 v61, 2, v31
	s_wait_loadcnt 0xf
	v_bfe_u32 v40, v40, v12, 4
	s_wait_loadcnt 0xc
	v_lshrrev_b32_e32 v41, v17, v41
	v_lshrrev_b32_e32 v63, 6, v31
	v_and_or_b32 v29, v34, 48, v29
	v_lshlrev_b32_e32 v34, 2, v28
	v_lshlrev_b32_e32 v36, 4, v36
	v_and_b32_e32 v67, 0x3030303, v62
	v_lshlrev_b32_e32 v69, 1, v28
	v_and_b32_e32 v71, 0x4040404, v28
	v_lshrrev_b32_e32 v28, 1, v28
	v_and_b32_e32 v34, 0x4040404, v34
	v_bfe_u32 v60, v31, 24, 2
	v_bfe_u32 v38, v38, v12, 4
	;; [unrolled: 1-line block ×3, first 2 shown]
	v_lshrrev_b32_e32 v64, 16, v35
	v_lshrrev_b16 v65, 8, v35
	v_lshlrev_b32_e32 v37, 4, v37
	v_and_b32_e32 v66, 0x3030303, v61
	v_bfe_u32 v62, v62, 24, 2
	v_lshlrev_b32_e32 v41, 4, v41
	v_and_b32_e32 v63, 0x3030303, v63
	v_and_or_b32 v36, v36, 48, v40
	v_lshrrev_b32_e32 v40, 16, v67
	v_lshrrev_b16 v70, 8, v67
	v_and_b32_e32 v69, 0x4040404, v69
	v_lshrrev_b32_e32 v73, 16, v71
	v_lshrrev_b32_e32 v74, 24, v71
	v_lshrrev_b16 v75, 8, v71
	v_sub_nc_u16 v67, v67, v71
	v_and_b32_e32 v28, 0x4040404, v28
	v_lshrrev_b32_e32 v71, 16, v34
	v_lshrrev_b32_e32 v76, 24, v34
	v_lshrrev_b16 v77, 8, v34
	v_lshrrev_b32_e32 v31, 30, v31
	v_bfe_u32 v61, v61, 24, 2
	v_and_or_b32 v37, v37, 48, v38
	v_lshrrev_b32_e32 v38, 16, v66
	v_lshrrev_b16 v68, 8, v66
	v_and_or_b32 v39, v41, 48, v39
	v_lshrrev_b32_e32 v41, 16, v63
	v_lshrrev_b16 v72, 8, v63
	v_sub_nc_u16 v34, v35, v34
	v_lshrrev_b32_e32 v35, 16, v69
	v_lshrrev_b32_e32 v78, 24, v69
	v_lshrrev_b16 v79, 8, v69
	v_sub_nc_u16 v66, v66, v69
	v_sub_nc_u16 v69, v70, v75
	;; [unrolled: 1-line block ×4, first 2 shown]
	v_lshrrev_b32_e32 v70, 16, v28
	v_lshrrev_b32_e32 v73, 24, v28
	v_lshrrev_b16 v74, 8, v28
	v_sub_nc_u16 v28, v63, v28
	v_sub_nc_u16 v63, v65, v77
	;; [unrolled: 1-line block ×4, first 2 shown]
	v_and_b32_e32 v67, 0xff, v67
	v_and_b32_e32 v34, 0xff, v34
	;; [unrolled: 1-line block ×3, first 2 shown]
	v_sub_nc_u16 v66, v68, v79
	v_sub_nc_u16 v61, v61, v78
	;; [unrolled: 1-line block ×3, first 2 shown]
	v_lshlrev_b16 v38, 8, v69
	v_lshlrev_b16 v62, 8, v62
	v_and_b32_e32 v40, 0xff, v40
	v_sub_nc_u16 v68, v72, v74
	v_sub_nc_u16 v31, v31, v73
	;; [unrolled: 1-line block ×3, first 2 shown]
	v_lshlrev_b16 v63, 8, v63
	v_lshlrev_b16 v60, 8, v60
	v_and_b32_e32 v64, 0xff, v64
	v_and_b32_e32 v28, 0xff, v28
	v_lshlrev_b16 v66, 8, v66
	v_lshlrev_b16 v61, 8, v61
	v_and_b32_e32 v35, 0xff, v35
	v_or_b32_e32 v38, v67, v38
	v_or_b32_e32 v40, v40, v62
	v_lshlrev_b16 v62, 8, v68
	v_lshlrev_b16 v31, 8, v31
	v_and_b32_e32 v41, 0xff, v41
	v_or_b32_e32 v34, v34, v63
	v_or_b32_e32 v60, v64, v60
	;; [unrolled: 1-line block ×4, first 2 shown]
	v_and_b32_e32 v38, 0xffff, v38
	v_lshlrev_b32_e32 v40, 16, v40
	v_or_b32_e32 v28, v28, v62
	v_or_b32_e32 v31, v41, v31
	v_and_b32_e32 v34, 0xffff, v34
	v_lshlrev_b32_e32 v41, 16, v60
	v_and_b32_e32 v60, 0xffff, v63
	v_lshlrev_b32_e32 v35, 16, v35
	v_and_b32_e32 v28, 0xffff, v28
	v_lshlrev_b32_e32 v31, 16, v31
	v_or_b32_e32 v38, v38, v40
	v_or_b32_e32 v34, v34, v41
	v_subrev_nc_u32_e32 v29, 32, v29
	v_subrev_nc_u32_e32 v36, 32, v36
	v_or_b32_e32 v35, v60, v35
	v_or_b32_e32 v28, v28, v31
	v_dot4_i32_iu8 v31, v38, v49, 0 neg_lo:[1,1,0]
	v_dot4_i32_iu8 v40, v38, v53, 0 neg_lo:[1,1,0]
	;; [unrolled: 1-line block ×6, first 2 shown]
	v_subrev_nc_u32_e32 v37, 32, v37
	v_dot4_i32_iu8 v47, v35, v48, 0 neg_lo:[1,1,0]
	v_mul_lo_u32 v31, v36, v31
	v_dot4_i32_iu8 v48, v28, v50, 0 neg_lo:[1,1,0]
	v_dot4_i32_iu8 v50, v35, v52, 0 neg_lo:[1,1,0]
	;; [unrolled: 1-line block ×4, first 2 shown]
	s_wait_loadcnt 0xb
	v_dot4_i32_iu8 v28, v28, v32, 0 neg_lo:[1,1,0]
	v_mul_lo_u32 v32, v36, v40
	v_mul_lo_u32 v35, v36, v38
	;; [unrolled: 1-line block ×5, first 2 shown]
	v_subrev_nc_u32_e32 v39, 32, v39
	v_mul_lo_u32 v38, v37, v47
	v_mul_lo_u32 v29, v37, v34
	;; [unrolled: 1-line block ×3, first 2 shown]
	v_cvt_f32_i32_e32 v31, v31
	v_mul_lo_u32 v40, v39, v48
	v_mul_lo_u32 v28, v39, v28
	;; [unrolled: 1-line block ×3, first 2 shown]
	v_cvt_f32_i32_e32 v36, v36
	v_cvt_f32_i32_e32 v39, v41
	v_cvt_f32_i32_e32 v25, v25
	v_cvt_f32_i32_e32 v37, v38
	v_cvt_f32_i32_e32 v34, v34
	v_cvt_f32_i32_e32 v29, v29
	v_fma_mix_f32 v36, v46, v36, 0 op_sel_hi:[1,0,0]
	s_wait_loadcnt 0xa
	v_fma_mix_f32 v33, v33, v39, 0 op_sel_hi:[1,0,0]
	s_wait_loadcnt 0x9
	v_fma_mix_f32 v25, v42, v25, 0 op_sel_hi:[1,0,0]
	v_cvt_f32_i32_e32 v35, v35
	v_cvt_f32_i32_e32 v32, v32
	s_wait_loadcnt 0x8
	v_fma_mix_f32 v36, v43, v37, v36 op_sel_hi:[1,0,0]
	s_wait_loadcnt 0x7
	v_fma_mix_f32 v33, v44, v34, v33 op_sel_hi:[1,0,0]
	;; [unrolled: 2-line block ×3, first 2 shown]
	v_cvt_f32_i32_e32 v38, v40
	v_cvt_f32_i32_e32 v24, v24
	;; [unrolled: 1-line block ×3, first 2 shown]
	s_wait_loadcnt 0x5
	v_fma_mix_f32 v29, v56, v31, v36 op_sel_hi:[1,0,0]
	s_wait_loadcnt 0x4
	v_fma_mix_f32 v31, v57, v32, v33 op_sel_hi:[1,0,0]
	;; [unrolled: 2-line block ×6, first 2 shown]
	v_fma_mix_f32 v7, v29, v30, v7 op_sel_hi:[0,1,0]
	s_delay_alu instid0(VALU_DEP_3) | instskip(NEXT) | instid1(VALU_DEP_3)
	v_fma_mix_f32 v9, v24, v30, v9 op_sel_hi:[0,1,0]
	v_fma_mix_f32 v6, v25, v30, v6 op_sel_hi:[0,1,0]
	s_wait_alu 0xfffe
	s_and_not1_b32 exec_lo, exec_lo, s3
	s_cbranch_execnz .LBB114_2
; %bb.3:
	s_or_b32 exec_lo, exec_lo, s3
.LBB114_4:
	s_delay_alu instid0(SALU_CYCLE_1)
	s_or_b32 exec_lo, exec_lo, s21
	s_mov_b32 s3, 0
	; wave barrier
	global_inv scope:SCOPE_SE
	s_mov_b32 s2, exec_lo
	v_cmpx_eq_u32_e32 0, v5
	s_cbranch_execz .LBB114_11
; %bb.5:
	v_mbcnt_lo_u32_b32 v5, -1, 0
	s_load_b64 s[0:1], s[0:1], 0x38
	s_mul_i32 s2, s10, s19
	s_mul_i32 s4, s18, s20
	s_wait_alu 0xfffe
	s_add_co_i32 s2, s2, ttmp9
	v_xor_b32_e32 v0, 16, v5
	v_xor_b32_e32 v1, 8, v5
	;; [unrolled: 1-line block ×3, first 2 shown]
	s_wait_alu 0xfffe
	s_add_co_i32 s2, s2, s4
	s_wait_alu 0xfffe
	s_lshl_b64 s[2:3], s[2:3], 2
	v_cmp_gt_i32_e32 vcc_lo, 32, v0
	s_wait_alu 0xfffd
	v_cndmask_b32_e32 v0, v5, v0, vcc_lo
	v_cmp_gt_i32_e32 vcc_lo, 32, v1
	s_wait_kmcnt 0x0
	s_wait_alu 0xfffe
	s_add_nc_u64 s[0:1], s[0:1], s[2:3]
	s_wait_alu 0xfffd
	v_cndmask_b32_e32 v1, v5, v1, vcc_lo
	s_delay_alu instid0(VALU_DEP_1)
	v_lshlrev_b32_e32 v1, 2, v1
	v_lshlrev_b32_e32 v0, 2, v0
	ds_bpermute_b32 v2, v0, v7
	s_wait_dscnt 0x0
	v_add_f32_e32 v3, v7, v2
	v_xor_b32_e32 v2, 4, v5
	ds_bpermute_b32 v7, v1, v3
	v_cmp_gt_i32_e32 vcc_lo, 32, v2
	s_wait_dscnt 0x0
	s_wait_alu 0xfffd
	v_dual_cndmask_b32 v2, v5, v2 :: v_dual_add_f32 v7, v3, v7
	s_delay_alu instid0(VALU_DEP_1)
	v_lshlrev_b32_e32 v2, 2, v2
	v_xor_b32_e32 v3, 2, v5
	ds_bpermute_b32 v8, v2, v7
	v_cmp_gt_i32_e32 vcc_lo, 32, v3
	s_wait_alu 0xfffd
	v_cndmask_b32_e32 v3, v5, v3, vcc_lo
	v_cmp_gt_i32_e32 vcc_lo, 32, v10
	s_delay_alu instid0(VALU_DEP_2) | instskip(SKIP_3) | instid1(VALU_DEP_2)
	v_lshlrev_b32_e32 v3, 2, v3
	s_wait_alu 0xfffd
	v_cndmask_b32_e32 v5, v5, v10, vcc_lo
	v_cmp_eq_u32_e32 vcc_lo, 0, v4
	v_lshlrev_b32_e32 v5, 2, v5
	s_wait_dscnt 0x0
	v_add_f32_e32 v7, v7, v8
	ds_bpermute_b32 v8, v3, v7
	s_wait_dscnt 0x0
	v_add_f32_e32 v7, v7, v8
	ds_bpermute_b32 v8, v5, v7
	s_and_saveexec_b32 s2, vcc_lo
	s_cbranch_execz .LBB114_7
; %bb.6:
	s_wait_dscnt 0x0
	v_dual_add_f32 v4, v7, v8 :: v_dual_mov_b32 v7, 0
	global_store_b32 v7, v4, s[0:1]
.LBB114_7:
	s_wait_alu 0xfffe
	s_or_b32 exec_lo, exec_lo, s2
	ds_bpermute_b32 v4, v0, v9
	s_wait_dscnt 0x0
	v_add_f32_e32 v4, v9, v4
	ds_bpermute_b32 v7, v1, v4
	s_wait_dscnt 0x0
	v_add_f32_e32 v4, v4, v7
	;; [unrolled: 3-line block ×4, first 2 shown]
	ds_bpermute_b32 v7, v5, v4
	s_and_saveexec_b32 s2, vcc_lo
	s_cbranch_execz .LBB114_9
; %bb.8:
	s_mov_b32 s7, 0
	s_wait_dscnt 0x0
	v_dual_add_f32 v4, v4, v7 :: v_dual_mov_b32 v7, 0
	s_lshl_b64 s[4:5], s[6:7], 2
	s_wait_alu 0xfffe
	s_add_nc_u64 s[4:5], s[0:1], s[4:5]
	global_store_b32 v7, v4, s[4:5]
.LBB114_9:
	s_wait_alu 0xfffe
	s_or_b32 exec_lo, exec_lo, s2
	ds_bpermute_b32 v0, v0, v6
	s_wait_dscnt 0x0
	v_add_f32_e32 v0, v6, v0
	ds_bpermute_b32 v1, v1, v0
	s_wait_dscnt 0x0
	v_add_f32_e32 v0, v0, v1
	;; [unrolled: 3-line block ×4, first 2 shown]
	ds_bpermute_b32 v1, v5, v0
	s_and_b32 exec_lo, exec_lo, vcc_lo
	s_cbranch_execz .LBB114_11
; %bb.10:
	s_lshl_b32 s2, s6, 1
	s_mov_b32 s3, 0
	s_wait_dscnt 0x0
	v_dual_add_f32 v0, v0, v1 :: v_dual_mov_b32 v1, 0
	s_wait_alu 0xfffe
	s_lshl_b64 s[2:3], s[2:3], 2
	s_wait_alu 0xfffe
	s_add_nc_u64 s[0:1], s[0:1], s[2:3]
	global_store_b32 v1, v0, s[0:1]
.LBB114_11:
	s_endpgm
	.section	.rodata,"a",@progbits
	.p2align	6, 0x0
	.amdhsa_kernel _ZL13mul_mat_vec_qIL9ggml_type11ELi3ELb0ELb0EEvPKvS2_PKi31ggml_cuda_mm_fusion_args_devicePfj15HIP_vector_typeIjLj3EEjjjS8_jjjS8_jjjj
		.amdhsa_group_segment_fixed_size 0
		.amdhsa_private_segment_fixed_size 0
		.amdhsa_kernarg_size 144
		.amdhsa_user_sgpr_count 2
		.amdhsa_user_sgpr_dispatch_ptr 0
		.amdhsa_user_sgpr_queue_ptr 0
		.amdhsa_user_sgpr_kernarg_segment_ptr 1
		.amdhsa_user_sgpr_dispatch_id 0
		.amdhsa_user_sgpr_private_segment_size 0
		.amdhsa_wavefront_size32 1
		.amdhsa_uses_dynamic_stack 0
		.amdhsa_enable_private_segment 0
		.amdhsa_system_sgpr_workgroup_id_x 1
		.amdhsa_system_sgpr_workgroup_id_y 1
		.amdhsa_system_sgpr_workgroup_id_z 1
		.amdhsa_system_sgpr_workgroup_info 0
		.amdhsa_system_vgpr_workitem_id 1
		.amdhsa_next_free_vgpr 80
		.amdhsa_next_free_sgpr 28
		.amdhsa_reserve_vcc 1
		.amdhsa_float_round_mode_32 0
		.amdhsa_float_round_mode_16_64 0
		.amdhsa_float_denorm_mode_32 3
		.amdhsa_float_denorm_mode_16_64 3
		.amdhsa_fp16_overflow 0
		.amdhsa_workgroup_processor_mode 1
		.amdhsa_memory_ordered 1
		.amdhsa_forward_progress 1
		.amdhsa_inst_pref_size 23
		.amdhsa_round_robin_scheduling 0
		.amdhsa_exception_fp_ieee_invalid_op 0
		.amdhsa_exception_fp_denorm_src 0
		.amdhsa_exception_fp_ieee_div_zero 0
		.amdhsa_exception_fp_ieee_overflow 0
		.amdhsa_exception_fp_ieee_underflow 0
		.amdhsa_exception_fp_ieee_inexact 0
		.amdhsa_exception_int_div_zero 0
	.end_amdhsa_kernel
	.section	.text._ZL13mul_mat_vec_qIL9ggml_type11ELi3ELb0ELb0EEvPKvS2_PKi31ggml_cuda_mm_fusion_args_devicePfj15HIP_vector_typeIjLj3EEjjjS8_jjjS8_jjjj,"axG",@progbits,_ZL13mul_mat_vec_qIL9ggml_type11ELi3ELb0ELb0EEvPKvS2_PKi31ggml_cuda_mm_fusion_args_devicePfj15HIP_vector_typeIjLj3EEjjjS8_jjjS8_jjjj,comdat
.Lfunc_end114:
	.size	_ZL13mul_mat_vec_qIL9ggml_type11ELi3ELb0ELb0EEvPKvS2_PKi31ggml_cuda_mm_fusion_args_devicePfj15HIP_vector_typeIjLj3EEjjjS8_jjjS8_jjjj, .Lfunc_end114-_ZL13mul_mat_vec_qIL9ggml_type11ELi3ELb0ELb0EEvPKvS2_PKi31ggml_cuda_mm_fusion_args_devicePfj15HIP_vector_typeIjLj3EEjjjS8_jjjS8_jjjj
                                        ; -- End function
	.set _ZL13mul_mat_vec_qIL9ggml_type11ELi3ELb0ELb0EEvPKvS2_PKi31ggml_cuda_mm_fusion_args_devicePfj15HIP_vector_typeIjLj3EEjjjS8_jjjS8_jjjj.num_vgpr, 80
	.set _ZL13mul_mat_vec_qIL9ggml_type11ELi3ELb0ELb0EEvPKvS2_PKi31ggml_cuda_mm_fusion_args_devicePfj15HIP_vector_typeIjLj3EEjjjS8_jjjS8_jjjj.num_agpr, 0
	.set _ZL13mul_mat_vec_qIL9ggml_type11ELi3ELb0ELb0EEvPKvS2_PKi31ggml_cuda_mm_fusion_args_devicePfj15HIP_vector_typeIjLj3EEjjjS8_jjjS8_jjjj.numbered_sgpr, 28
	.set _ZL13mul_mat_vec_qIL9ggml_type11ELi3ELb0ELb0EEvPKvS2_PKi31ggml_cuda_mm_fusion_args_devicePfj15HIP_vector_typeIjLj3EEjjjS8_jjjS8_jjjj.num_named_barrier, 0
	.set _ZL13mul_mat_vec_qIL9ggml_type11ELi3ELb0ELb0EEvPKvS2_PKi31ggml_cuda_mm_fusion_args_devicePfj15HIP_vector_typeIjLj3EEjjjS8_jjjS8_jjjj.private_seg_size, 0
	.set _ZL13mul_mat_vec_qIL9ggml_type11ELi3ELb0ELb0EEvPKvS2_PKi31ggml_cuda_mm_fusion_args_devicePfj15HIP_vector_typeIjLj3EEjjjS8_jjjS8_jjjj.uses_vcc, 1
	.set _ZL13mul_mat_vec_qIL9ggml_type11ELi3ELb0ELb0EEvPKvS2_PKi31ggml_cuda_mm_fusion_args_devicePfj15HIP_vector_typeIjLj3EEjjjS8_jjjS8_jjjj.uses_flat_scratch, 0
	.set _ZL13mul_mat_vec_qIL9ggml_type11ELi3ELb0ELb0EEvPKvS2_PKi31ggml_cuda_mm_fusion_args_devicePfj15HIP_vector_typeIjLj3EEjjjS8_jjjS8_jjjj.has_dyn_sized_stack, 0
	.set _ZL13mul_mat_vec_qIL9ggml_type11ELi3ELb0ELb0EEvPKvS2_PKi31ggml_cuda_mm_fusion_args_devicePfj15HIP_vector_typeIjLj3EEjjjS8_jjjS8_jjjj.has_recursion, 0
	.set _ZL13mul_mat_vec_qIL9ggml_type11ELi3ELb0ELb0EEvPKvS2_PKi31ggml_cuda_mm_fusion_args_devicePfj15HIP_vector_typeIjLj3EEjjjS8_jjjS8_jjjj.has_indirect_call, 0
	.section	.AMDGPU.csdata,"",@progbits
; Kernel info:
; codeLenInByte = 2856
; TotalNumSgprs: 30
; NumVgprs: 80
; ScratchSize: 0
; MemoryBound: 0
; FloatMode: 240
; IeeeMode: 1
; LDSByteSize: 0 bytes/workgroup (compile time only)
; SGPRBlocks: 0
; VGPRBlocks: 9
; NumSGPRsForWavesPerEU: 30
; NumVGPRsForWavesPerEU: 80
; Occupancy: 16
; WaveLimiterHint : 0
; COMPUTE_PGM_RSRC2:SCRATCH_EN: 0
; COMPUTE_PGM_RSRC2:USER_SGPR: 2
; COMPUTE_PGM_RSRC2:TRAP_HANDLER: 0
; COMPUTE_PGM_RSRC2:TGID_X_EN: 1
; COMPUTE_PGM_RSRC2:TGID_Y_EN: 1
; COMPUTE_PGM_RSRC2:TGID_Z_EN: 1
; COMPUTE_PGM_RSRC2:TIDIG_COMP_CNT: 1
	.section	.text._ZL13mul_mat_vec_qIL9ggml_type11ELi4ELb0ELb0EEvPKvS2_PKi31ggml_cuda_mm_fusion_args_devicePfj15HIP_vector_typeIjLj3EEjjjS8_jjjS8_jjjj,"axG",@progbits,_ZL13mul_mat_vec_qIL9ggml_type11ELi4ELb0ELb0EEvPKvS2_PKi31ggml_cuda_mm_fusion_args_devicePfj15HIP_vector_typeIjLj3EEjjjS8_jjjS8_jjjj,comdat
	.globl	_ZL13mul_mat_vec_qIL9ggml_type11ELi4ELb0ELb0EEvPKvS2_PKi31ggml_cuda_mm_fusion_args_devicePfj15HIP_vector_typeIjLj3EEjjjS8_jjjS8_jjjj ; -- Begin function _ZL13mul_mat_vec_qIL9ggml_type11ELi4ELb0ELb0EEvPKvS2_PKi31ggml_cuda_mm_fusion_args_devicePfj15HIP_vector_typeIjLj3EEjjjS8_jjjS8_jjjj
	.p2align	8
	.type	_ZL13mul_mat_vec_qIL9ggml_type11ELi4ELb0ELb0EEvPKvS2_PKi31ggml_cuda_mm_fusion_args_devicePfj15HIP_vector_typeIjLj3EEjjjS8_jjjS8_jjjj,@function
_ZL13mul_mat_vec_qIL9ggml_type11ELi4ELb0ELb0EEvPKvS2_PKi31ggml_cuda_mm_fusion_args_devicePfj15HIP_vector_typeIjLj3EEjjjS8_jjjS8_jjjj: ; @_ZL13mul_mat_vec_qIL9ggml_type11ELi4ELb0ELb0EEvPKvS2_PKi31ggml_cuda_mm_fusion_args_devicePfj15HIP_vector_typeIjLj3EEjjjS8_jjjS8_jjjj
; %bb.0:
	s_clause 0x5
	s_load_b96 s[16:18], s[0:1], 0x80
	s_load_b32 s2, s[0:1], 0x40
	s_load_b128 s[4:7], s[0:1], 0x50
	s_load_b32 s23, s[0:1], 0x60
	s_load_b128 s[8:11], s[0:1], 0x68
	s_load_b32 s24, s[0:1], 0x78
	v_bfe_u32 v8, v0, 10, 10
	v_dual_mov_b32 v5, 0 :: v_dual_and_b32 v6, 0x3ff, v0
	v_dual_mov_b32 v7, 0 :: v_dual_mov_b32 v10, 0
	v_mov_b32_e32 v12, 0
	s_delay_alu instid0(VALU_DEP_3) | instskip(SKIP_3) | instid1(VALU_DEP_1)
	v_lshl_or_b32 v0, v8, 5, v6
	s_and_b32 s19, ttmp7, 0xffff
	s_lshr_b32 s20, ttmp7, 16
	s_mov_b32 s21, exec_lo
	v_lshrrev_b32_e32 v9, 4, v0
	s_wait_kmcnt 0x0
	s_lshr_b32 s22, s2, 8
	s_delay_alu instid0(VALU_DEP_1) | instid1(SALU_CYCLE_1)
	v_cmpx_gt_u32_e64 s22, v9
	s_cbranch_execz .LBB115_4
; %bb.1:
	v_and_b32_e32 v4, 8, v6
	v_bfe_u32 v11, v6, 2, 1
	s_load_b128 s[12:15], s[0:1], 0x0
	v_lshl_add_u32 v3, v8, 5, v6
	v_bfe_u32 v5, v6, 3, 1
	s_mul_hi_u32 s7, s7, s19
	v_or_b32_e32 v2, v11, v4
	v_lshrrev_b32_e32 v0, 1, v6
	v_lshrrev_b32_e32 v17, 4, v3
	v_mul_hi_u32_u24_e32 v3, 0x90, v5
	v_lshrrev_b32_e32 v14, 1, v4
	v_or_b32_e32 v18, 6, v2
	v_or_b32_e32 v16, 4, v2
	v_mul_u32_u24_e32 v2, 0x90, v5
	s_mul_hi_u32 s11, s11, s20
	s_mul_i32 s2, s17, s20
	v_lshrrev_b32_e32 v4, 1, v18
	s_mov_b32 s3, 0
	s_add_co_i32 s7, s19, s7
	v_dual_mov_b32 v7, 0 :: v_dual_and_b32 v10, 7, v6
	v_lshlrev_b32_e32 v1, 1, v6
	v_mad_co_u64_u32 v[2:3], null, 0x120, v17, v[2:3]
	s_add_co_i32 s11, s20, s11
	s_mul_u64 s[26:27], s[2:3], 36
	s_mul_i32 s2, s9, s19
	s_lshr_b32 s7, s7, s23
	v_and_b32_e32 v13, 4, v0
	v_and_b32_e32 v19, 6, v4
	v_lshlrev_b32_e32 v4, 3, v9
	s_lshr_b32 s11, s11, s24
	s_mul_u64 s[24:25], s[2:3], 36
	s_mul_i32 s2, s7, s8
	s_wait_kmcnt 0x0
	s_add_nc_u64 s[8:9], s[14:15], s[26:27]
	v_and_b32_e32 v12, 30, v1
	s_add_nc_u64 s[8:9], s[8:9], s[24:25]
	v_lshlrev_b32_e32 v24, 1, v10
	v_lshlrev_b32_e32 v20, 2, v10
	v_add_nc_u32_e32 v21, s5, v4
	v_lshl_add_u32 v22, s5, 1, v4
	v_mad_co_u64_u32 v[4:5], null, s5, 3, v[4:5]
	v_dual_mov_b32 v10, 0 :: v_dual_lshlrev_b32 v25, 2, v10
	v_mad_co_u64_u32 v[0:1], null, v13, 36, s[8:9]
	v_add_co_u32 v2, vcc_lo, s8, v2
	s_mul_i32 s4, s4, ttmp9
	v_and_b32_e32 v15, 5, v16
	v_lshrrev_b32_e32 v16, 1, v16
	v_and_b32_e32 v17, 7, v18
	v_and_b32_e32 v18, 3, v18
	v_add_co_ci_u32_e64 v3, null, s9, v3, vcc_lo
	v_lshlrev_b32_e32 v23, 1, v12
	v_dual_mov_b32 v5, 0 :: v_dual_lshlrev_b32 v24, 1, v24
	v_mov_b32_e32 v12, 0
	s_mul_i32 s7, s11, s16
	s_wait_alu 0xfffe
	s_add_co_i32 s2, s2, s4
	s_delay_alu instid0(SALU_CYCLE_1)
	s_add_co_i32 s2, s7, s2
.LBB115_2:                              ; =>This Inner Loop Header: Depth=1
	v_mad_co_u64_u32 v[28:29], null, v21, 36, v[0:1]
	v_add_nc_u32_e32 v34, s2, v9
	v_add_co_u32 v26, vcc_lo, v2, v20
	v_mad_co_u64_u32 v[30:31], null, v22, 36, v[0:1]
	s_wait_alu 0xfffd
	v_add_co_ci_u32_e64 v27, null, 0, v3, vcc_lo
	v_mad_co_u64_u32 v[32:33], null, v4, 36, v[0:1]
	v_mad_co_i64_i32 v[34:35], null, 0x6e, v34, s[12:13]
	s_clause 0x4
	global_load_b32 v52, v[2:3], off
	global_load_b32 v53, v[26:27], off offset:4
	global_load_b32 v54, v[26:27], off offset:40
	;; [unrolled: 1-line block ×4, first 2 shown]
	v_add_co_u32 v26, vcc_lo, v28, v25
	s_wait_alu 0xfffd
	v_add_co_ci_u32_e64 v27, null, 0, v29, vcc_lo
	v_add_co_u32 v36, vcc_lo, v30, v25
	s_wait_alu 0xfffd
	v_add_co_ci_u32_e64 v37, null, 0, v31, vcc_lo
	v_add_co_u32 v38, vcc_lo, v32, v25
	s_wait_alu 0xfffd
	v_add_co_ci_u32_e64 v39, null, 0, v33, vcc_lo
	v_add_co_u32 v40, vcc_lo, v34, v23
	s_wait_alu 0xfffd
	v_add_co_ci_u32_e64 v41, null, 0, v35, vcc_lo
	v_add_co_u32 v42, vcc_lo, v34, v24
	s_wait_alu 0xfffd
	v_add_co_ci_u32_e64 v43, null, 0, v35, vcc_lo
	v_add_co_u32 v44, vcc_lo, v34, v11
	s_wait_alu 0xfffd
	v_add_co_ci_u32_e64 v45, null, 0, v35, vcc_lo
	v_add_co_u32 v46, vcc_lo, v34, v15
	s_wait_alu 0xfffd
	v_add_co_ci_u32_e64 v47, null, 0, v35, vcc_lo
	v_add_co_u32 v48, vcc_lo, v34, v17
	s_wait_alu 0xfffd
	v_add_co_ci_u32_e64 v49, null, 0, v35, vcc_lo
	v_add_co_u32 v50, vcc_lo, v34, v18
	s_wait_alu 0xfffd
	v_add_co_ci_u32_e64 v51, null, 0, v35, vcc_lo
	s_clause 0xa
	global_load_b32 v57, v[26:27], off offset:4
	global_load_b32 v58, v[26:27], off offset:40
	;; [unrolled: 1-line block ×11, first 2 shown]
	s_clause 0x9
	global_load_u16 v34, v[34:35], off offset:108
	global_load_b32 v35, v[40:41], off offset:32
	global_load_b32 v40, v[42:43], off
	global_load_u8 v41, v[44:45], off offset:96
	global_load_u8 v42, v[44:45], off offset:104
	;; [unrolled: 1-line block ×7, first 2 shown]
	s_clause 0x3
	global_load_b32 v38, v[38:39], off offset:112
	global_load_b32 v39, v[28:29], off
	global_load_b32 v48, v[30:31], off
	;; [unrolled: 1-line block ×3, first 2 shown]
	global_load_b32 v50, v[2:3], off offset:36
	s_clause 0x2
	global_load_b32 v51, v[28:29], off offset:36
	global_load_b32 v64, v[30:31], off offset:36
	global_load_b32 v65, v[32:33], off offset:36
	global_load_b32 v66, v[2:3], off offset:72
	s_clause 0x2
	global_load_b32 v67, v[28:29], off offset:72
	global_load_b32 v68, v[30:31], off offset:72
	global_load_b32 v69, v[32:33], off offset:72
	;; [unrolled: 5-line block ×3, first 2 shown]
	v_add_nc_u32_e32 v9, 2, v9
	v_add_co_u32 v2, vcc_lo, 0x240, v2
	s_wait_alu 0xfffd
	v_add_co_ci_u32_e64 v3, null, 0, v3, vcc_lo
	s_delay_alu instid0(VALU_DEP_3)
	v_cmp_le_u32_e32 vcc_lo, s22, v9
	v_add_nc_u32_e32 v21, 16, v21
	v_add_nc_u32_e32 v22, 16, v22
	;; [unrolled: 1-line block ×3, first 2 shown]
	s_or_b32 s3, vcc_lo, s3
	s_wait_loadcnt 0x18
	v_lshrrev_b32_e32 v72, 4, v35
	s_wait_loadcnt 0x17
	v_ashrrev_i32_e32 v31, v13, v40
	s_wait_loadcnt 0x16
	v_bfe_u32 v32, v41, v14, 4
	s_wait_loadcnt 0x15
	v_lshrrev_b32_e32 v33, v14, v42
	v_lshrrev_b32_e32 v42, v16, v42
	v_and_b32_e32 v40, 0x3030303, v35
	v_not_b32_e32 v31, v31
	s_wait_loadcnt 0x14
	v_lshrrev_b32_e32 v43, v14, v43
	v_lshlrev_b32_e32 v33, 4, v33
	v_lshrrev_b32_e32 v71, 2, v35
	s_wait_loadcnt 0x13
	v_bfe_u32 v46, v46, v14, 4
	s_wait_loadcnt 0x10
	v_lshrrev_b32_e32 v47, v19, v47
	v_lshrrev_b32_e32 v73, 6, v35
	v_and_or_b32 v32, v33, 48, v32
	v_lshlrev_b32_e32 v33, 2, v31
	v_lshlrev_b32_e32 v42, 4, v42
	v_and_b32_e32 v77, 0x3030303, v72
	v_lshlrev_b32_e32 v79, 1, v31
	v_and_b32_e32 v81, 0x4040404, v31
	v_lshrrev_b32_e32 v31, 1, v31
	v_and_b32_e32 v33, 0x4040404, v33
	v_bfe_u32 v41, v35, 24, 2
	v_bfe_u32 v44, v44, v14, 4
	;; [unrolled: 1-line block ×3, first 2 shown]
	v_lshrrev_b32_e32 v74, 16, v40
	v_lshrrev_b16 v75, 8, v40
	v_lshlrev_b32_e32 v43, 4, v43
	v_and_b32_e32 v76, 0x3030303, v71
	v_bfe_u32 v72, v72, 24, 2
	v_lshlrev_b32_e32 v47, 4, v47
	v_and_b32_e32 v73, 0x3030303, v73
	v_and_or_b32 v42, v42, 48, v46
	v_lshrrev_b32_e32 v46, 16, v77
	v_lshrrev_b16 v80, 8, v77
	v_and_b32_e32 v79, 0x4040404, v79
	v_lshrrev_b32_e32 v83, 16, v81
	v_lshrrev_b32_e32 v84, 24, v81
	v_lshrrev_b16 v85, 8, v81
	v_sub_nc_u16 v77, v77, v81
	v_and_b32_e32 v31, 0x4040404, v31
	v_lshrrev_b32_e32 v81, 16, v33
	v_lshrrev_b32_e32 v86, 24, v33
	v_lshrrev_b16 v87, 8, v33
	v_lshrrev_b32_e32 v35, 30, v35
	v_bfe_u32 v71, v71, 24, 2
	v_and_or_b32 v43, v43, 48, v44
	v_lshrrev_b32_e32 v44, 16, v76
	v_lshrrev_b16 v78, 8, v76
	v_and_or_b32 v45, v47, 48, v45
	v_lshrrev_b32_e32 v47, 16, v73
	v_lshrrev_b16 v82, 8, v73
	v_sub_nc_u16 v33, v40, v33
	v_lshrrev_b32_e32 v40, 16, v79
	v_lshrrev_b32_e32 v88, 24, v79
	v_lshrrev_b16 v89, 8, v79
	v_sub_nc_u16 v76, v76, v79
	v_sub_nc_u16 v79, v80, v85
	;; [unrolled: 1-line block ×4, first 2 shown]
	v_lshrrev_b32_e32 v80, 16, v31
	v_lshrrev_b32_e32 v83, 24, v31
	v_lshrrev_b16 v84, 8, v31
	v_sub_nc_u16 v31, v73, v31
	v_sub_nc_u16 v73, v75, v87
	;; [unrolled: 1-line block ×4, first 2 shown]
	v_and_b32_e32 v77, 0xff, v77
	v_and_b32_e32 v33, 0xff, v33
	;; [unrolled: 1-line block ×3, first 2 shown]
	v_sub_nc_u16 v76, v78, v89
	v_sub_nc_u16 v71, v71, v88
	;; [unrolled: 1-line block ×3, first 2 shown]
	v_lshlrev_b16 v44, 8, v79
	v_lshlrev_b16 v72, 8, v72
	v_and_b32_e32 v46, 0xff, v46
	v_sub_nc_u16 v78, v82, v84
	v_sub_nc_u16 v35, v35, v83
	;; [unrolled: 1-line block ×3, first 2 shown]
	v_lshlrev_b16 v73, 8, v73
	v_lshlrev_b16 v41, 8, v41
	v_and_b32_e32 v74, 0xff, v74
	v_and_b32_e32 v31, 0xff, v31
	v_lshlrev_b16 v76, 8, v76
	v_lshlrev_b16 v71, 8, v71
	v_and_b32_e32 v40, 0xff, v40
	v_or_b32_e32 v44, v77, v44
	v_or_b32_e32 v46, v46, v72
	v_lshlrev_b16 v72, 8, v78
	v_lshlrev_b16 v35, 8, v35
	v_and_b32_e32 v47, 0xff, v47
	v_or_b32_e32 v33, v33, v73
	v_or_b32_e32 v41, v74, v41
	;; [unrolled: 1-line block ×4, first 2 shown]
	v_and_b32_e32 v44, 0xffff, v44
	v_lshlrev_b32_e32 v46, 16, v46
	v_or_b32_e32 v31, v31, v72
	v_or_b32_e32 v35, v47, v35
	v_and_b32_e32 v33, 0xffff, v33
	v_lshlrev_b32_e32 v41, 16, v41
	v_and_b32_e32 v47, 0xffff, v73
	v_lshlrev_b32_e32 v40, 16, v40
	;; [unrolled: 2-line block ×3, first 2 shown]
	v_or_b32_e32 v44, v44, v46
	v_or_b32_e32 v33, v33, v41
	v_subrev_nc_u32_e32 v32, 32, v32
	v_subrev_nc_u32_e32 v42, 32, v42
	v_or_b32_e32 v40, v47, v40
	v_or_b32_e32 v31, v31, v35
	v_dot4_i32_iu8 v35, v44, v55, 0 neg_lo:[1,1,0]
	v_dot4_i32_iu8 v41, v44, v59, 0 neg_lo:[1,1,0]
	;; [unrolled: 1-line block ×8, first 2 shown]
	v_subrev_nc_u32_e32 v43, 32, v43
	v_dot4_i32_iu8 v53, v40, v54, 0 neg_lo:[1,1,0]
	v_dot4_i32_iu8 v54, v31, v56, 0 neg_lo:[1,1,0]
	v_dot4_i32_iu8 v56, v40, v58, 0 neg_lo:[1,1,0]
	v_dot4_i32_iu8 v26, v31, v26, 0 neg_lo:[1,1,0]
	v_mul_lo_u32 v35, v42, v35
	v_mul_lo_u32 v41, v42, v41
	v_dot4_i32_iu8 v57, v40, v60, 0 neg_lo:[1,1,0]
	v_dot4_i32_iu8 v36, v31, v36, 0 neg_lo:[1,1,0]
	;; [unrolled: 1-line block ×3, first 2 shown]
	s_wait_loadcnt 0xf
	v_dot4_i32_iu8 v31, v31, v38, 0 neg_lo:[1,1,0]
	v_mul_lo_u32 v38, v42, v46
	v_mul_lo_u32 v40, v42, v44
	;; [unrolled: 1-line block ×10, first 2 shown]
	v_subrev_nc_u32_e32 v45, 32, v45
	v_cvt_f32_i32_e32 v43, v44
	v_cvt_f32_i32_e32 v42, v42
	v_cvt_f32_i32_e32 v32, v32
	v_cvt_f32_i32_e32 v27, v27
	v_mul_lo_u32 v26, v45, v26
	v_mul_lo_u32 v53, v45, v54
	;; [unrolled: 1-line block ×4, first 2 shown]
	v_cvt_f32_i32_e32 v44, v47
	v_cvt_f32_i32_e32 v45, v46
	;; [unrolled: 1-line block ×4, first 2 shown]
	v_fma_mix_f32 v42, v52, v42, 0 op_sel_hi:[1,0,0]
	s_wait_loadcnt 0xe
	v_fma_mix_f32 v39, v39, v43, 0 op_sel_hi:[1,0,0]
	s_wait_loadcnt 0xd
	;; [unrolled: 2-line block ×3, first 2 shown]
	v_fma_mix_f32 v32, v49, v32, 0 op_sel_hi:[1,0,0]
	v_cvt_f32_i32_e32 v41, v41
	v_cvt_f32_i32_e32 v35, v35
	;; [unrolled: 1-line block ×4, first 2 shown]
	s_wait_loadcnt 0xb
	v_fma_mix_f32 v42, v50, v44, v42 op_sel_hi:[1,0,0]
	s_wait_loadcnt 0xa
	v_fma_mix_f32 v39, v51, v45, v39 op_sel_hi:[1,0,0]
	;; [unrolled: 2-line block ×4, first 2 shown]
	v_cvt_f32_i32_e32 v46, v53
	v_cvt_f32_i32_e32 v26, v26
	;; [unrolled: 1-line block ×4, first 2 shown]
	s_wait_loadcnt 0x7
	v_fma_mix_f32 v33, v66, v35, v42 op_sel_hi:[1,0,0]
	s_wait_loadcnt 0x6
	v_fma_mix_f32 v35, v67, v41, v39 op_sel_hi:[1,0,0]
	;; [unrolled: 2-line block ×8, first 2 shown]
	v_fma_mix_f32 v12, v33, v34, v12 op_sel_hi:[0,1,0]
	v_fma_mix_f32 v10, v26, v34, v10 op_sel_hi:[0,1,0]
	v_fma_mix_f32 v7, v27, v34, v7 op_sel_hi:[0,1,0]
	s_delay_alu instid0(VALU_DEP_4)
	v_fma_mix_f32 v5, v28, v34, v5 op_sel_hi:[0,1,0]
	s_wait_alu 0xfffe
	s_and_not1_b32 exec_lo, exec_lo, s3
	s_cbranch_execnz .LBB115_2
; %bb.3:
	s_or_b32 exec_lo, exec_lo, s3
.LBB115_4:
	s_delay_alu instid0(SALU_CYCLE_1)
	s_or_b32 exec_lo, exec_lo, s21
	s_mov_b32 s3, 0
	; wave barrier
	global_inv scope:SCOPE_SE
	s_mov_b32 s2, exec_lo
	v_cmpx_eq_u32_e32 0, v8
	s_cbranch_execz .LBB115_13
; %bb.5:
	v_mbcnt_lo_u32_b32 v4, -1, 0
	s_load_b64 s[0:1], s[0:1], 0x38
	s_mul_i32 s2, s10, s19
	s_mul_i32 s4, s18, s20
	s_wait_alu 0xfffe
	s_add_co_i32 s2, s2, ttmp9
	v_xor_b32_e32 v0, 16, v4
	v_xor_b32_e32 v1, 8, v4
	;; [unrolled: 1-line block ×3, first 2 shown]
	s_wait_alu 0xfffe
	s_add_co_i32 s2, s2, s4
	s_wait_alu 0xfffe
	s_lshl_b64 s[2:3], s[2:3], 2
	v_cmp_gt_i32_e32 vcc_lo, 32, v0
	s_wait_alu 0xfffd
	v_cndmask_b32_e32 v0, v4, v0, vcc_lo
	v_cmp_gt_i32_e32 vcc_lo, 32, v1
	s_wait_kmcnt 0x0
	s_wait_alu 0xfffe
	s_add_nc_u64 s[0:1], s[0:1], s[2:3]
	s_wait_alu 0xfffd
	v_cndmask_b32_e32 v1, v4, v1, vcc_lo
	s_delay_alu instid0(VALU_DEP_1)
	v_lshlrev_b32_e32 v1, 2, v1
	v_lshlrev_b32_e32 v0, 2, v0
	ds_bpermute_b32 v2, v0, v12
	s_wait_dscnt 0x0
	v_add_f32_e32 v3, v12, v2
	v_xor_b32_e32 v2, 4, v4
	ds_bpermute_b32 v8, v1, v3
	v_cmp_gt_i32_e32 vcc_lo, 32, v2
	s_wait_alu 0xfffd
	v_cndmask_b32_e32 v2, v4, v2, vcc_lo
	s_wait_dscnt 0x0
	v_add_f32_e32 v8, v3, v8
	v_xor_b32_e32 v3, 2, v4
	s_delay_alu instid0(VALU_DEP_1) | instskip(SKIP_3) | instid1(VALU_DEP_2)
	v_cmp_gt_i32_e32 vcc_lo, 32, v3
	s_wait_alu 0xfffd
	v_cndmask_b32_e32 v3, v4, v3, vcc_lo
	v_cmp_gt_i32_e32 vcc_lo, 32, v11
	v_lshlrev_b32_e32 v3, 2, v3
	v_lshlrev_b32_e32 v2, 2, v2
	s_wait_alu 0xfffd
	v_cndmask_b32_e32 v4, v4, v11, vcc_lo
	v_cmp_eq_u32_e32 vcc_lo, 0, v6
	ds_bpermute_b32 v9, v2, v8
	v_lshlrev_b32_e32 v4, 2, v4
	s_wait_dscnt 0x0
	v_add_f32_e32 v8, v8, v9
	ds_bpermute_b32 v9, v3, v8
	s_wait_dscnt 0x0
	v_add_f32_e32 v8, v8, v9
	ds_bpermute_b32 v9, v4, v8
	s_and_saveexec_b32 s2, vcc_lo
	s_cbranch_execz .LBB115_7
; %bb.6:
	s_wait_dscnt 0x0
	v_add_f32_e32 v6, v8, v9
	v_mov_b32_e32 v8, 0
	global_store_b32 v8, v6, s[0:1]
.LBB115_7:
	s_wait_alu 0xfffe
	s_or_b32 exec_lo, exec_lo, s2
	ds_bpermute_b32 v6, v0, v10
	s_wait_dscnt 0x0
	v_add_f32_e32 v6, v10, v6
	ds_bpermute_b32 v8, v1, v6
	s_wait_dscnt 0x0
	v_add_f32_e32 v6, v6, v8
	;; [unrolled: 3-line block ×4, first 2 shown]
	ds_bpermute_b32 v8, v4, v6
	s_and_saveexec_b32 s2, vcc_lo
	s_cbranch_execz .LBB115_9
; %bb.8:
	s_mov_b32 s7, 0
	s_wait_dscnt 0x0
	v_add_f32_e32 v6, v6, v8
	v_mov_b32_e32 v8, 0
	s_lshl_b64 s[4:5], s[6:7], 2
	s_wait_alu 0xfffe
	s_add_nc_u64 s[4:5], s[0:1], s[4:5]
	global_store_b32 v8, v6, s[4:5]
.LBB115_9:
	s_wait_alu 0xfffe
	s_or_b32 exec_lo, exec_lo, s2
	ds_bpermute_b32 v6, v0, v7
	s_wait_dscnt 0x0
	v_add_f32_e32 v6, v7, v6
	ds_bpermute_b32 v7, v1, v6
	s_wait_dscnt 0x0
	v_add_f32_e32 v6, v6, v7
	;; [unrolled: 3-line block ×4, first 2 shown]
	ds_bpermute_b32 v7, v4, v6
	s_and_saveexec_b32 s2, vcc_lo
	s_cbranch_execz .LBB115_11
; %bb.10:
	s_lshl_b32 s4, s6, 1
	s_mov_b32 s5, 0
	s_wait_dscnt 0x0
	v_dual_add_f32 v6, v6, v7 :: v_dual_mov_b32 v7, 0
	s_wait_alu 0xfffe
	s_lshl_b64 s[4:5], s[4:5], 2
	s_wait_alu 0xfffe
	s_add_nc_u64 s[4:5], s[0:1], s[4:5]
	global_store_b32 v7, v6, s[4:5]
.LBB115_11:
	s_wait_alu 0xfffe
	s_or_b32 exec_lo, exec_lo, s2
	ds_bpermute_b32 v0, v0, v5
	s_wait_dscnt 0x0
	v_add_f32_e32 v0, v5, v0
	ds_bpermute_b32 v1, v1, v0
	s_wait_dscnt 0x0
	v_add_f32_e32 v0, v0, v1
	;; [unrolled: 3-line block ×4, first 2 shown]
	ds_bpermute_b32 v1, v4, v0
	s_and_b32 exec_lo, exec_lo, vcc_lo
	s_cbranch_execz .LBB115_13
; %bb.12:
	s_mul_i32 s2, s6, 3
	s_mov_b32 s3, 0
	s_wait_dscnt 0x0
	v_dual_add_f32 v0, v0, v1 :: v_dual_mov_b32 v1, 0
	s_wait_alu 0xfffe
	s_lshl_b64 s[2:3], s[2:3], 2
	s_wait_alu 0xfffe
	s_add_nc_u64 s[0:1], s[0:1], s[2:3]
	global_store_b32 v1, v0, s[0:1]
.LBB115_13:
	s_endpgm
	.section	.rodata,"a",@progbits
	.p2align	6, 0x0
	.amdhsa_kernel _ZL13mul_mat_vec_qIL9ggml_type11ELi4ELb0ELb0EEvPKvS2_PKi31ggml_cuda_mm_fusion_args_devicePfj15HIP_vector_typeIjLj3EEjjjS8_jjjS8_jjjj
		.amdhsa_group_segment_fixed_size 0
		.amdhsa_private_segment_fixed_size 0
		.amdhsa_kernarg_size 144
		.amdhsa_user_sgpr_count 2
		.amdhsa_user_sgpr_dispatch_ptr 0
		.amdhsa_user_sgpr_queue_ptr 0
		.amdhsa_user_sgpr_kernarg_segment_ptr 1
		.amdhsa_user_sgpr_dispatch_id 0
		.amdhsa_user_sgpr_private_segment_size 0
		.amdhsa_wavefront_size32 1
		.amdhsa_uses_dynamic_stack 0
		.amdhsa_enable_private_segment 0
		.amdhsa_system_sgpr_workgroup_id_x 1
		.amdhsa_system_sgpr_workgroup_id_y 1
		.amdhsa_system_sgpr_workgroup_id_z 1
		.amdhsa_system_sgpr_workgroup_info 0
		.amdhsa_system_vgpr_workitem_id 1
		.amdhsa_next_free_vgpr 90
		.amdhsa_next_free_sgpr 28
		.amdhsa_reserve_vcc 1
		.amdhsa_float_round_mode_32 0
		.amdhsa_float_round_mode_16_64 0
		.amdhsa_float_denorm_mode_32 3
		.amdhsa_float_denorm_mode_16_64 3
		.amdhsa_fp16_overflow 0
		.amdhsa_workgroup_processor_mode 1
		.amdhsa_memory_ordered 1
		.amdhsa_forward_progress 1
		.amdhsa_inst_pref_size 26
		.amdhsa_round_robin_scheduling 0
		.amdhsa_exception_fp_ieee_invalid_op 0
		.amdhsa_exception_fp_denorm_src 0
		.amdhsa_exception_fp_ieee_div_zero 0
		.amdhsa_exception_fp_ieee_overflow 0
		.amdhsa_exception_fp_ieee_underflow 0
		.amdhsa_exception_fp_ieee_inexact 0
		.amdhsa_exception_int_div_zero 0
	.end_amdhsa_kernel
	.section	.text._ZL13mul_mat_vec_qIL9ggml_type11ELi4ELb0ELb0EEvPKvS2_PKi31ggml_cuda_mm_fusion_args_devicePfj15HIP_vector_typeIjLj3EEjjjS8_jjjS8_jjjj,"axG",@progbits,_ZL13mul_mat_vec_qIL9ggml_type11ELi4ELb0ELb0EEvPKvS2_PKi31ggml_cuda_mm_fusion_args_devicePfj15HIP_vector_typeIjLj3EEjjjS8_jjjS8_jjjj,comdat
.Lfunc_end115:
	.size	_ZL13mul_mat_vec_qIL9ggml_type11ELi4ELb0ELb0EEvPKvS2_PKi31ggml_cuda_mm_fusion_args_devicePfj15HIP_vector_typeIjLj3EEjjjS8_jjjS8_jjjj, .Lfunc_end115-_ZL13mul_mat_vec_qIL9ggml_type11ELi4ELb0ELb0EEvPKvS2_PKi31ggml_cuda_mm_fusion_args_devicePfj15HIP_vector_typeIjLj3EEjjjS8_jjjS8_jjjj
                                        ; -- End function
	.set _ZL13mul_mat_vec_qIL9ggml_type11ELi4ELb0ELb0EEvPKvS2_PKi31ggml_cuda_mm_fusion_args_devicePfj15HIP_vector_typeIjLj3EEjjjS8_jjjS8_jjjj.num_vgpr, 90
	.set _ZL13mul_mat_vec_qIL9ggml_type11ELi4ELb0ELb0EEvPKvS2_PKi31ggml_cuda_mm_fusion_args_devicePfj15HIP_vector_typeIjLj3EEjjjS8_jjjS8_jjjj.num_agpr, 0
	.set _ZL13mul_mat_vec_qIL9ggml_type11ELi4ELb0ELb0EEvPKvS2_PKi31ggml_cuda_mm_fusion_args_devicePfj15HIP_vector_typeIjLj3EEjjjS8_jjjS8_jjjj.numbered_sgpr, 28
	.set _ZL13mul_mat_vec_qIL9ggml_type11ELi4ELb0ELb0EEvPKvS2_PKi31ggml_cuda_mm_fusion_args_devicePfj15HIP_vector_typeIjLj3EEjjjS8_jjjS8_jjjj.num_named_barrier, 0
	.set _ZL13mul_mat_vec_qIL9ggml_type11ELi4ELb0ELb0EEvPKvS2_PKi31ggml_cuda_mm_fusion_args_devicePfj15HIP_vector_typeIjLj3EEjjjS8_jjjS8_jjjj.private_seg_size, 0
	.set _ZL13mul_mat_vec_qIL9ggml_type11ELi4ELb0ELb0EEvPKvS2_PKi31ggml_cuda_mm_fusion_args_devicePfj15HIP_vector_typeIjLj3EEjjjS8_jjjS8_jjjj.uses_vcc, 1
	.set _ZL13mul_mat_vec_qIL9ggml_type11ELi4ELb0ELb0EEvPKvS2_PKi31ggml_cuda_mm_fusion_args_devicePfj15HIP_vector_typeIjLj3EEjjjS8_jjjS8_jjjj.uses_flat_scratch, 0
	.set _ZL13mul_mat_vec_qIL9ggml_type11ELi4ELb0ELb0EEvPKvS2_PKi31ggml_cuda_mm_fusion_args_devicePfj15HIP_vector_typeIjLj3EEjjjS8_jjjS8_jjjj.has_dyn_sized_stack, 0
	.set _ZL13mul_mat_vec_qIL9ggml_type11ELi4ELb0ELb0EEvPKvS2_PKi31ggml_cuda_mm_fusion_args_devicePfj15HIP_vector_typeIjLj3EEjjjS8_jjjS8_jjjj.has_recursion, 0
	.set _ZL13mul_mat_vec_qIL9ggml_type11ELi4ELb0ELb0EEvPKvS2_PKi31ggml_cuda_mm_fusion_args_devicePfj15HIP_vector_typeIjLj3EEjjjS8_jjjS8_jjjj.has_indirect_call, 0
	.section	.AMDGPU.csdata,"",@progbits
; Kernel info:
; codeLenInByte = 3268
; TotalNumSgprs: 30
; NumVgprs: 90
; ScratchSize: 0
; MemoryBound: 0
; FloatMode: 240
; IeeeMode: 1
; LDSByteSize: 0 bytes/workgroup (compile time only)
; SGPRBlocks: 0
; VGPRBlocks: 11
; NumSGPRsForWavesPerEU: 30
; NumVGPRsForWavesPerEU: 90
; Occupancy: 16
; WaveLimiterHint : 0
; COMPUTE_PGM_RSRC2:SCRATCH_EN: 0
; COMPUTE_PGM_RSRC2:USER_SGPR: 2
; COMPUTE_PGM_RSRC2:TRAP_HANDLER: 0
; COMPUTE_PGM_RSRC2:TGID_X_EN: 1
; COMPUTE_PGM_RSRC2:TGID_Y_EN: 1
; COMPUTE_PGM_RSRC2:TGID_Z_EN: 1
; COMPUTE_PGM_RSRC2:TIDIG_COMP_CNT: 1
	.section	.text._ZL13mul_mat_vec_qIL9ggml_type11ELi5ELb0ELb0EEvPKvS2_PKi31ggml_cuda_mm_fusion_args_devicePfj15HIP_vector_typeIjLj3EEjjjS8_jjjS8_jjjj,"axG",@progbits,_ZL13mul_mat_vec_qIL9ggml_type11ELi5ELb0ELb0EEvPKvS2_PKi31ggml_cuda_mm_fusion_args_devicePfj15HIP_vector_typeIjLj3EEjjjS8_jjjS8_jjjj,comdat
	.globl	_ZL13mul_mat_vec_qIL9ggml_type11ELi5ELb0ELb0EEvPKvS2_PKi31ggml_cuda_mm_fusion_args_devicePfj15HIP_vector_typeIjLj3EEjjjS8_jjjS8_jjjj ; -- Begin function _ZL13mul_mat_vec_qIL9ggml_type11ELi5ELb0ELb0EEvPKvS2_PKi31ggml_cuda_mm_fusion_args_devicePfj15HIP_vector_typeIjLj3EEjjjS8_jjjS8_jjjj
	.p2align	8
	.type	_ZL13mul_mat_vec_qIL9ggml_type11ELi5ELb0ELb0EEvPKvS2_PKi31ggml_cuda_mm_fusion_args_devicePfj15HIP_vector_typeIjLj3EEjjjS8_jjjS8_jjjj,@function
_ZL13mul_mat_vec_qIL9ggml_type11ELi5ELb0ELb0EEvPKvS2_PKi31ggml_cuda_mm_fusion_args_devicePfj15HIP_vector_typeIjLj3EEjjjS8_jjjS8_jjjj: ; @_ZL13mul_mat_vec_qIL9ggml_type11ELi5ELb0ELb0EEvPKvS2_PKi31ggml_cuda_mm_fusion_args_devicePfj15HIP_vector_typeIjLj3EEjjjS8_jjjS8_jjjj
; %bb.0:
	s_clause 0x5
	s_load_b96 s[16:18], s[0:1], 0x80
	s_load_b32 s2, s[0:1], 0x40
	s_load_b128 s[4:7], s[0:1], 0x50
	s_load_b32 s23, s[0:1], 0x60
	s_load_b128 s[8:11], s[0:1], 0x68
	s_load_b32 s24, s[0:1], 0x78
	v_bfe_u32 v8, v0, 10, 10
	v_dual_mov_b32 v5, 0 :: v_dual_and_b32 v6, 0x3ff, v0
	v_dual_mov_b32 v7, 0 :: v_dual_mov_b32 v12, 0
	v_dual_mov_b32 v9, 0 :: v_dual_mov_b32 v10, 0
	s_delay_alu instid0(VALU_DEP_3) | instskip(SKIP_3) | instid1(VALU_DEP_1)
	v_lshl_or_b32 v0, v8, 5, v6
	s_and_b32 s19, ttmp7, 0xffff
	s_lshr_b32 s20, ttmp7, 16
	s_mov_b32 s21, exec_lo
	v_lshrrev_b32_e32 v11, 4, v0
	s_wait_kmcnt 0x0
	s_lshr_b32 s22, s2, 8
	s_delay_alu instid0(VALU_DEP_1) | instid1(SALU_CYCLE_1)
	v_cmpx_gt_u32_e64 s22, v11
	s_cbranch_execz .LBB116_4
; %bb.1:
	s_load_b128 s[12:15], s[0:1], 0x0
	v_and_b32_e32 v4, 8, v6
	v_bfe_u32 v13, v6, 2, 1
	v_lshl_add_u32 v3, v8, 5, v6
	v_bfe_u32 v5, v6, 3, 1
	s_mul_hi_u32 s7, s7, s19
	v_lshrrev_b32_e32 v0, 1, v6
	v_or_b32_e32 v2, v13, v4
	v_lshrrev_b32_e32 v17, 4, v3
	v_mul_hi_u32_u24_e32 v3, 0x90, v5
	s_mul_hi_u32 s11, s11, s20
	s_mul_i32 s2, s17, s20
	v_or_b32_e32 v7, 4, v2
	v_or_b32_e32 v19, 6, v2
	v_mul_u32_u24_e32 v2, 0x90, v5
	s_mov_b32 s3, 0
	s_add_co_i32 s7, s19, s7
	v_dual_mov_b32 v10, 0 :: v_dual_and_b32 v9, 7, v6
	v_lshlrev_b32_e32 v1, 1, v6
	v_mad_co_u64_u32 v[2:3], null, 0x120, v17, v[2:3]
	s_add_co_i32 s11, s20, s11
	s_mul_u64 s[26:27], s[2:3], 36
	s_mul_i32 s2, s9, s19
	s_lshr_b32 s7, s7, s23
	v_lshrrev_b32_e32 v15, 1, v4
	v_and_b32_e32 v16, 5, v7
	v_lshrrev_b32_e32 v4, 1, v19
	v_lshrrev_b32_e32 v17, 1, v7
	v_lshlrev_b32_e32 v7, 3, v11
	v_and_b32_e32 v14, 4, v0
	s_lshr_b32 s11, s11, s24
	s_mul_u64 s[24:25], s[2:3], 36
	s_mul_i32 s2, s7, s8
	s_wait_kmcnt 0x0
	s_add_nc_u64 s[8:9], s[14:15], s[26:27]
	v_and_b32_e32 v12, 30, v1
	s_add_nc_u64 s[8:9], s[8:9], s[24:25]
	v_lshlrev_b32_e32 v26, 1, v9
	v_and_b32_e32 v20, 6, v4
	v_mad_co_u64_u32 v[4:5], null, s5, 3, v[7:8]
	v_mov_b32_e32 v5, 0
	v_mad_co_u64_u32 v[0:1], null, v14, 36, s[8:9]
	v_add_co_u32 v2, vcc_lo, s8, v2
	s_mul_i32 s4, s4, ttmp9
	v_and_b32_e32 v18, 7, v19
	v_and_b32_e32 v19, 3, v19
	v_lshlrev_b32_e32 v21, 2, v9
	v_add_co_ci_u32_e64 v3, null, s9, v3, vcc_lo
	v_add_nc_u32_e32 v22, s5, v7
	v_lshl_add_u32 v23, s5, 1, v7
	v_lshl_add_u32 v24, s5, 2, v7
	v_lshlrev_b32_e32 v26, 1, v26
	v_lshlrev_b32_e32 v27, 2, v9
	v_mov_b32_e32 v7, 0
	v_mov_b32_e32 v9, 0
	v_dual_mov_b32 v12, 0 :: v_dual_lshlrev_b32 v25, 1, v12
	s_mul_i32 s7, s11, s16
	s_wait_alu 0xfffe
	s_add_co_i32 s2, s2, s4
	s_delay_alu instid0(SALU_CYCLE_1)
	s_add_co_i32 s2, s7, s2
.LBB116_2:                              ; =>This Inner Loop Header: Depth=1
	v_mad_co_u64_u32 v[30:31], null, v22, 36, v[0:1]
	v_add_co_u32 v28, vcc_lo, v2, v21
	v_mad_co_u64_u32 v[32:33], null, v23, 36, v[0:1]
	v_add_nc_u32_e32 v38, s2, v11
	s_wait_alu 0xfffd
	v_add_co_ci_u32_e64 v29, null, 0, v3, vcc_lo
	v_mad_co_u64_u32 v[34:35], null, v4, 36, v[0:1]
	v_mad_co_u64_u32 v[36:37], null, v24, 36, v[0:1]
	global_load_b32 v58, v[2:3], off
	v_mad_co_i64_i32 v[38:39], null, 0x6e, v38, s[12:13]
	s_clause 0x3
	global_load_b32 v59, v[28:29], off offset:4
	global_load_b32 v60, v[28:29], off offset:40
	;; [unrolled: 1-line block ×4, first 2 shown]
	v_add_co_u32 v28, vcc_lo, v30, v27
	s_wait_alu 0xfffd
	v_add_co_ci_u32_e64 v29, null, 0, v31, vcc_lo
	v_add_co_u32 v40, vcc_lo, v32, v27
	s_wait_alu 0xfffd
	v_add_co_ci_u32_e64 v41, null, 0, v33, vcc_lo
	;; [unrolled: 3-line block ×10, first 2 shown]
	s_clause 0xf
	global_load_b32 v63, v[30:31], off
	global_load_b32 v64, v[28:29], off offset:4
	global_load_b32 v65, v[28:29], off offset:40
	;; [unrolled: 1-line block ×15, first 2 shown]
	s_clause 0x9
	global_load_u16 v38, v[38:39], off offset:108
	global_load_b32 v39, v[46:47], off offset:32
	global_load_b32 v46, v[48:49], off
	global_load_u8 v47, v[50:51], off offset:96
	global_load_u8 v48, v[50:51], off offset:104
	;; [unrolled: 1-line block ×7, first 2 shown]
	s_clause 0x3
	global_load_b32 v44, v[44:45], off offset:112
	global_load_b32 v45, v[32:33], off
	global_load_b32 v54, v[34:35], off
	;; [unrolled: 1-line block ×3, first 2 shown]
	global_load_b32 v56, v[2:3], off offset:36
	s_clause 0x3
	global_load_b32 v57, v[30:31], off offset:36
	global_load_b32 v73, v[32:33], off offset:36
	global_load_b32 v74, v[34:35], off offset:36
	global_load_b32 v75, v[36:37], off offset:36
	global_load_b32 v76, v[2:3], off offset:72
	s_clause 0x3
	global_load_b32 v77, v[30:31], off offset:72
	global_load_b32 v78, v[32:33], off offset:72
	global_load_b32 v79, v[34:35], off offset:72
	global_load_b32 v80, v[36:37], off offset:72
	;; [unrolled: 6-line block ×3, first 2 shown]
	v_add_nc_u32_e32 v11, 2, v11
	v_add_co_u32 v2, vcc_lo, 0x240, v2
	s_wait_alu 0xfffd
	v_add_co_ci_u32_e64 v3, null, 0, v3, vcc_lo
	s_delay_alu instid0(VALU_DEP_3)
	v_cmp_le_u32_e32 vcc_lo, s22, v11
	v_add_nc_u32_e32 v22, 16, v22
	v_add_nc_u32_e32 v23, 16, v23
	;; [unrolled: 1-line block ×4, first 2 shown]
	s_or_b32 s3, vcc_lo, s3
	s_wait_loadcnt 0x1b
	v_lshrrev_b32_e32 v82, 4, v39
	s_wait_loadcnt 0x1a
	v_ashrrev_i32_e32 v34, v14, v46
	s_wait_loadcnt 0x19
	v_bfe_u32 v35, v47, v15, 4
	s_wait_loadcnt 0x18
	v_lshrrev_b32_e32 v36, v15, v48
	v_lshrrev_b32_e32 v48, v17, v48
	s_wait_loadcnt 0x16
	v_bfe_u32 v52, v52, v15, 4
	v_not_b32_e32 v34, v34
	v_and_b32_e32 v87, 0x3030303, v82
	v_lshlrev_b32_e32 v36, 4, v36
	v_lshlrev_b32_e32 v48, 4, v48
	v_and_b32_e32 v37, 0x3030303, v39
	s_wait_loadcnt 0x15
	v_bfe_u32 v47, v50, v15, 4
	v_lshrrev_b16 v91, 8, v87
	v_and_or_b32 v35, v36, 48, v35
	v_and_or_b32 v48, v48, 48, v52
	v_and_b32_e32 v52, 0x4040404, v34
	v_lshlrev_b32_e32 v36, 2, v34
	v_lshrrev_b32_e32 v90, 16, v87
	v_lshrrev_b32_e32 v50, 2, v39
	v_lshrrev_b16 v85, 8, v37
	v_lshrrev_b16 v92, 8, v52
	v_and_b32_e32 v36, 0x4040404, v36
	v_sub_nc_u16 v87, v87, v52
	v_lshlrev_b32_e32 v89, 1, v34
	v_bfe_u32 v46, v39, 24, 2
	v_sub_nc_u16 v91, v91, v92
	v_lshrrev_b32_e32 v92, 24, v52
	v_lshrrev_b32_e32 v52, 16, v52
	;; [unrolled: 1-line block ×3, first 2 shown]
	s_wait_loadcnt 0x13
	v_lshrrev_b32_e32 v53, v20, v53
	v_lshrrev_b32_e32 v83, 6, v39
	;; [unrolled: 1-line block ×3, first 2 shown]
	v_sub_nc_u16 v52, v90, v52
	v_lshrrev_b16 v90, 8, v36
	v_and_b32_e32 v86, 0x3030303, v50
	v_lshrrev_b32_e32 v34, 1, v34
	v_and_b32_e32 v89, 0x4040404, v89
	v_sub_nc_u16 v37, v37, v36
	v_sub_nc_u16 v85, v85, v90
	v_lshrrev_b32_e32 v90, 24, v36
	v_lshrrev_b32_e32 v36, 16, v36
	v_bfe_u32 v51, v51, v15, 4
	v_lshlrev_b32_e32 v49, 4, v49
	v_bfe_u32 v50, v50, 24, 2
	v_bfe_u32 v82, v82, 24, 2
	v_lshlrev_b32_e32 v53, 4, v53
	v_and_b32_e32 v83, 0x3030303, v83
	v_lshrrev_b16 v88, 8, v86
	v_and_b32_e32 v34, 0x4040404, v34
	v_sub_nc_u16 v46, v46, v90
	v_lshrrev_b16 v90, 8, v89
	v_sub_nc_u16 v36, v84, v36
	v_lshrrev_b32_e32 v84, 24, v89
	v_lshrrev_b32_e32 v39, 30, v39
	v_and_or_b32 v47, v49, 48, v47
	v_lshrrev_b32_e32 v49, 16, v86
	v_and_or_b32 v51, v53, 48, v51
	v_lshrrev_b32_e32 v53, 16, v83
	v_sub_nc_u16 v82, v82, v92
	v_lshrrev_b16 v92, 8, v83
	v_sub_nc_u16 v86, v86, v89
	v_lshrrev_b32_e32 v89, 16, v89
	v_sub_nc_u16 v88, v88, v90
	v_lshrrev_b32_e32 v90, 16, v34
	v_sub_nc_u16 v50, v50, v84
	v_lshrrev_b32_e32 v84, 24, v34
	v_sub_nc_u16 v83, v83, v34
	v_lshrrev_b16 v34, 8, v34
	v_and_b32_e32 v87, 0xff, v87
	v_and_b32_e32 v37, 0xff, v37
	v_sub_nc_u16 v49, v49, v89
	v_lshlrev_b16 v89, 8, v91
	v_lshlrev_b16 v82, 8, v82
	v_and_b32_e32 v52, 0xff, v52
	v_sub_nc_u16 v34, v92, v34
	v_sub_nc_u16 v39, v39, v84
	;; [unrolled: 1-line block ×3, first 2 shown]
	v_lshlrev_b16 v84, 8, v85
	v_lshlrev_b16 v46, 8, v46
	v_and_b32_e32 v36, 0xff, v36
	v_and_b32_e32 v86, 0xff, v86
	;; [unrolled: 1-line block ×3, first 2 shown]
	v_lshlrev_b16 v85, 8, v88
	v_lshlrev_b16 v50, 8, v50
	v_and_b32_e32 v49, 0xff, v49
	v_or_b32_e32 v87, v87, v89
	v_or_b32_e32 v52, v52, v82
	v_lshlrev_b16 v34, 8, v34
	v_lshlrev_b16 v39, 8, v39
	v_and_b32_e32 v53, 0xff, v53
	v_or_b32_e32 v37, v37, v84
	v_or_b32_e32 v36, v36, v46
	v_or_b32_e32 v46, v86, v85
	v_or_b32_e32 v49, v49, v50
	v_and_b32_e32 v50, 0xffff, v87
	v_lshlrev_b32_e32 v52, 16, v52
	v_or_b32_e32 v34, v83, v34
	v_or_b32_e32 v39, v53, v39
	v_and_b32_e32 v37, 0xffff, v37
	v_lshlrev_b32_e32 v36, 16, v36
	v_and_b32_e32 v46, 0xffff, v46
	v_lshlrev_b32_e32 v49, 16, v49
	;; [unrolled: 2-line block ×3, first 2 shown]
	v_or_b32_e32 v50, v50, v52
	v_or_b32_e32 v36, v37, v36
	v_subrev_nc_u32_e32 v35, 32, v35
	v_subrev_nc_u32_e32 v48, 32, v48
	v_or_b32_e32 v37, v46, v49
	v_or_b32_e32 v34, v34, v39
	v_dot4_i32_iu8 v39, v50, v61, 0 neg_lo:[1,1,0]
	v_dot4_i32_iu8 v46, v50, v66, 0 neg_lo:[1,1,0]
	;; [unrolled: 1-line block ×10, first 2 shown]
	v_subrev_nc_u32_e32 v47, 32, v47
	v_subrev_nc_u32_e32 v51, 32, v51
	v_dot4_i32_iu8 v59, v37, v60, 0 neg_lo:[1,1,0]
	v_mul_lo_u32 v39, v48, v39
	v_dot4_i32_iu8 v60, v34, v62, 0 neg_lo:[1,1,0]
	v_dot4_i32_iu8 v62, v37, v65, 0 neg_lo:[1,1,0]
	;; [unrolled: 1-line block ×5, first 2 shown]
	v_mul_lo_u32 v46, v48, v46
	v_mul_lo_u32 v49, v48, v49
	v_dot4_i32_iu8 v65, v37, v69, 0 neg_lo:[1,1,0]
	v_dot4_i32_iu8 v42, v34, v42, 0 neg_lo:[1,1,0]
	;; [unrolled: 1-line block ×3, first 2 shown]
	s_wait_loadcnt 0x12
	v_dot4_i32_iu8 v34, v34, v44, 0 neg_lo:[1,1,0]
	v_mul_lo_u32 v43, v48, v52
	v_mul_lo_u32 v44, v48, v50
	;; [unrolled: 1-line block ×17, first 2 shown]
	v_cvt_f32_i32_e32 v48, v48
	v_cvt_f32_i32_e32 v29, v29
	;; [unrolled: 1-line block ×12, first 2 shown]
	v_fma_mix_f32 v48, v58, v48, 0 op_sel_hi:[1,0,0]
	v_fma_mix_f32 v51, v63, v51, 0 op_sel_hi:[1,0,0]
	s_wait_loadcnt 0x11
	v_fma_mix_f32 v29, v45, v29, 0 op_sel_hi:[1,0,0]
	s_wait_loadcnt 0x10
	;; [unrolled: 2-line block ×3, first 2 shown]
	v_fma_mix_f32 v35, v55, v35, 0 op_sel_hi:[1,0,0]
	v_cvt_f32_i32_e32 v39, v39
	v_cvt_f32_i32_e32 v46, v46
	;; [unrolled: 1-line block ×4, first 2 shown]
	s_wait_loadcnt 0xe
	v_fma_mix_f32 v45, v56, v49, v48 op_sel_hi:[1,0,0]
	s_wait_loadcnt 0xd
	v_fma_mix_f32 v48, v57, v52, v51 op_sel_hi:[1,0,0]
	;; [unrolled: 2-line block ×5, first 2 shown]
	v_cvt_f32_i32_e32 v28, v28
	v_cvt_f32_i32_e32 v40, v40
	;; [unrolled: 1-line block ×4, first 2 shown]
	s_wait_loadcnt 0x9
	v_fma_mix_f32 v36, v76, v39, v45 op_sel_hi:[1,0,0]
	s_wait_loadcnt 0x8
	v_fma_mix_f32 v39, v77, v46, v48 op_sel_hi:[1,0,0]
	;; [unrolled: 2-line block ×10, first 2 shown]
	v_fma_mix_f32 v10, v36, v38, v10 op_sel_hi:[0,1,0]
	v_fma_mix_f32 v12, v28, v38, v12 op_sel_hi:[0,1,0]
	;; [unrolled: 1-line block ×5, first 2 shown]
	s_wait_alu 0xfffe
	s_and_not1_b32 exec_lo, exec_lo, s3
	s_cbranch_execnz .LBB116_2
; %bb.3:
	s_or_b32 exec_lo, exec_lo, s3
.LBB116_4:
	s_delay_alu instid0(SALU_CYCLE_1)
	s_or_b32 exec_lo, exec_lo, s21
	s_mov_b32 s3, 0
	; wave barrier
	global_inv scope:SCOPE_SE
	s_mov_b32 s2, exec_lo
	v_cmpx_eq_u32_e32 0, v8
	s_cbranch_execz .LBB116_15
; %bb.5:
	v_mbcnt_lo_u32_b32 v4, -1, 0
	s_load_b64 s[0:1], s[0:1], 0x38
	s_mul_i32 s2, s10, s19
	s_mul_i32 s4, s18, s20
	s_wait_alu 0xfffe
	s_add_co_i32 s2, s2, ttmp9
	v_xor_b32_e32 v0, 16, v4
	v_xor_b32_e32 v1, 8, v4
	;; [unrolled: 1-line block ×3, first 2 shown]
	s_wait_alu 0xfffe
	s_add_co_i32 s2, s2, s4
	s_wait_alu 0xfffe
	s_lshl_b64 s[2:3], s[2:3], 2
	v_cmp_gt_i32_e32 vcc_lo, 32, v0
	s_wait_alu 0xfffd
	v_cndmask_b32_e32 v0, v4, v0, vcc_lo
	v_cmp_gt_i32_e32 vcc_lo, 32, v1
	s_wait_kmcnt 0x0
	s_wait_alu 0xfffe
	s_add_nc_u64 s[0:1], s[0:1], s[2:3]
	s_wait_alu 0xfffd
	v_cndmask_b32_e32 v1, v4, v1, vcc_lo
	s_delay_alu instid0(VALU_DEP_1)
	v_lshlrev_b32_e32 v1, 2, v1
	v_lshlrev_b32_e32 v0, 2, v0
	ds_bpermute_b32 v2, v0, v10
	s_wait_dscnt 0x0
	v_add_f32_e32 v3, v10, v2
	v_xor_b32_e32 v2, 4, v4
	ds_bpermute_b32 v8, v1, v3
	v_cmp_gt_i32_e32 vcc_lo, 32, v2
	s_wait_alu 0xfffd
	v_cndmask_b32_e32 v2, v4, v2, vcc_lo
	s_wait_dscnt 0x0
	v_add_f32_e32 v8, v3, v8
	v_xor_b32_e32 v3, 2, v4
	s_delay_alu instid0(VALU_DEP_1) | instskip(SKIP_3) | instid1(VALU_DEP_2)
	v_cmp_gt_i32_e32 vcc_lo, 32, v3
	s_wait_alu 0xfffd
	v_cndmask_b32_e32 v3, v4, v3, vcc_lo
	v_cmp_gt_i32_e32 vcc_lo, 32, v11
	v_lshlrev_b32_e32 v3, 2, v3
	v_lshlrev_b32_e32 v2, 2, v2
	s_wait_alu 0xfffd
	v_cndmask_b32_e32 v4, v4, v11, vcc_lo
	v_cmp_eq_u32_e32 vcc_lo, 0, v6
	ds_bpermute_b32 v10, v2, v8
	v_lshlrev_b32_e32 v4, 2, v4
	s_wait_dscnt 0x0
	v_add_f32_e32 v8, v8, v10
	ds_bpermute_b32 v10, v3, v8
	s_wait_dscnt 0x0
	v_add_f32_e32 v8, v8, v10
	ds_bpermute_b32 v10, v4, v8
	s_and_saveexec_b32 s2, vcc_lo
	s_cbranch_execz .LBB116_7
; %bb.6:
	s_wait_dscnt 0x0
	v_add_f32_e32 v6, v8, v10
	v_mov_b32_e32 v8, 0
	global_store_b32 v8, v6, s[0:1]
.LBB116_7:
	s_wait_alu 0xfffe
	s_or_b32 exec_lo, exec_lo, s2
	ds_bpermute_b32 v6, v0, v12
	s_wait_dscnt 0x0
	v_add_f32_e32 v6, v12, v6
	ds_bpermute_b32 v8, v1, v6
	s_wait_dscnt 0x0
	v_add_f32_e32 v6, v6, v8
	;; [unrolled: 3-line block ×4, first 2 shown]
	ds_bpermute_b32 v8, v4, v6
	s_and_saveexec_b32 s2, vcc_lo
	s_cbranch_execz .LBB116_9
; %bb.8:
	s_mov_b32 s7, 0
	s_wait_dscnt 0x0
	v_add_f32_e32 v6, v6, v8
	v_mov_b32_e32 v8, 0
	s_lshl_b64 s[4:5], s[6:7], 2
	s_wait_alu 0xfffe
	s_add_nc_u64 s[4:5], s[0:1], s[4:5]
	global_store_b32 v8, v6, s[4:5]
.LBB116_9:
	s_wait_alu 0xfffe
	s_or_b32 exec_lo, exec_lo, s2
	ds_bpermute_b32 v6, v0, v9
	s_wait_dscnt 0x0
	v_add_f32_e32 v6, v9, v6
	ds_bpermute_b32 v8, v1, v6
	s_wait_dscnt 0x0
	v_add_f32_e32 v6, v6, v8
	;; [unrolled: 3-line block ×4, first 2 shown]
	ds_bpermute_b32 v8, v4, v6
	s_and_saveexec_b32 s2, vcc_lo
	s_cbranch_execz .LBB116_11
; %bb.10:
	s_lshl_b32 s4, s6, 1
	s_mov_b32 s5, 0
	s_wait_dscnt 0x0
	v_add_f32_e32 v6, v6, v8
	v_mov_b32_e32 v8, 0
	s_wait_alu 0xfffe
	s_lshl_b64 s[4:5], s[4:5], 2
	s_wait_alu 0xfffe
	s_add_nc_u64 s[4:5], s[0:1], s[4:5]
	global_store_b32 v8, v6, s[4:5]
.LBB116_11:
	s_wait_alu 0xfffe
	s_or_b32 exec_lo, exec_lo, s2
	ds_bpermute_b32 v6, v0, v7
	s_wait_dscnt 0x0
	v_add_f32_e32 v6, v7, v6
	ds_bpermute_b32 v7, v1, v6
	s_wait_dscnt 0x0
	v_add_f32_e32 v6, v6, v7
	;; [unrolled: 3-line block ×4, first 2 shown]
	ds_bpermute_b32 v7, v4, v6
	s_and_saveexec_b32 s2, vcc_lo
	s_cbranch_execz .LBB116_13
; %bb.12:
	s_mul_i32 s4, s6, 3
	s_mov_b32 s5, 0
	s_wait_dscnt 0x0
	v_dual_add_f32 v6, v6, v7 :: v_dual_mov_b32 v7, 0
	s_wait_alu 0xfffe
	s_lshl_b64 s[4:5], s[4:5], 2
	s_wait_alu 0xfffe
	s_add_nc_u64 s[4:5], s[0:1], s[4:5]
	global_store_b32 v7, v6, s[4:5]
.LBB116_13:
	s_wait_alu 0xfffe
	s_or_b32 exec_lo, exec_lo, s2
	ds_bpermute_b32 v0, v0, v5
	s_wait_dscnt 0x0
	v_add_f32_e32 v0, v5, v0
	ds_bpermute_b32 v1, v1, v0
	s_wait_dscnt 0x0
	v_add_f32_e32 v0, v0, v1
	;; [unrolled: 3-line block ×4, first 2 shown]
	ds_bpermute_b32 v1, v4, v0
	s_and_b32 exec_lo, exec_lo, vcc_lo
	s_cbranch_execz .LBB116_15
; %bb.14:
	s_lshl_b32 s2, s6, 2
	s_mov_b32 s3, 0
	s_wait_dscnt 0x0
	v_dual_add_f32 v0, v0, v1 :: v_dual_mov_b32 v1, 0
	s_wait_alu 0xfffe
	s_lshl_b64 s[2:3], s[2:3], 2
	s_wait_alu 0xfffe
	s_add_nc_u64 s[0:1], s[0:1], s[2:3]
	global_store_b32 v1, v0, s[0:1]
.LBB116_15:
	s_endpgm
	.section	.rodata,"a",@progbits
	.p2align	6, 0x0
	.amdhsa_kernel _ZL13mul_mat_vec_qIL9ggml_type11ELi5ELb0ELb0EEvPKvS2_PKi31ggml_cuda_mm_fusion_args_devicePfj15HIP_vector_typeIjLj3EEjjjS8_jjjS8_jjjj
		.amdhsa_group_segment_fixed_size 0
		.amdhsa_private_segment_fixed_size 0
		.amdhsa_kernarg_size 144
		.amdhsa_user_sgpr_count 2
		.amdhsa_user_sgpr_dispatch_ptr 0
		.amdhsa_user_sgpr_queue_ptr 0
		.amdhsa_user_sgpr_kernarg_segment_ptr 1
		.amdhsa_user_sgpr_dispatch_id 0
		.amdhsa_user_sgpr_private_segment_size 0
		.amdhsa_wavefront_size32 1
		.amdhsa_uses_dynamic_stack 0
		.amdhsa_enable_private_segment 0
		.amdhsa_system_sgpr_workgroup_id_x 1
		.amdhsa_system_sgpr_workgroup_id_y 1
		.amdhsa_system_sgpr_workgroup_id_z 1
		.amdhsa_system_sgpr_workgroup_info 0
		.amdhsa_system_vgpr_workitem_id 1
		.amdhsa_next_free_vgpr 93
		.amdhsa_next_free_sgpr 28
		.amdhsa_reserve_vcc 1
		.amdhsa_float_round_mode_32 0
		.amdhsa_float_round_mode_16_64 0
		.amdhsa_float_denorm_mode_32 3
		.amdhsa_float_denorm_mode_16_64 3
		.amdhsa_fp16_overflow 0
		.amdhsa_workgroup_processor_mode 1
		.amdhsa_memory_ordered 1
		.amdhsa_forward_progress 1
		.amdhsa_inst_pref_size 29
		.amdhsa_round_robin_scheduling 0
		.amdhsa_exception_fp_ieee_invalid_op 0
		.amdhsa_exception_fp_denorm_src 0
		.amdhsa_exception_fp_ieee_div_zero 0
		.amdhsa_exception_fp_ieee_overflow 0
		.amdhsa_exception_fp_ieee_underflow 0
		.amdhsa_exception_fp_ieee_inexact 0
		.amdhsa_exception_int_div_zero 0
	.end_amdhsa_kernel
	.section	.text._ZL13mul_mat_vec_qIL9ggml_type11ELi5ELb0ELb0EEvPKvS2_PKi31ggml_cuda_mm_fusion_args_devicePfj15HIP_vector_typeIjLj3EEjjjS8_jjjS8_jjjj,"axG",@progbits,_ZL13mul_mat_vec_qIL9ggml_type11ELi5ELb0ELb0EEvPKvS2_PKi31ggml_cuda_mm_fusion_args_devicePfj15HIP_vector_typeIjLj3EEjjjS8_jjjS8_jjjj,comdat
.Lfunc_end116:
	.size	_ZL13mul_mat_vec_qIL9ggml_type11ELi5ELb0ELb0EEvPKvS2_PKi31ggml_cuda_mm_fusion_args_devicePfj15HIP_vector_typeIjLj3EEjjjS8_jjjS8_jjjj, .Lfunc_end116-_ZL13mul_mat_vec_qIL9ggml_type11ELi5ELb0ELb0EEvPKvS2_PKi31ggml_cuda_mm_fusion_args_devicePfj15HIP_vector_typeIjLj3EEjjjS8_jjjS8_jjjj
                                        ; -- End function
	.set _ZL13mul_mat_vec_qIL9ggml_type11ELi5ELb0ELb0EEvPKvS2_PKi31ggml_cuda_mm_fusion_args_devicePfj15HIP_vector_typeIjLj3EEjjjS8_jjjS8_jjjj.num_vgpr, 93
	.set _ZL13mul_mat_vec_qIL9ggml_type11ELi5ELb0ELb0EEvPKvS2_PKi31ggml_cuda_mm_fusion_args_devicePfj15HIP_vector_typeIjLj3EEjjjS8_jjjS8_jjjj.num_agpr, 0
	.set _ZL13mul_mat_vec_qIL9ggml_type11ELi5ELb0ELb0EEvPKvS2_PKi31ggml_cuda_mm_fusion_args_devicePfj15HIP_vector_typeIjLj3EEjjjS8_jjjS8_jjjj.numbered_sgpr, 28
	.set _ZL13mul_mat_vec_qIL9ggml_type11ELi5ELb0ELb0EEvPKvS2_PKi31ggml_cuda_mm_fusion_args_devicePfj15HIP_vector_typeIjLj3EEjjjS8_jjjS8_jjjj.num_named_barrier, 0
	.set _ZL13mul_mat_vec_qIL9ggml_type11ELi5ELb0ELb0EEvPKvS2_PKi31ggml_cuda_mm_fusion_args_devicePfj15HIP_vector_typeIjLj3EEjjjS8_jjjS8_jjjj.private_seg_size, 0
	.set _ZL13mul_mat_vec_qIL9ggml_type11ELi5ELb0ELb0EEvPKvS2_PKi31ggml_cuda_mm_fusion_args_devicePfj15HIP_vector_typeIjLj3EEjjjS8_jjjS8_jjjj.uses_vcc, 1
	.set _ZL13mul_mat_vec_qIL9ggml_type11ELi5ELb0ELb0EEvPKvS2_PKi31ggml_cuda_mm_fusion_args_devicePfj15HIP_vector_typeIjLj3EEjjjS8_jjjS8_jjjj.uses_flat_scratch, 0
	.set _ZL13mul_mat_vec_qIL9ggml_type11ELi5ELb0ELb0EEvPKvS2_PKi31ggml_cuda_mm_fusion_args_devicePfj15HIP_vector_typeIjLj3EEjjjS8_jjjS8_jjjj.has_dyn_sized_stack, 0
	.set _ZL13mul_mat_vec_qIL9ggml_type11ELi5ELb0ELb0EEvPKvS2_PKi31ggml_cuda_mm_fusion_args_devicePfj15HIP_vector_typeIjLj3EEjjjS8_jjjS8_jjjj.has_recursion, 0
	.set _ZL13mul_mat_vec_qIL9ggml_type11ELi5ELb0ELb0EEvPKvS2_PKi31ggml_cuda_mm_fusion_args_devicePfj15HIP_vector_typeIjLj3EEjjjS8_jjjS8_jjjj.has_indirect_call, 0
	.section	.AMDGPU.csdata,"",@progbits
; Kernel info:
; codeLenInByte = 3676
; TotalNumSgprs: 30
; NumVgprs: 93
; ScratchSize: 0
; MemoryBound: 0
; FloatMode: 240
; IeeeMode: 1
; LDSByteSize: 0 bytes/workgroup (compile time only)
; SGPRBlocks: 0
; VGPRBlocks: 11
; NumSGPRsForWavesPerEU: 30
; NumVGPRsForWavesPerEU: 93
; Occupancy: 16
; WaveLimiterHint : 0
; COMPUTE_PGM_RSRC2:SCRATCH_EN: 0
; COMPUTE_PGM_RSRC2:USER_SGPR: 2
; COMPUTE_PGM_RSRC2:TRAP_HANDLER: 0
; COMPUTE_PGM_RSRC2:TGID_X_EN: 1
; COMPUTE_PGM_RSRC2:TGID_Y_EN: 1
; COMPUTE_PGM_RSRC2:TGID_Z_EN: 1
; COMPUTE_PGM_RSRC2:TIDIG_COMP_CNT: 1
	.section	.text._ZL13mul_mat_vec_qIL9ggml_type11ELi6ELb0ELb0EEvPKvS2_PKi31ggml_cuda_mm_fusion_args_devicePfj15HIP_vector_typeIjLj3EEjjjS8_jjjS8_jjjj,"axG",@progbits,_ZL13mul_mat_vec_qIL9ggml_type11ELi6ELb0ELb0EEvPKvS2_PKi31ggml_cuda_mm_fusion_args_devicePfj15HIP_vector_typeIjLj3EEjjjS8_jjjS8_jjjj,comdat
	.globl	_ZL13mul_mat_vec_qIL9ggml_type11ELi6ELb0ELb0EEvPKvS2_PKi31ggml_cuda_mm_fusion_args_devicePfj15HIP_vector_typeIjLj3EEjjjS8_jjjS8_jjjj ; -- Begin function _ZL13mul_mat_vec_qIL9ggml_type11ELi6ELb0ELb0EEvPKvS2_PKi31ggml_cuda_mm_fusion_args_devicePfj15HIP_vector_typeIjLj3EEjjjS8_jjjS8_jjjj
	.p2align	8
	.type	_ZL13mul_mat_vec_qIL9ggml_type11ELi6ELb0ELb0EEvPKvS2_PKi31ggml_cuda_mm_fusion_args_devicePfj15HIP_vector_typeIjLj3EEjjjS8_jjjS8_jjjj,@function
_ZL13mul_mat_vec_qIL9ggml_type11ELi6ELb0ELb0EEvPKvS2_PKi31ggml_cuda_mm_fusion_args_devicePfj15HIP_vector_typeIjLj3EEjjjS8_jjjS8_jjjj: ; @_ZL13mul_mat_vec_qIL9ggml_type11ELi6ELb0ELb0EEvPKvS2_PKi31ggml_cuda_mm_fusion_args_devicePfj15HIP_vector_typeIjLj3EEjjjS8_jjjS8_jjjj
; %bb.0:
	s_clause 0x5
	s_load_b96 s[16:18], s[0:1], 0x80
	s_load_b32 s2, s[0:1], 0x40
	s_load_b128 s[4:7], s[0:1], 0x50
	s_load_b32 s23, s[0:1], 0x60
	s_load_b128 s[8:11], s[0:1], 0x68
	s_load_b32 s24, s[0:1], 0x78
	v_bfe_u32 v10, v0, 10, 10
	v_dual_mov_b32 v7, 0 :: v_dual_and_b32 v8, 0x3ff, v0
	v_dual_mov_b32 v6, 0 :: v_dual_mov_b32 v9, 0
	v_mov_b32_e32 v11, 0
	s_delay_alu instid0(VALU_DEP_3)
	v_lshl_or_b32 v0, v10, 5, v8
	v_mov_b32_e32 v13, 0
	v_mov_b32_e32 v15, 0
	s_and_b32 s19, ttmp7, 0xffff
	s_lshr_b32 s20, ttmp7, 16
	v_lshrrev_b32_e32 v12, 4, v0
	s_mov_b32 s21, exec_lo
	s_wait_kmcnt 0x0
	s_lshr_b32 s22, s2, 8
	s_delay_alu instid0(VALU_DEP_1) | instid1(SALU_CYCLE_1)
	v_cmpx_gt_u32_e64 s22, v12
	s_cbranch_execz .LBB117_4
; %bb.1:
	s_load_b128 s[12:15], s[0:1], 0x0
	v_dual_mov_b32 v7, 0 :: v_dual_and_b32 v4, 8, v8
	v_bfe_u32 v14, v8, 2, 1
	v_lshl_add_u32 v3, v10, 5, v8
	v_bfe_u32 v5, v8, 3, 1
	s_mul_hi_u32 s7, s7, s19
	v_lshrrev_b32_e32 v0, 1, v8
	v_or_b32_e32 v2, v14, v4
	v_lshrrev_b32_e32 v19, 4, v3
	v_mul_hi_u32_u24_e32 v3, 0x90, v5
	v_lshlrev_b32_e32 v1, 1, v8
	v_lshrrev_b32_e32 v17, 1, v4
	v_or_b32_e32 v6, 4, v2
	v_or_b32_e32 v15, 6, v2
	v_mul_u32_u24_e32 v2, 0x90, v5
	s_mul_hi_u32 s11, s11, s20
	s_mul_i32 s2, s17, s20
	v_and_b32_e32 v18, 5, v6
	v_lshrrev_b32_e32 v4, 1, v15
	v_mad_co_u64_u32 v[2:3], null, 0x120, v19, v[2:3]
	v_lshrrev_b32_e32 v19, 1, v6
	v_lshlrev_b32_e32 v6, 3, v12
	s_mov_b32 s3, 0
	s_add_co_i32 s7, s19, s7
	v_and_b32_e32 v9, 7, v8
	s_add_co_i32 s11, s20, s11
	s_mul_u64 s[26:27], s[2:3], 36
	s_mul_i32 s2, s9, s19
	s_lshr_b32 s7, s7, s23
	v_and_b32_e32 v16, 4, v0
	v_and_b32_e32 v11, 30, v1
	s_lshr_b32 s11, s11, s24
	s_mul_u64 s[24:25], s[2:3], 36
	s_mul_i32 s2, s7, s8
	s_wait_kmcnt 0x0
	s_add_nc_u64 s[8:9], s[14:15], s[26:27]
	v_and_b32_e32 v22, 6, v4
	v_mad_co_u64_u32 v[4:5], null, s5, 3, v[6:7]
	v_add_nc_u32_e32 v24, s5, v6
	v_lshl_add_u32 v25, s5, 1, v6
	v_lshl_add_u32 v26, s5, 2, v6
	v_mad_co_u64_u32 v[5:6], null, s5, 5, v[6:7]
	s_add_nc_u64 s[8:9], s[8:9], s[24:25]
	v_dual_mov_b32 v6, 0 :: v_dual_lshlrev_b32 v13, 1, v9
	v_lshlrev_b32_e32 v27, 1, v11
	v_mov_b32_e32 v11, 0
	v_mad_co_u64_u32 v[0:1], null, v16, 36, s[8:9]
	v_add_co_u32 v2, vcc_lo, s8, v2
	s_mul_i32 s4, s4, ttmp9
	v_and_b32_e32 v20, 7, v15
	v_and_b32_e32 v21, 3, v15
	v_lshlrev_b32_e32 v23, 2, v9
	v_add_co_ci_u32_e64 v3, null, s9, v3, vcc_lo
	v_lshlrev_b32_e32 v28, 1, v13
	v_lshlrev_b32_e32 v29, 2, v9
	v_mov_b32_e32 v9, 0
	v_mov_b32_e32 v15, 0
	;; [unrolled: 1-line block ×3, first 2 shown]
	s_mul_i32 s7, s11, s16
	s_wait_alu 0xfffe
	s_add_co_i32 s2, s2, s4
	s_delay_alu instid0(SALU_CYCLE_1)
	s_add_co_i32 s2, s7, s2
.LBB117_2:                              ; =>This Inner Loop Header: Depth=1
	s_delay_alu instid0(SALU_CYCLE_1) | instskip(SKIP_1) | instid1(VALU_DEP_2)
	v_add_nc_u32_e32 v30, s2, v12
	v_add_nc_u32_e32 v12, 2, v12
	v_mad_co_i64_i32 v[38:39], null, 0x6e, v30, s[12:13]
	s_delay_alu instid0(VALU_DEP_1) | instskip(SKIP_1) | instid1(VALU_DEP_2)
	v_add_co_u32 v31, vcc_lo, v38, v27
	s_wait_alu 0xfffd
	v_add_co_ci_u32_e64 v32, null, 0, v39, vcc_lo
	s_clause 0x1
	global_load_u16 v30, v[38:39], off offset:108
	global_load_b32 v42, v[31:32], off offset:32
	v_add_co_u32 v31, vcc_lo, v38, v28
	s_wait_alu 0xfffd
	v_add_co_ci_u32_e64 v32, null, 0, v39, vcc_lo
	v_add_co_u32 v34, vcc_lo, v38, v14
	s_wait_alu 0xfffd
	v_add_co_ci_u32_e64 v35, null, 0, v39, vcc_lo
	s_clause 0x1
	global_load_b32 v31, v[31:32], off
	global_load_u8 v40, v[34:35], off offset:104
	s_wait_loadcnt 0x2
	v_bfe_u32 v36, v42, 24, 2
	s_wait_loadcnt 0x1
	v_ashrrev_i32_e32 v31, v16, v31
	s_wait_loadcnt 0x0
	v_lshrrev_b32_e32 v32, v17, v40
	s_delay_alu instid0(VALU_DEP_2) | instskip(SKIP_3) | instid1(VALU_DEP_1)
	v_not_b32_e32 v43, v31
	global_load_u8 v31, v[34:35], off offset:96
	v_lshlrev_b32_e32 v32, 4, v32
	v_lshlrev_b32_e32 v41, 2, v43
	v_and_b32_e32 v41, 0x4040404, v41
	s_delay_alu instid0(VALU_DEP_1) | instskip(SKIP_2) | instid1(VALU_DEP_2)
	v_lshrrev_b32_e32 v44, 16, v41
	v_lshrrev_b32_e32 v45, 24, v41
	v_lshrrev_b16 v46, 8, v41
	v_sub_nc_u16 v36, v36, v45
	s_delay_alu instid0(VALU_DEP_1) | instskip(SKIP_2) | instid1(VALU_DEP_1)
	v_lshlrev_b16 v36, 8, v36
	s_wait_loadcnt 0x0
	v_bfe_u32 v31, v31, v17, 4
	v_and_or_b32 v31, v32, 48, v31
	v_and_b32_e32 v32, 0x3030303, v42
	s_delay_alu instid0(VALU_DEP_2) | instskip(NEXT) | instid1(VALU_DEP_2)
	v_subrev_nc_u32_e32 v31, 32, v31
	v_lshrrev_b32_e32 v33, 16, v32
	v_lshrrev_b16 v37, 8, v32
	v_sub_nc_u16 v32, v32, v41
	v_lshlrev_b32_e32 v41, 1, v43
	s_delay_alu instid0(VALU_DEP_4) | instskip(NEXT) | instid1(VALU_DEP_4)
	v_sub_nc_u16 v33, v33, v44
	v_sub_nc_u16 v37, v37, v46
	s_delay_alu instid0(VALU_DEP_4) | instskip(NEXT) | instid1(VALU_DEP_4)
	v_and_b32_e32 v32, 0xff, v32
	v_and_b32_e32 v41, 0x4040404, v41
	s_delay_alu instid0(VALU_DEP_4) | instskip(NEXT) | instid1(VALU_DEP_4)
	v_and_b32_e32 v33, 0xff, v33
	v_lshlrev_b16 v37, 8, v37
	s_delay_alu instid0(VALU_DEP_3) | instskip(SKIP_1) | instid1(VALU_DEP_4)
	v_lshrrev_b32_e32 v44, 16, v41
	v_lshrrev_b32_e32 v45, 24, v41
	v_or_b32_e32 v33, v33, v36
	s_delay_alu instid0(VALU_DEP_4) | instskip(SKIP_1) | instid1(VALU_DEP_3)
	v_or_b32_e32 v32, v32, v37
	v_lshrrev_b16 v46, 8, v41
	v_lshlrev_b32_e32 v33, 16, v33
	s_delay_alu instid0(VALU_DEP_3) | instskip(NEXT) | instid1(VALU_DEP_1)
	v_and_b32_e32 v32, 0xffff, v32
	v_or_b32_e32 v33, v32, v33
	s_clause 0x1
	global_load_u8 v32, v[34:35], off offset:98
	global_load_u8 v34, v[34:35], off offset:106
	s_wait_loadcnt 0x1
	v_bfe_u32 v32, v32, v17, 4
	s_wait_loadcnt 0x0
	v_lshrrev_b32_e32 v34, v17, v34
	s_delay_alu instid0(VALU_DEP_1) | instskip(NEXT) | instid1(VALU_DEP_1)
	v_lshlrev_b32_e32 v34, 4, v34
	v_and_or_b32 v32, v34, 48, v32
	v_lshrrev_b32_e32 v34, 2, v42
	s_delay_alu instid0(VALU_DEP_2) | instskip(NEXT) | instid1(VALU_DEP_2)
	v_subrev_nc_u32_e32 v32, 32, v32
	v_and_b32_e32 v35, 0x3030303, v34
	v_bfe_u32 v34, v34, 24, 2
	s_delay_alu instid0(VALU_DEP_2) | instskip(SKIP_2) | instid1(VALU_DEP_4)
	v_lshrrev_b32_e32 v36, 16, v35
	v_lshrrev_b16 v37, 8, v35
	v_sub_nc_u16 v35, v35, v41
	v_sub_nc_u16 v34, v34, v45
	s_delay_alu instid0(VALU_DEP_4) | instskip(NEXT) | instid1(VALU_DEP_4)
	v_sub_nc_u16 v36, v36, v44
	v_sub_nc_u16 v37, v37, v46
	s_delay_alu instid0(VALU_DEP_4) | instskip(NEXT) | instid1(VALU_DEP_4)
	v_and_b32_e32 v35, 0xff, v35
	v_lshlrev_b16 v34, 8, v34
	v_and_b32_e32 v44, 0x4040404, v43
	v_and_b32_e32 v36, 0xff, v36
	v_lshlrev_b16 v37, 8, v37
	s_delay_alu instid0(VALU_DEP_3) | instskip(NEXT) | instid1(VALU_DEP_3)
	v_lshrrev_b32_e32 v45, 16, v44
	v_or_b32_e32 v34, v36, v34
	s_delay_alu instid0(VALU_DEP_3) | instskip(SKIP_3) | instid1(VALU_DEP_3)
	v_or_b32_e32 v35, v35, v37
	v_add_co_u32 v36, vcc_lo, v38, v18
	s_wait_alu 0xfffd
	v_add_co_ci_u32_e64 v37, null, 0, v39, vcc_lo
	v_and_b32_e32 v35, 0xffff, v35
	v_lshlrev_b32_e32 v34, 16, v34
	v_lshrrev_b32_e32 v46, 24, v44
	v_lshrrev_b16 v47, 8, v44
	s_delay_alu instid0(VALU_DEP_3) | instskip(SKIP_2) | instid1(VALU_DEP_1)
	v_or_b32_e32 v35, v35, v34
	global_load_u8 v34, v[36:37], off offset:96
	v_lshrrev_b32_e32 v36, v19, v40
	v_lshlrev_b32_e32 v36, 4, v36
	s_wait_loadcnt 0x0
	v_bfe_u32 v34, v34, v17, 4
	s_delay_alu instid0(VALU_DEP_1) | instskip(SKIP_1) | instid1(VALU_DEP_2)
	v_and_or_b32 v34, v36, 48, v34
	v_lshrrev_b32_e32 v36, 4, v42
	v_subrev_nc_u32_e32 v34, 32, v34
	s_delay_alu instid0(VALU_DEP_2) | instskip(SKIP_1) | instid1(VALU_DEP_2)
	v_and_b32_e32 v37, 0x3030303, v36
	v_bfe_u32 v36, v36, 24, 2
	v_lshrrev_b32_e32 v40, 16, v37
	v_lshrrev_b16 v41, 8, v37
	v_sub_nc_u16 v37, v37, v44
	s_delay_alu instid0(VALU_DEP_4) | instskip(NEXT) | instid1(VALU_DEP_4)
	v_sub_nc_u16 v36, v36, v46
	v_sub_nc_u16 v40, v40, v45
	s_delay_alu instid0(VALU_DEP_4) | instskip(NEXT) | instid1(VALU_DEP_4)
	v_sub_nc_u16 v41, v41, v47
	v_and_b32_e32 v37, 0xff, v37
	s_delay_alu instid0(VALU_DEP_4) | instskip(NEXT) | instid1(VALU_DEP_4)
	v_lshlrev_b16 v36, 8, v36
	v_and_b32_e32 v40, 0xff, v40
	s_delay_alu instid0(VALU_DEP_4) | instskip(NEXT) | instid1(VALU_DEP_2)
	v_lshlrev_b16 v41, 8, v41
	v_or_b32_e32 v36, v40, v36
	s_delay_alu instid0(VALU_DEP_2)
	v_or_b32_e32 v37, v37, v41
	v_add_co_u32 v40, vcc_lo, v38, v20
	s_wait_alu 0xfffd
	v_add_co_ci_u32_e64 v41, null, 0, v39, vcc_lo
	v_add_co_u32 v38, vcc_lo, v38, v21
	v_and_b32_e32 v37, 0xffff, v37
	v_lshlrev_b32_e32 v36, 16, v36
	s_wait_alu 0xfffd
	v_add_co_ci_u32_e64 v39, null, 0, v39, vcc_lo
	s_delay_alu instid0(VALU_DEP_2)
	v_or_b32_e32 v37, v37, v36
	s_clause 0x1
	global_load_u8 v36, v[40:41], off offset:96
	global_load_u8 v38, v[38:39], off offset:104
	v_lshrrev_b32_e32 v40, 30, v42
	s_wait_loadcnt 0x1
	v_bfe_u32 v36, v36, v17, 4
	s_wait_loadcnt 0x0
	v_lshrrev_b32_e32 v38, v22, v38
	s_delay_alu instid0(VALU_DEP_1) | instskip(NEXT) | instid1(VALU_DEP_1)
	v_lshlrev_b32_e32 v38, 4, v38
	v_and_or_b32 v36, v38, 48, v36
	v_lshrrev_b32_e32 v38, 6, v42
	v_lshrrev_b32_e32 v42, 1, v43
	s_delay_alu instid0(VALU_DEP_3) | instskip(NEXT) | instid1(VALU_DEP_3)
	v_subrev_nc_u32_e32 v36, 32, v36
	v_and_b32_e32 v38, 0x3030303, v38
	s_delay_alu instid0(VALU_DEP_3) | instskip(NEXT) | instid1(VALU_DEP_2)
	v_and_b32_e32 v42, 0x4040404, v42
	v_lshrrev_b32_e32 v39, 16, v38
	v_lshrrev_b16 v41, 8, v38
	s_delay_alu instid0(VALU_DEP_3) | instskip(SKIP_3) | instid1(VALU_DEP_4)
	v_lshrrev_b32_e32 v43, 16, v42
	v_lshrrev_b32_e32 v44, 24, v42
	v_lshrrev_b16 v45, 8, v42
	v_sub_nc_u16 v38, v38, v42
	v_sub_nc_u16 v39, v39, v43
	s_delay_alu instid0(VALU_DEP_4) | instskip(NEXT) | instid1(VALU_DEP_4)
	v_sub_nc_u16 v40, v40, v44
	v_sub_nc_u16 v41, v41, v45
	s_delay_alu instid0(VALU_DEP_4) | instskip(NEXT) | instid1(VALU_DEP_4)
	v_and_b32_e32 v38, 0xff, v38
	v_and_b32_e32 v39, 0xff, v39
	s_delay_alu instid0(VALU_DEP_4) | instskip(NEXT) | instid1(VALU_DEP_4)
	v_lshlrev_b16 v40, 8, v40
	v_lshlrev_b16 v41, 8, v41
	s_delay_alu instid0(VALU_DEP_2) | instskip(NEXT) | instid1(VALU_DEP_2)
	v_or_b32_e32 v39, v39, v40
	v_or_b32_e32 v38, v38, v41
	s_delay_alu instid0(VALU_DEP_2) | instskip(NEXT) | instid1(VALU_DEP_2)
	v_lshlrev_b32_e32 v39, 16, v39
	v_and_b32_e32 v38, 0xffff, v38
	s_delay_alu instid0(VALU_DEP_1)
	v_or_b32_e32 v42, v38, v39
	v_add_co_u32 v38, vcc_lo, v2, v23
	s_wait_alu 0xfffd
	v_add_co_ci_u32_e64 v39, null, 0, v3, vcc_lo
	s_clause 0x7
	global_load_b32 v40, v[38:39], off offset:4
	global_load_b32 v43, v[2:3], off
	global_load_b32 v41, v[38:39], off offset:40
	global_load_b32 v44, v[2:3], off offset:36
	;; [unrolled: 1-line block ×6, first 2 shown]
	s_wait_loadcnt 0x7
	v_dot4_i32_iu8 v48, v33, v40, 0 neg_lo:[1,1,0]
	s_wait_loadcnt 0x5
	v_dot4_i32_iu8 v49, v35, v41, 0 neg_lo:[1,1,0]
	;; [unrolled: 2-line block ×3, first 2 shown]
	v_mul_lo_u32 v48, v31, v48
	s_wait_loadcnt 0x1
	v_dot4_i32_iu8 v50, v42, v38, 0 neg_lo:[1,1,0]
	v_mad_co_u64_u32 v[38:39], null, v24, 36, v[0:1]
	v_add_nc_u32_e32 v24, 16, v24
	s_delay_alu instid0(VALU_DEP_4) | instskip(NEXT) | instid1(VALU_DEP_3)
	v_cvt_f32_i32_e32 v48, v48
	v_add_co_u32 v40, vcc_lo, v38, v29
	s_wait_alu 0xfffd
	s_delay_alu instid0(VALU_DEP_4)
	v_add_co_ci_u32_e64 v41, null, 0, v39, vcc_lo
	s_clause 0x7
	global_load_b32 v51, v[40:41], off offset:4
	global_load_b32 v52, v[38:39], off
	global_load_b32 v53, v[40:41], off offset:40
	global_load_b32 v54, v[38:39], off offset:36
	;; [unrolled: 1-line block ×6, first 2 shown]
	v_fma_mix_f32 v43, v43, v48, 0 op_sel_hi:[1,0,0]
	v_mul_lo_u32 v48, v32, v49
	s_delay_alu instid0(VALU_DEP_1)
	v_cvt_f32_i32_e32 v48, v48
	s_wait_loadcnt 0x7
	v_dot4_i32_iu8 v39, v33, v51, 0 neg_lo:[1,1,0]
	s_wait_loadcnt 0x5
	v_dot4_i32_iu8 v41, v35, v53, 0 neg_lo:[1,1,0]
	;; [unrolled: 2-line block ×3, first 2 shown]
	v_mul_lo_u32 v39, v31, v39
	s_wait_loadcnt 0x1
	v_dot4_i32_iu8 v40, v42, v40, 0 neg_lo:[1,1,0]
	v_mul_lo_u32 v41, v32, v41
	s_delay_alu instid0(VALU_DEP_2) | instskip(NEXT) | instid1(VALU_DEP_4)
	v_mul_lo_u32 v40, v36, v40
	v_cvt_f32_i32_e32 v39, v39
	s_delay_alu instid0(VALU_DEP_3) | instskip(NEXT) | instid1(VALU_DEP_2)
	v_cvt_f32_i32_e32 v41, v41
	v_fma_mix_f32 v39, v52, v39, 0 op_sel_hi:[1,0,0]
	s_delay_alu instid0(VALU_DEP_4) | instskip(NEXT) | instid1(VALU_DEP_2)
	v_cvt_f32_i32_e32 v40, v40
	v_fma_mix_f32 v39, v54, v41, v39 op_sel_hi:[1,0,0]
	v_fma_mix_f32 v41, v44, v48, v43 op_sel_hi:[1,0,0]
	v_mul_lo_u32 v43, v34, v45
	v_mul_lo_u32 v44, v34, v51
	s_delay_alu instid0(VALU_DEP_2) | instskip(NEXT) | instid1(VALU_DEP_2)
	v_cvt_f32_i32_e32 v43, v43
	v_cvt_f32_i32_e32 v44, v44
	s_delay_alu instid0(VALU_DEP_2) | instskip(SKIP_1) | instid1(VALU_DEP_3)
	v_fma_mix_f32 v41, v46, v43, v41 op_sel_hi:[1,0,0]
	v_mul_lo_u32 v43, v36, v50
	v_fma_mix_f32 v39, v56, v44, v39 op_sel_hi:[1,0,0]
	s_wait_loadcnt 0x0
	s_delay_alu instid0(VALU_DEP_1) | instskip(NEXT) | instid1(VALU_DEP_3)
	v_fma_mix_f32 v38, v38, v40, v39 op_sel_hi:[1,0,0]
	v_cvt_f32_i32_e32 v43, v43
	s_delay_alu instid0(VALU_DEP_2) | instskip(NEXT) | instid1(VALU_DEP_2)
	v_fma_mix_f32 v13, v38, v30, v13 op_sel_hi:[0,1,0]
	v_fma_mix_f32 v39, v47, v43, v41 op_sel_hi:[1,0,0]
	s_delay_alu instid0(VALU_DEP_1) | instskip(SKIP_2) | instid1(VALU_DEP_2)
	v_fma_mix_f32 v15, v39, v30, v15 op_sel_hi:[0,1,0]
	v_mad_co_u64_u32 v[38:39], null, v25, 36, v[0:1]
	v_add_nc_u32_e32 v25, 16, v25
	v_add_co_u32 v40, vcc_lo, v38, v29
	s_wait_alu 0xfffd
	s_delay_alu instid0(VALU_DEP_3)
	v_add_co_ci_u32_e64 v41, null, 0, v39, vcc_lo
	s_clause 0x7
	global_load_b32 v43, v[40:41], off offset:4
	global_load_b32 v44, v[38:39], off
	global_load_b32 v45, v[40:41], off offset:40
	global_load_b32 v46, v[38:39], off offset:36
	;; [unrolled: 1-line block ×6, first 2 shown]
	v_mad_co_u64_u32 v[38:39], null, v4, 36, v[0:1]
	v_add_nc_u32_e32 v4, 16, v4
	s_wait_loadcnt 0x7
	v_dot4_i32_iu8 v43, v33, v43, 0 neg_lo:[1,1,0]
	s_wait_loadcnt 0x5
	v_dot4_i32_iu8 v45, v35, v45, 0 neg_lo:[1,1,0]
	;; [unrolled: 2-line block ×3, first 2 shown]
	v_mul_lo_u32 v43, v31, v43
	s_wait_loadcnt 0x1
	v_dot4_i32_iu8 v50, v42, v40, 0 neg_lo:[1,1,0]
	v_add_co_u32 v40, vcc_lo, v38, v29
	s_wait_alu 0xfffd
	v_add_co_ci_u32_e64 v41, null, 0, v39, vcc_lo
	s_clause 0x7
	global_load_b32 v51, v[40:41], off offset:4
	global_load_b32 v52, v[38:39], off
	global_load_b32 v53, v[40:41], off offset:40
	global_load_b32 v54, v[38:39], off offset:36
	;; [unrolled: 1-line block ×6, first 2 shown]
	v_cvt_f32_i32_e32 v43, v43
	s_delay_alu instid0(VALU_DEP_1) | instskip(SKIP_1) | instid1(VALU_DEP_1)
	v_fma_mix_f32 v43, v44, v43, 0 op_sel_hi:[1,0,0]
	v_mul_lo_u32 v44, v32, v45
	v_cvt_f32_i32_e32 v44, v44
	s_wait_loadcnt 0x7
	v_dot4_i32_iu8 v39, v33, v51, 0 neg_lo:[1,1,0]
	s_wait_loadcnt 0x5
	v_dot4_i32_iu8 v41, v35, v53, 0 neg_lo:[1,1,0]
	;; [unrolled: 2-line block ×3, first 2 shown]
	v_mul_lo_u32 v39, v31, v39
	s_wait_loadcnt 0x1
	v_dot4_i32_iu8 v40, v42, v40, 0 neg_lo:[1,1,0]
	v_mul_lo_u32 v41, v32, v41
	s_delay_alu instid0(VALU_DEP_2) | instskip(NEXT) | instid1(VALU_DEP_4)
	v_mul_lo_u32 v40, v36, v40
	v_cvt_f32_i32_e32 v39, v39
	s_delay_alu instid0(VALU_DEP_3) | instskip(NEXT) | instid1(VALU_DEP_2)
	v_cvt_f32_i32_e32 v41, v41
	v_fma_mix_f32 v39, v52, v39, 0 op_sel_hi:[1,0,0]
	s_delay_alu instid0(VALU_DEP_4) | instskip(NEXT) | instid1(VALU_DEP_2)
	v_cvt_f32_i32_e32 v40, v40
	v_fma_mix_f32 v39, v54, v41, v39 op_sel_hi:[1,0,0]
	v_fma_mix_f32 v41, v46, v44, v43 op_sel_hi:[1,0,0]
	v_mul_lo_u32 v43, v34, v47
	v_mul_lo_u32 v44, v34, v51
	s_delay_alu instid0(VALU_DEP_2) | instskip(NEXT) | instid1(VALU_DEP_2)
	v_cvt_f32_i32_e32 v43, v43
	v_cvt_f32_i32_e32 v44, v44
	s_delay_alu instid0(VALU_DEP_2) | instskip(SKIP_1) | instid1(VALU_DEP_3)
	v_fma_mix_f32 v41, v48, v43, v41 op_sel_hi:[1,0,0]
	v_mul_lo_u32 v43, v36, v50
	v_fma_mix_f32 v39, v56, v44, v39 op_sel_hi:[1,0,0]
	s_wait_loadcnt 0x0
	s_delay_alu instid0(VALU_DEP_1) | instskip(NEXT) | instid1(VALU_DEP_3)
	v_fma_mix_f32 v38, v38, v40, v39 op_sel_hi:[1,0,0]
	v_cvt_f32_i32_e32 v43, v43
	s_delay_alu instid0(VALU_DEP_2) | instskip(NEXT) | instid1(VALU_DEP_2)
	v_fma_mix_f32 v9, v38, v30, v9 op_sel_hi:[0,1,0]
	v_fma_mix_f32 v39, v49, v43, v41 op_sel_hi:[1,0,0]
	s_delay_alu instid0(VALU_DEP_1) | instskip(SKIP_2) | instid1(VALU_DEP_2)
	v_fma_mix_f32 v11, v39, v30, v11 op_sel_hi:[0,1,0]
	v_mad_co_u64_u32 v[38:39], null, v26, 36, v[0:1]
	v_add_nc_u32_e32 v26, 16, v26
	v_add_co_u32 v40, vcc_lo, v38, v29
	s_wait_alu 0xfffd
	s_delay_alu instid0(VALU_DEP_3)
	v_add_co_ci_u32_e64 v41, null, 0, v39, vcc_lo
	s_clause 0x7
	global_load_b32 v43, v[40:41], off offset:4
	global_load_b32 v44, v[38:39], off
	global_load_b32 v45, v[40:41], off offset:40
	global_load_b32 v46, v[38:39], off offset:36
	;; [unrolled: 1-line block ×6, first 2 shown]
	v_mad_co_u64_u32 v[38:39], null, v5, 36, v[0:1]
	v_add_nc_u32_e32 v5, 16, v5
	s_wait_loadcnt 0x7
	v_dot4_i32_iu8 v43, v33, v43, 0 neg_lo:[1,1,0]
	s_wait_loadcnt 0x5
	v_dot4_i32_iu8 v45, v35, v45, 0 neg_lo:[1,1,0]
	;; [unrolled: 2-line block ×4, first 2 shown]
	v_add_co_u32 v40, vcc_lo, v38, v29
	s_wait_alu 0xfffd
	v_add_co_ci_u32_e64 v41, null, 0, v39, vcc_lo
	s_clause 0x7
	global_load_b32 v51, v[40:41], off offset:4
	global_load_b32 v52, v[38:39], off
	global_load_b32 v53, v[40:41], off offset:40
	global_load_b32 v54, v[38:39], off offset:36
	;; [unrolled: 1-line block ×6, first 2 shown]
	v_add_co_u32 v2, vcc_lo, 0x240, v2
	s_wait_alu 0xfffd
	v_add_co_ci_u32_e64 v3, null, 0, v3, vcc_lo
	v_cmp_le_u32_e32 vcc_lo, s22, v12
	s_or_b32 s3, vcc_lo, s3
	s_wait_loadcnt 0x7
	v_dot4_i32_iu8 v33, v33, v51, 0 neg_lo:[1,1,0]
	s_wait_loadcnt 0x5
	v_dot4_i32_iu8 v35, v35, v53, 0 neg_lo:[1,1,0]
	;; [unrolled: 2-line block ×4, first 2 shown]
	v_mul_lo_u32 v40, v31, v43
	v_mul_lo_u32 v35, v32, v35
	;; [unrolled: 1-line block ×4, first 2 shown]
	s_delay_alu instid0(VALU_DEP_4) | instskip(NEXT) | instid1(VALU_DEP_4)
	v_cvt_f32_i32_e32 v33, v40
	v_cvt_f32_i32_e32 v35, v35
	s_delay_alu instid0(VALU_DEP_4) | instskip(NEXT) | instid1(VALU_DEP_4)
	v_cvt_f32_i32_e32 v32, v32
	v_cvt_f32_i32_e32 v31, v31
	s_delay_alu instid0(VALU_DEP_4) | instskip(NEXT) | instid1(VALU_DEP_2)
	v_fma_mix_f32 v33, v44, v33, 0 op_sel_hi:[1,0,0]
	v_fma_mix_f32 v31, v52, v31, 0 op_sel_hi:[1,0,0]
	s_delay_alu instid0(VALU_DEP_2) | instskip(SKIP_2) | instid1(VALU_DEP_4)
	v_fma_mix_f32 v32, v46, v32, v33 op_sel_hi:[1,0,0]
	v_mul_lo_u32 v33, v34, v47
	v_mul_lo_u32 v34, v34, v37
	v_fma_mix_f32 v31, v54, v35, v31 op_sel_hi:[1,0,0]
	s_delay_alu instid0(VALU_DEP_3) | instskip(NEXT) | instid1(VALU_DEP_3)
	v_cvt_f32_i32_e32 v33, v33
	v_cvt_f32_i32_e32 v34, v34
	s_delay_alu instid0(VALU_DEP_2) | instskip(NEXT) | instid1(VALU_DEP_2)
	v_fma_mix_f32 v32, v48, v33, v32 op_sel_hi:[1,0,0]
	v_fma_mix_f32 v31, v56, v34, v31 op_sel_hi:[1,0,0]
	v_mul_lo_u32 v33, v36, v39
	v_mul_lo_u32 v34, v36, v50
	s_delay_alu instid0(VALU_DEP_2) | instskip(NEXT) | instid1(VALU_DEP_2)
	v_cvt_f32_i32_e32 v33, v33
	v_cvt_f32_i32_e32 v34, v34
	s_wait_loadcnt 0x0
	s_delay_alu instid0(VALU_DEP_2) | instskip(NEXT) | instid1(VALU_DEP_2)
	v_fma_mix_f32 v31, v38, v33, v31 op_sel_hi:[1,0,0]
	v_fma_mix_f32 v32, v49, v34, v32 op_sel_hi:[1,0,0]
	s_delay_alu instid0(VALU_DEP_2) | instskip(NEXT) | instid1(VALU_DEP_2)
	v_fma_mix_f32 v6, v31, v30, v6 op_sel_hi:[0,1,0]
	v_fma_mix_f32 v7, v32, v30, v7 op_sel_hi:[0,1,0]
	s_wait_alu 0xfffe
	s_and_not1_b32 exec_lo, exec_lo, s3
	s_cbranch_execnz .LBB117_2
; %bb.3:
	s_or_b32 exec_lo, exec_lo, s3
.LBB117_4:
	s_delay_alu instid0(SALU_CYCLE_1)
	s_or_b32 exec_lo, exec_lo, s21
	s_mov_b32 s3, 0
	; wave barrier
	global_inv scope:SCOPE_SE
	s_mov_b32 s2, exec_lo
	v_cmpx_eq_u32_e32 0, v10
	s_cbranch_execz .LBB117_17
; %bb.5:
	v_mbcnt_lo_u32_b32 v4, -1, 0
	s_load_b64 s[0:1], s[0:1], 0x38
	s_mul_i32 s2, s10, s19
	s_mul_i32 s4, s18, s20
	s_wait_alu 0xfffe
	s_add_co_i32 s2, s2, ttmp9
	v_xor_b32_e32 v0, 16, v4
	v_xor_b32_e32 v1, 8, v4
	;; [unrolled: 1-line block ×3, first 2 shown]
	s_wait_alu 0xfffe
	s_add_co_i32 s2, s2, s4
	s_wait_alu 0xfffe
	s_lshl_b64 s[2:3], s[2:3], 2
	v_cmp_gt_i32_e32 vcc_lo, 32, v0
	s_wait_alu 0xfffd
	v_cndmask_b32_e32 v0, v4, v0, vcc_lo
	v_cmp_gt_i32_e32 vcc_lo, 32, v1
	s_wait_kmcnt 0x0
	s_wait_alu 0xfffe
	s_add_nc_u64 s[0:1], s[0:1], s[2:3]
	s_wait_alu 0xfffd
	v_cndmask_b32_e32 v1, v4, v1, vcc_lo
	s_delay_alu instid0(VALU_DEP_1)
	v_lshlrev_b32_e32 v1, 2, v1
	v_lshlrev_b32_e32 v0, 2, v0
	ds_bpermute_b32 v2, v0, v15
	s_wait_dscnt 0x0
	v_add_f32_e32 v3, v15, v2
	v_xor_b32_e32 v2, 4, v4
	ds_bpermute_b32 v5, v1, v3
	v_cmp_gt_i32_e32 vcc_lo, 32, v2
	s_wait_dscnt 0x0
	s_wait_alu 0xfffd
	v_dual_cndmask_b32 v2, v4, v2 :: v_dual_add_f32 v5, v3, v5
	s_delay_alu instid0(VALU_DEP_1)
	v_lshlrev_b32_e32 v2, 2, v2
	v_xor_b32_e32 v3, 2, v4
	ds_bpermute_b32 v10, v2, v5
	v_cmp_gt_i32_e32 vcc_lo, 32, v3
	s_wait_alu 0xfffd
	v_cndmask_b32_e32 v3, v4, v3, vcc_lo
	v_cmp_gt_i32_e32 vcc_lo, 32, v12
	s_wait_alu 0xfffd
	v_cndmask_b32_e32 v4, v4, v12, vcc_lo
	v_cmp_eq_u32_e32 vcc_lo, 0, v8
	s_delay_alu instid0(VALU_DEP_2)
	v_lshlrev_b32_e32 v4, 2, v4
	v_lshlrev_b32_e32 v3, 2, v3
	s_wait_dscnt 0x0
	v_add_f32_e32 v5, v5, v10
	ds_bpermute_b32 v10, v3, v5
	s_wait_dscnt 0x0
	v_add_f32_e32 v5, v5, v10
	ds_bpermute_b32 v10, v4, v5
	s_and_saveexec_b32 s2, vcc_lo
	s_cbranch_execz .LBB117_7
; %bb.6:
	s_wait_dscnt 0x0
	v_dual_add_f32 v5, v5, v10 :: v_dual_mov_b32 v8, 0
	global_store_b32 v8, v5, s[0:1]
.LBB117_7:
	s_wait_alu 0xfffe
	s_or_b32 exec_lo, exec_lo, s2
	ds_bpermute_b32 v5, v0, v13
	s_wait_dscnt 0x0
	v_add_f32_e32 v5, v13, v5
	ds_bpermute_b32 v8, v1, v5
	s_wait_dscnt 0x0
	v_add_f32_e32 v5, v5, v8
	;; [unrolled: 3-line block ×4, first 2 shown]
	ds_bpermute_b32 v8, v4, v5
	s_and_saveexec_b32 s2, vcc_lo
	s_cbranch_execz .LBB117_9
; %bb.8:
	s_mov_b32 s7, 0
	s_wait_dscnt 0x0
	v_dual_add_f32 v5, v5, v8 :: v_dual_mov_b32 v8, 0
	s_lshl_b64 s[4:5], s[6:7], 2
	s_wait_alu 0xfffe
	s_add_nc_u64 s[4:5], s[0:1], s[4:5]
	global_store_b32 v8, v5, s[4:5]
.LBB117_9:
	s_wait_alu 0xfffe
	s_or_b32 exec_lo, exec_lo, s2
	ds_bpermute_b32 v5, v0, v11
	s_wait_dscnt 0x0
	v_add_f32_e32 v5, v11, v5
	ds_bpermute_b32 v8, v1, v5
	s_wait_dscnt 0x0
	v_add_f32_e32 v5, v5, v8
	ds_bpermute_b32 v8, v2, v5
	s_wait_dscnt 0x0
	v_add_f32_e32 v5, v5, v8
	ds_bpermute_b32 v8, v3, v5
	s_wait_dscnt 0x0
	v_add_f32_e32 v5, v5, v8
	ds_bpermute_b32 v8, v4, v5
	s_and_saveexec_b32 s2, vcc_lo
	s_cbranch_execz .LBB117_11
; %bb.10:
	s_lshl_b32 s4, s6, 1
	s_mov_b32 s5, 0
	s_wait_dscnt 0x0
	v_dual_add_f32 v5, v5, v8 :: v_dual_mov_b32 v8, 0
	s_wait_alu 0xfffe
	s_lshl_b64 s[4:5], s[4:5], 2
	s_wait_alu 0xfffe
	s_add_nc_u64 s[4:5], s[0:1], s[4:5]
	global_store_b32 v8, v5, s[4:5]
.LBB117_11:
	s_wait_alu 0xfffe
	s_or_b32 exec_lo, exec_lo, s2
	ds_bpermute_b32 v5, v0, v9
	s_wait_dscnt 0x0
	v_add_f32_e32 v5, v9, v5
	ds_bpermute_b32 v8, v1, v5
	s_wait_dscnt 0x0
	v_add_f32_e32 v5, v5, v8
	;; [unrolled: 3-line block ×4, first 2 shown]
	ds_bpermute_b32 v8, v4, v5
	s_and_saveexec_b32 s2, vcc_lo
	s_cbranch_execz .LBB117_13
; %bb.12:
	s_mul_i32 s4, s6, 3
	s_mov_b32 s5, 0
	s_wait_dscnt 0x0
	v_dual_add_f32 v5, v5, v8 :: v_dual_mov_b32 v8, 0
	s_wait_alu 0xfffe
	s_lshl_b64 s[4:5], s[4:5], 2
	s_wait_alu 0xfffe
	s_add_nc_u64 s[4:5], s[0:1], s[4:5]
	global_store_b32 v8, v5, s[4:5]
.LBB117_13:
	s_wait_alu 0xfffe
	s_or_b32 exec_lo, exec_lo, s2
	ds_bpermute_b32 v5, v0, v7
	s_wait_dscnt 0x0
	v_add_f32_e32 v5, v7, v5
	ds_bpermute_b32 v7, v1, v5
	s_wait_dscnt 0x0
	v_add_f32_e32 v5, v5, v7
	;; [unrolled: 3-line block ×4, first 2 shown]
	ds_bpermute_b32 v7, v4, v5
	s_and_saveexec_b32 s2, vcc_lo
	s_cbranch_execz .LBB117_15
; %bb.14:
	s_lshl_b32 s4, s6, 2
	s_mov_b32 s5, 0
	s_wait_dscnt 0x0
	v_add_f32_e32 v5, v5, v7
	v_mov_b32_e32 v7, 0
	s_wait_alu 0xfffe
	s_lshl_b64 s[4:5], s[4:5], 2
	s_wait_alu 0xfffe
	s_add_nc_u64 s[4:5], s[0:1], s[4:5]
	global_store_b32 v7, v5, s[4:5]
.LBB117_15:
	s_wait_alu 0xfffe
	s_or_b32 exec_lo, exec_lo, s2
	ds_bpermute_b32 v0, v0, v6
	s_wait_dscnt 0x0
	v_add_f32_e32 v0, v6, v0
	ds_bpermute_b32 v1, v1, v0
	s_wait_dscnt 0x0
	v_add_f32_e32 v0, v0, v1
	;; [unrolled: 3-line block ×4, first 2 shown]
	ds_bpermute_b32 v1, v4, v0
	s_and_b32 exec_lo, exec_lo, vcc_lo
	s_cbranch_execz .LBB117_17
; %bb.16:
	s_mul_i32 s2, s6, 5
	s_mov_b32 s3, 0
	s_wait_dscnt 0x0
	v_dual_add_f32 v0, v0, v1 :: v_dual_mov_b32 v1, 0
	s_wait_alu 0xfffe
	s_lshl_b64 s[2:3], s[2:3], 2
	s_wait_alu 0xfffe
	s_add_nc_u64 s[0:1], s[0:1], s[2:3]
	global_store_b32 v1, v0, s[0:1]
.LBB117_17:
	s_endpgm
	.section	.rodata,"a",@progbits
	.p2align	6, 0x0
	.amdhsa_kernel _ZL13mul_mat_vec_qIL9ggml_type11ELi6ELb0ELb0EEvPKvS2_PKi31ggml_cuda_mm_fusion_args_devicePfj15HIP_vector_typeIjLj3EEjjjS8_jjjS8_jjjj
		.amdhsa_group_segment_fixed_size 0
		.amdhsa_private_segment_fixed_size 0
		.amdhsa_kernarg_size 144
		.amdhsa_user_sgpr_count 2
		.amdhsa_user_sgpr_dispatch_ptr 0
		.amdhsa_user_sgpr_queue_ptr 0
		.amdhsa_user_sgpr_kernarg_segment_ptr 1
		.amdhsa_user_sgpr_dispatch_id 0
		.amdhsa_user_sgpr_private_segment_size 0
		.amdhsa_wavefront_size32 1
		.amdhsa_uses_dynamic_stack 0
		.amdhsa_enable_private_segment 0
		.amdhsa_system_sgpr_workgroup_id_x 1
		.amdhsa_system_sgpr_workgroup_id_y 1
		.amdhsa_system_sgpr_workgroup_id_z 1
		.amdhsa_system_sgpr_workgroup_info 0
		.amdhsa_system_vgpr_workitem_id 1
		.amdhsa_next_free_vgpr 57
		.amdhsa_next_free_sgpr 28
		.amdhsa_reserve_vcc 1
		.amdhsa_float_round_mode_32 0
		.amdhsa_float_round_mode_16_64 0
		.amdhsa_float_denorm_mode_32 3
		.amdhsa_float_denorm_mode_16_64 3
		.amdhsa_fp16_overflow 0
		.amdhsa_workgroup_processor_mode 1
		.amdhsa_memory_ordered 1
		.amdhsa_forward_progress 1
		.amdhsa_inst_pref_size 35
		.amdhsa_round_robin_scheduling 0
		.amdhsa_exception_fp_ieee_invalid_op 0
		.amdhsa_exception_fp_denorm_src 0
		.amdhsa_exception_fp_ieee_div_zero 0
		.amdhsa_exception_fp_ieee_overflow 0
		.amdhsa_exception_fp_ieee_underflow 0
		.amdhsa_exception_fp_ieee_inexact 0
		.amdhsa_exception_int_div_zero 0
	.end_amdhsa_kernel
	.section	.text._ZL13mul_mat_vec_qIL9ggml_type11ELi6ELb0ELb0EEvPKvS2_PKi31ggml_cuda_mm_fusion_args_devicePfj15HIP_vector_typeIjLj3EEjjjS8_jjjS8_jjjj,"axG",@progbits,_ZL13mul_mat_vec_qIL9ggml_type11ELi6ELb0ELb0EEvPKvS2_PKi31ggml_cuda_mm_fusion_args_devicePfj15HIP_vector_typeIjLj3EEjjjS8_jjjS8_jjjj,comdat
.Lfunc_end117:
	.size	_ZL13mul_mat_vec_qIL9ggml_type11ELi6ELb0ELb0EEvPKvS2_PKi31ggml_cuda_mm_fusion_args_devicePfj15HIP_vector_typeIjLj3EEjjjS8_jjjS8_jjjj, .Lfunc_end117-_ZL13mul_mat_vec_qIL9ggml_type11ELi6ELb0ELb0EEvPKvS2_PKi31ggml_cuda_mm_fusion_args_devicePfj15HIP_vector_typeIjLj3EEjjjS8_jjjS8_jjjj
                                        ; -- End function
	.set _ZL13mul_mat_vec_qIL9ggml_type11ELi6ELb0ELb0EEvPKvS2_PKi31ggml_cuda_mm_fusion_args_devicePfj15HIP_vector_typeIjLj3EEjjjS8_jjjS8_jjjj.num_vgpr, 57
	.set _ZL13mul_mat_vec_qIL9ggml_type11ELi6ELb0ELb0EEvPKvS2_PKi31ggml_cuda_mm_fusion_args_devicePfj15HIP_vector_typeIjLj3EEjjjS8_jjjS8_jjjj.num_agpr, 0
	.set _ZL13mul_mat_vec_qIL9ggml_type11ELi6ELb0ELb0EEvPKvS2_PKi31ggml_cuda_mm_fusion_args_devicePfj15HIP_vector_typeIjLj3EEjjjS8_jjjS8_jjjj.numbered_sgpr, 28
	.set _ZL13mul_mat_vec_qIL9ggml_type11ELi6ELb0ELb0EEvPKvS2_PKi31ggml_cuda_mm_fusion_args_devicePfj15HIP_vector_typeIjLj3EEjjjS8_jjjS8_jjjj.num_named_barrier, 0
	.set _ZL13mul_mat_vec_qIL9ggml_type11ELi6ELb0ELb0EEvPKvS2_PKi31ggml_cuda_mm_fusion_args_devicePfj15HIP_vector_typeIjLj3EEjjjS8_jjjS8_jjjj.private_seg_size, 0
	.set _ZL13mul_mat_vec_qIL9ggml_type11ELi6ELb0ELb0EEvPKvS2_PKi31ggml_cuda_mm_fusion_args_devicePfj15HIP_vector_typeIjLj3EEjjjS8_jjjS8_jjjj.uses_vcc, 1
	.set _ZL13mul_mat_vec_qIL9ggml_type11ELi6ELb0ELb0EEvPKvS2_PKi31ggml_cuda_mm_fusion_args_devicePfj15HIP_vector_typeIjLj3EEjjjS8_jjjS8_jjjj.uses_flat_scratch, 0
	.set _ZL13mul_mat_vec_qIL9ggml_type11ELi6ELb0ELb0EEvPKvS2_PKi31ggml_cuda_mm_fusion_args_devicePfj15HIP_vector_typeIjLj3EEjjjS8_jjjS8_jjjj.has_dyn_sized_stack, 0
	.set _ZL13mul_mat_vec_qIL9ggml_type11ELi6ELb0ELb0EEvPKvS2_PKi31ggml_cuda_mm_fusion_args_devicePfj15HIP_vector_typeIjLj3EEjjjS8_jjjS8_jjjj.has_recursion, 0
	.set _ZL13mul_mat_vec_qIL9ggml_type11ELi6ELb0ELb0EEvPKvS2_PKi31ggml_cuda_mm_fusion_args_devicePfj15HIP_vector_typeIjLj3EEjjjS8_jjjS8_jjjj.has_indirect_call, 0
	.section	.AMDGPU.csdata,"",@progbits
; Kernel info:
; codeLenInByte = 4404
; TotalNumSgprs: 30
; NumVgprs: 57
; ScratchSize: 0
; MemoryBound: 0
; FloatMode: 240
; IeeeMode: 1
; LDSByteSize: 0 bytes/workgroup (compile time only)
; SGPRBlocks: 0
; VGPRBlocks: 7
; NumSGPRsForWavesPerEU: 30
; NumVGPRsForWavesPerEU: 57
; Occupancy: 16
; WaveLimiterHint : 0
; COMPUTE_PGM_RSRC2:SCRATCH_EN: 0
; COMPUTE_PGM_RSRC2:USER_SGPR: 2
; COMPUTE_PGM_RSRC2:TRAP_HANDLER: 0
; COMPUTE_PGM_RSRC2:TGID_X_EN: 1
; COMPUTE_PGM_RSRC2:TGID_Y_EN: 1
; COMPUTE_PGM_RSRC2:TGID_Z_EN: 1
; COMPUTE_PGM_RSRC2:TIDIG_COMP_CNT: 1
	.section	.text._ZL13mul_mat_vec_qIL9ggml_type11ELi7ELb0ELb0EEvPKvS2_PKi31ggml_cuda_mm_fusion_args_devicePfj15HIP_vector_typeIjLj3EEjjjS8_jjjS8_jjjj,"axG",@progbits,_ZL13mul_mat_vec_qIL9ggml_type11ELi7ELb0ELb0EEvPKvS2_PKi31ggml_cuda_mm_fusion_args_devicePfj15HIP_vector_typeIjLj3EEjjjS8_jjjS8_jjjj,comdat
	.globl	_ZL13mul_mat_vec_qIL9ggml_type11ELi7ELb0ELb0EEvPKvS2_PKi31ggml_cuda_mm_fusion_args_devicePfj15HIP_vector_typeIjLj3EEjjjS8_jjjS8_jjjj ; -- Begin function _ZL13mul_mat_vec_qIL9ggml_type11ELi7ELb0ELb0EEvPKvS2_PKi31ggml_cuda_mm_fusion_args_devicePfj15HIP_vector_typeIjLj3EEjjjS8_jjjS8_jjjj
	.p2align	8
	.type	_ZL13mul_mat_vec_qIL9ggml_type11ELi7ELb0ELb0EEvPKvS2_PKi31ggml_cuda_mm_fusion_args_devicePfj15HIP_vector_typeIjLj3EEjjjS8_jjjS8_jjjj,@function
_ZL13mul_mat_vec_qIL9ggml_type11ELi7ELb0ELb0EEvPKvS2_PKi31ggml_cuda_mm_fusion_args_devicePfj15HIP_vector_typeIjLj3EEjjjS8_jjjS8_jjjj: ; @_ZL13mul_mat_vec_qIL9ggml_type11ELi7ELb0ELb0EEvPKvS2_PKi31ggml_cuda_mm_fusion_args_devicePfj15HIP_vector_typeIjLj3EEjjjS8_jjjS8_jjjj
; %bb.0:
	s_clause 0x5
	s_load_b96 s[16:18], s[0:1], 0x80
	s_load_b32 s2, s[0:1], 0x40
	s_load_b128 s[4:7], s[0:1], 0x50
	s_load_b32 s23, s[0:1], 0x60
	s_load_b128 s[8:11], s[0:1], 0x68
	s_load_b32 s24, s[0:1], 0x78
	v_bfe_u32 v9, v0, 10, 10
	v_dual_mov_b32 v5, 0 :: v_dual_and_b32 v6, 0x3ff, v0
	v_dual_mov_b32 v4, 0 :: v_dual_mov_b32 v7, 0
	v_dual_mov_b32 v8, 0 :: v_dual_mov_b32 v13, 0
	s_delay_alu instid0(VALU_DEP_3) | instskip(SKIP_3) | instid1(VALU_DEP_2)
	v_lshl_or_b32 v0, v9, 5, v6
	v_dual_mov_b32 v10, 0 :: v_dual_mov_b32 v11, 0
	s_and_b32 s19, ttmp7, 0xffff
	s_lshr_b32 s20, ttmp7, 16
	v_lshrrev_b32_e32 v12, 4, v0
	s_mov_b32 s21, exec_lo
	s_wait_kmcnt 0x0
	s_lshr_b32 s22, s2, 8
	s_delay_alu instid0(VALU_DEP_1) | instid1(SALU_CYCLE_1)
	v_cmpx_gt_u32_e64 s22, v12
	s_cbranch_execz .LBB118_4
; %bb.1:
	s_load_b128 s[12:15], s[0:1], 0x0
	v_dual_mov_b32 v11, 0 :: v_dual_and_b32 v4, 7, v6
	v_and_b32_e32 v5, 8, v6
	v_bfe_u32 v14, v6, 2, 1
	v_lshl_add_u32 v2, v9, 5, v6
	s_delay_alu instid0(VALU_DEP_4)
	v_lshlrev_b32_e32 v8, 1, v4
	v_bfe_u32 v13, v6, 3, 1
	s_mul_hi_u32 s7, s7, s19
	s_mul_hi_u32 s11, s11, s20
	v_lshrrev_b32_e32 v17, 4, v2
	v_lshlrev_b32_e32 v25, 1, v8
	v_mul_hi_u32_u24_e32 v3, 0x90, v13
	v_mul_u32_u24_e32 v2, 0x90, v13
	v_mov_b32_e32 v8, 0
	v_or_b32_e32 v10, v14, v5
	v_lshrrev_b32_e32 v0, 1, v6
	s_mul_i32 s2, s17, s20
	s_mov_b32 s3, 0
	s_add_co_i32 s7, s19, s7
	s_add_co_i32 s11, s20, s11
	v_lshlrev_b32_e32 v1, 1, v6
	v_or_b32_e32 v20, 6, v10
	v_mad_co_u64_u32 v[2:3], null, 0x120, v17, v[2:3]
	s_mul_u64 s[26:27], s[2:3], 36
	s_mul_i32 s2, s9, s19
	s_lshr_b32 s7, s7, s23
	s_lshr_b32 s9, s11, s24
	v_and_b32_e32 v15, 4, v0
	v_or_b32_e32 v10, 4, v10
	s_mul_u64 s[24:25], s[2:3], 36
	s_mul_i32 s2, s7, s8
	s_mul_i32 s7, s9, s16
	s_wait_kmcnt 0x0
	s_add_nc_u64 s[8:9], s[14:15], s[26:27]
	v_lshrrev_b32_e32 v16, 1, v5
	s_add_nc_u64 s[8:9], s[8:9], s[24:25]
	v_lshrrev_b32_e32 v5, 1, v20
	v_dual_mov_b32 v13, 0 :: v_dual_lshlrev_b32 v22, 2, v4
	v_lshlrev_b32_e32 v26, 2, v4
	v_dual_mov_b32 v4, 0 :: v_dual_and_b32 v7, 30, v1
	v_and_b32_e32 v17, 5, v10
	v_lshrrev_b32_e32 v18, 1, v10
	v_mov_b32_e32 v10, 0
	v_mad_co_u64_u32 v[0:1], null, v15, 36, s[8:9]
	v_add_co_u32 v2, vcc_lo, s8, v2
	s_mul_i32 s4, s4, ttmp9
	v_and_b32_e32 v19, 7, v20
	v_and_b32_e32 v20, 3, v20
	v_and_b32_e32 v21, 6, v5
	v_add_co_ci_u32_e64 v3, null, s9, v3, vcc_lo
	v_lshlrev_b32_e32 v23, 3, v12
	v_dual_mov_b32 v5, 0 :: v_dual_lshlrev_b32 v24, 1, v7
	v_mov_b32_e32 v7, 0
	s_add_co_i32 s2, s2, s4
	s_lshl_b32 s4, s5, 1
	s_add_co_i32 s2, s7, s2
	s_mul_i32 s7, s5, 3
	s_lshl_b32 s8, s5, 2
	s_mul_i32 s9, s5, 5
	s_mul_i32 s11, s5, 6
.LBB118_2:                              ; =>This Inner Loop Header: Depth=1
	v_add_nc_u32_e32 v27, s2, v12
	v_add_nc_u32_e32 v12, 2, v12
	s_delay_alu instid0(VALU_DEP_2) | instskip(NEXT) | instid1(VALU_DEP_1)
	v_mad_co_i64_i32 v[35:36], null, 0x6e, v27, s[12:13]
	v_add_co_u32 v28, vcc_lo, v35, v24
	s_wait_alu 0xfffd
	s_delay_alu instid0(VALU_DEP_2)
	v_add_co_ci_u32_e64 v29, null, 0, v36, vcc_lo
	s_clause 0x1
	global_load_u16 v27, v[35:36], off offset:108
	global_load_b32 v39, v[28:29], off offset:32
	v_add_co_u32 v28, vcc_lo, v35, v25
	s_wait_alu 0xfffd
	v_add_co_ci_u32_e64 v29, null, 0, v36, vcc_lo
	v_add_co_u32 v31, vcc_lo, v35, v14
	s_wait_alu 0xfffd
	v_add_co_ci_u32_e64 v32, null, 0, v36, vcc_lo
	s_clause 0x1
	global_load_b32 v28, v[28:29], off
	global_load_u8 v37, v[31:32], off offset:104
	s_wait_loadcnt 0x2
	v_bfe_u32 v33, v39, 24, 2
	s_wait_loadcnt 0x1
	v_ashrrev_i32_e32 v28, v15, v28
	s_wait_loadcnt 0x0
	v_lshrrev_b32_e32 v29, v16, v37
	s_delay_alu instid0(VALU_DEP_2) | instskip(SKIP_3) | instid1(VALU_DEP_1)
	v_not_b32_e32 v40, v28
	global_load_u8 v28, v[31:32], off offset:96
	v_lshlrev_b32_e32 v29, 4, v29
	v_lshlrev_b32_e32 v38, 2, v40
	v_and_b32_e32 v38, 0x4040404, v38
	s_delay_alu instid0(VALU_DEP_1) | instskip(SKIP_2) | instid1(VALU_DEP_2)
	v_lshrrev_b32_e32 v41, 16, v38
	v_lshrrev_b32_e32 v42, 24, v38
	v_lshrrev_b16 v43, 8, v38
	v_sub_nc_u16 v33, v33, v42
	s_delay_alu instid0(VALU_DEP_1) | instskip(SKIP_2) | instid1(VALU_DEP_1)
	v_lshlrev_b16 v33, 8, v33
	s_wait_loadcnt 0x0
	v_bfe_u32 v28, v28, v16, 4
	v_and_or_b32 v28, v29, 48, v28
	v_and_b32_e32 v29, 0x3030303, v39
	s_delay_alu instid0(VALU_DEP_2) | instskip(NEXT) | instid1(VALU_DEP_2)
	v_subrev_nc_u32_e32 v28, 32, v28
	v_lshrrev_b32_e32 v30, 16, v29
	v_lshrrev_b16 v34, 8, v29
	v_sub_nc_u16 v29, v29, v38
	v_lshlrev_b32_e32 v38, 1, v40
	s_delay_alu instid0(VALU_DEP_4) | instskip(NEXT) | instid1(VALU_DEP_4)
	v_sub_nc_u16 v30, v30, v41
	v_sub_nc_u16 v34, v34, v43
	s_delay_alu instid0(VALU_DEP_4) | instskip(NEXT) | instid1(VALU_DEP_4)
	v_and_b32_e32 v29, 0xff, v29
	v_and_b32_e32 v38, 0x4040404, v38
	s_delay_alu instid0(VALU_DEP_4) | instskip(NEXT) | instid1(VALU_DEP_4)
	v_and_b32_e32 v30, 0xff, v30
	v_lshlrev_b16 v34, 8, v34
	s_delay_alu instid0(VALU_DEP_3) | instskip(SKIP_1) | instid1(VALU_DEP_4)
	v_lshrrev_b32_e32 v41, 16, v38
	v_lshrrev_b32_e32 v42, 24, v38
	v_or_b32_e32 v30, v30, v33
	s_delay_alu instid0(VALU_DEP_4) | instskip(SKIP_1) | instid1(VALU_DEP_3)
	v_or_b32_e32 v29, v29, v34
	v_lshrrev_b16 v43, 8, v38
	v_lshlrev_b32_e32 v30, 16, v30
	s_delay_alu instid0(VALU_DEP_3) | instskip(NEXT) | instid1(VALU_DEP_1)
	v_and_b32_e32 v29, 0xffff, v29
	v_or_b32_e32 v30, v29, v30
	s_clause 0x1
	global_load_u8 v29, v[31:32], off offset:98
	global_load_u8 v31, v[31:32], off offset:106
	s_wait_loadcnt 0x1
	v_bfe_u32 v29, v29, v16, 4
	s_wait_loadcnt 0x0
	v_lshrrev_b32_e32 v31, v16, v31
	s_delay_alu instid0(VALU_DEP_1) | instskip(NEXT) | instid1(VALU_DEP_1)
	v_lshlrev_b32_e32 v31, 4, v31
	v_and_or_b32 v29, v31, 48, v29
	v_lshrrev_b32_e32 v31, 2, v39
	s_delay_alu instid0(VALU_DEP_2) | instskip(NEXT) | instid1(VALU_DEP_2)
	v_subrev_nc_u32_e32 v29, 32, v29
	v_and_b32_e32 v32, 0x3030303, v31
	v_bfe_u32 v31, v31, 24, 2
	s_delay_alu instid0(VALU_DEP_2) | instskip(SKIP_2) | instid1(VALU_DEP_4)
	v_lshrrev_b32_e32 v33, 16, v32
	v_lshrrev_b16 v34, 8, v32
	v_sub_nc_u16 v32, v32, v38
	v_sub_nc_u16 v31, v31, v42
	s_delay_alu instid0(VALU_DEP_4) | instskip(NEXT) | instid1(VALU_DEP_4)
	v_sub_nc_u16 v33, v33, v41
	v_sub_nc_u16 v34, v34, v43
	s_delay_alu instid0(VALU_DEP_4) | instskip(NEXT) | instid1(VALU_DEP_4)
	v_and_b32_e32 v32, 0xff, v32
	v_lshlrev_b16 v31, 8, v31
	v_and_b32_e32 v41, 0x4040404, v40
	v_and_b32_e32 v33, 0xff, v33
	v_lshlrev_b16 v34, 8, v34
	s_delay_alu instid0(VALU_DEP_3) | instskip(NEXT) | instid1(VALU_DEP_3)
	v_lshrrev_b32_e32 v42, 16, v41
	v_or_b32_e32 v31, v33, v31
	s_delay_alu instid0(VALU_DEP_3) | instskip(SKIP_3) | instid1(VALU_DEP_3)
	v_or_b32_e32 v32, v32, v34
	v_add_co_u32 v33, vcc_lo, v35, v17
	s_wait_alu 0xfffd
	v_add_co_ci_u32_e64 v34, null, 0, v36, vcc_lo
	v_and_b32_e32 v32, 0xffff, v32
	v_lshlrev_b32_e32 v31, 16, v31
	v_lshrrev_b32_e32 v43, 24, v41
	v_lshrrev_b16 v44, 8, v41
	s_delay_alu instid0(VALU_DEP_3) | instskip(SKIP_2) | instid1(VALU_DEP_1)
	v_or_b32_e32 v32, v32, v31
	global_load_u8 v31, v[33:34], off offset:96
	v_lshrrev_b32_e32 v33, v18, v37
	v_lshlrev_b32_e32 v33, 4, v33
	s_wait_loadcnt 0x0
	v_bfe_u32 v31, v31, v16, 4
	s_delay_alu instid0(VALU_DEP_1) | instskip(SKIP_1) | instid1(VALU_DEP_2)
	v_and_or_b32 v31, v33, 48, v31
	v_lshrrev_b32_e32 v33, 4, v39
	v_subrev_nc_u32_e32 v31, 32, v31
	s_delay_alu instid0(VALU_DEP_2) | instskip(SKIP_1) | instid1(VALU_DEP_2)
	v_and_b32_e32 v34, 0x3030303, v33
	v_bfe_u32 v33, v33, 24, 2
	v_lshrrev_b32_e32 v37, 16, v34
	v_lshrrev_b16 v38, 8, v34
	v_sub_nc_u16 v34, v34, v41
	s_delay_alu instid0(VALU_DEP_4) | instskip(NEXT) | instid1(VALU_DEP_4)
	v_sub_nc_u16 v33, v33, v43
	v_sub_nc_u16 v37, v37, v42
	s_delay_alu instid0(VALU_DEP_4) | instskip(NEXT) | instid1(VALU_DEP_4)
	v_sub_nc_u16 v38, v38, v44
	v_and_b32_e32 v34, 0xff, v34
	s_delay_alu instid0(VALU_DEP_4) | instskip(NEXT) | instid1(VALU_DEP_4)
	v_lshlrev_b16 v33, 8, v33
	v_and_b32_e32 v37, 0xff, v37
	s_delay_alu instid0(VALU_DEP_4) | instskip(NEXT) | instid1(VALU_DEP_2)
	v_lshlrev_b16 v38, 8, v38
	v_or_b32_e32 v33, v37, v33
	s_delay_alu instid0(VALU_DEP_2)
	v_or_b32_e32 v34, v34, v38
	v_add_co_u32 v37, vcc_lo, v35, v19
	s_wait_alu 0xfffd
	v_add_co_ci_u32_e64 v38, null, 0, v36, vcc_lo
	v_add_co_u32 v35, vcc_lo, v35, v20
	v_and_b32_e32 v34, 0xffff, v34
	v_lshlrev_b32_e32 v33, 16, v33
	s_wait_alu 0xfffd
	v_add_co_ci_u32_e64 v36, null, 0, v36, vcc_lo
	s_delay_alu instid0(VALU_DEP_2)
	v_or_b32_e32 v34, v34, v33
	s_clause 0x1
	global_load_u8 v33, v[37:38], off offset:96
	global_load_u8 v35, v[35:36], off offset:104
	v_lshrrev_b32_e32 v37, 30, v39
	s_wait_loadcnt 0x1
	v_bfe_u32 v33, v33, v16, 4
	s_wait_loadcnt 0x0
	v_lshrrev_b32_e32 v35, v21, v35
	s_delay_alu instid0(VALU_DEP_1) | instskip(NEXT) | instid1(VALU_DEP_1)
	v_lshlrev_b32_e32 v35, 4, v35
	v_and_or_b32 v33, v35, 48, v33
	v_lshrrev_b32_e32 v35, 6, v39
	v_lshrrev_b32_e32 v39, 1, v40
	s_delay_alu instid0(VALU_DEP_3) | instskip(NEXT) | instid1(VALU_DEP_3)
	v_subrev_nc_u32_e32 v33, 32, v33
	v_and_b32_e32 v35, 0x3030303, v35
	s_delay_alu instid0(VALU_DEP_3) | instskip(NEXT) | instid1(VALU_DEP_2)
	v_and_b32_e32 v39, 0x4040404, v39
	v_lshrrev_b32_e32 v36, 16, v35
	v_lshrrev_b16 v38, 8, v35
	s_delay_alu instid0(VALU_DEP_3) | instskip(SKIP_3) | instid1(VALU_DEP_4)
	v_lshrrev_b32_e32 v40, 16, v39
	v_lshrrev_b32_e32 v41, 24, v39
	v_lshrrev_b16 v42, 8, v39
	v_sub_nc_u16 v35, v35, v39
	v_sub_nc_u16 v36, v36, v40
	s_delay_alu instid0(VALU_DEP_4) | instskip(NEXT) | instid1(VALU_DEP_4)
	v_sub_nc_u16 v37, v37, v41
	v_sub_nc_u16 v38, v38, v42
	s_delay_alu instid0(VALU_DEP_4) | instskip(NEXT) | instid1(VALU_DEP_4)
	v_and_b32_e32 v35, 0xff, v35
	v_and_b32_e32 v36, 0xff, v36
	s_delay_alu instid0(VALU_DEP_4) | instskip(NEXT) | instid1(VALU_DEP_4)
	v_lshlrev_b16 v37, 8, v37
	v_lshlrev_b16 v38, 8, v38
	s_delay_alu instid0(VALU_DEP_2) | instskip(NEXT) | instid1(VALU_DEP_2)
	v_or_b32_e32 v36, v36, v37
	v_or_b32_e32 v35, v35, v38
	s_delay_alu instid0(VALU_DEP_2) | instskip(NEXT) | instid1(VALU_DEP_2)
	v_lshlrev_b32_e32 v36, 16, v36
	v_and_b32_e32 v35, 0xffff, v35
	s_delay_alu instid0(VALU_DEP_1)
	v_or_b32_e32 v35, v35, v36
	v_add_co_u32 v36, vcc_lo, v2, v22
	s_wait_alu 0xfffd
	v_add_co_ci_u32_e64 v37, null, 0, v3, vcc_lo
	s_clause 0x7
	global_load_b32 v38, v[36:37], off offset:4
	global_load_b32 v39, v[2:3], off
	global_load_b32 v40, v[36:37], off offset:40
	global_load_b32 v41, v[2:3], off offset:36
	;; [unrolled: 1-line block ×6, first 2 shown]
	s_wait_loadcnt 0x7
	v_dot4_i32_iu8 v38, v30, v38, 0 neg_lo:[1,1,0]
	s_delay_alu instid0(VALU_DEP_1) | instskip(SKIP_2) | instid1(VALU_DEP_1)
	v_mul_lo_u32 v38, v28, v38
	s_wait_loadcnt 0x1
	v_dot4_i32_iu8 v36, v35, v36, 0 neg_lo:[1,1,0]
	v_mul_lo_u32 v36, v33, v36
	s_delay_alu instid0(VALU_DEP_3) | instskip(NEXT) | instid1(VALU_DEP_1)
	v_cvt_f32_i32_e32 v38, v38
	v_fma_mix_f32 v38, v39, v38, 0 op_sel_hi:[1,0,0]
	v_dot4_i32_iu8 v39, v32, v40, 0 neg_lo:[1,1,0]
	s_delay_alu instid0(VALU_DEP_4) | instskip(NEXT) | instid1(VALU_DEP_2)
	v_cvt_f32_i32_e32 v36, v36
	v_mul_lo_u32 v39, v29, v39
	s_delay_alu instid0(VALU_DEP_1) | instskip(NEXT) | instid1(VALU_DEP_1)
	v_cvt_f32_i32_e32 v39, v39
	v_fma_mix_f32 v38, v41, v39, v38 op_sel_hi:[1,0,0]
	v_dot4_i32_iu8 v39, v34, v42, 0 neg_lo:[1,1,0]
	s_delay_alu instid0(VALU_DEP_1) | instskip(NEXT) | instid1(VALU_DEP_1)
	v_mul_lo_u32 v39, v31, v39
	v_cvt_f32_i32_e32 v39, v39
	s_delay_alu instid0(VALU_DEP_1) | instskip(SKIP_1) | instid1(VALU_DEP_1)
	v_fma_mix_f32 v38, v43, v39, v38 op_sel_hi:[1,0,0]
	s_wait_loadcnt 0x0
	v_fma_mix_f32 v36, v37, v36, v38 op_sel_hi:[1,0,0]
	s_delay_alu instid0(VALU_DEP_1) | instskip(SKIP_1) | instid1(VALU_DEP_1)
	v_fma_mix_f32 v11, v36, v27, v11 op_sel_hi:[0,1,0]
	v_add_nc_u32_e32 v36, s5, v23
	v_mad_co_u64_u32 v[36:37], null, v36, 36, v[0:1]
	s_delay_alu instid0(VALU_DEP_1) | instskip(SKIP_1) | instid1(VALU_DEP_2)
	v_add_co_u32 v38, vcc_lo, v36, v26
	s_wait_alu 0xfffd
	v_add_co_ci_u32_e64 v39, null, 0, v37, vcc_lo
	s_clause 0x7
	global_load_b32 v40, v[38:39], off offset:4
	global_load_b32 v41, v[36:37], off
	global_load_b32 v42, v[38:39], off offset:40
	global_load_b32 v43, v[36:37], off offset:36
	;; [unrolled: 1-line block ×6, first 2 shown]
	v_add_nc_u32_e32 v36, s4, v23
	s_delay_alu instid0(VALU_DEP_1)
	v_mad_co_u64_u32 v[36:37], null, v36, 36, v[0:1]
	s_wait_loadcnt 0x7
	v_dot4_i32_iu8 v40, v30, v40, 0 neg_lo:[1,1,0]
	s_wait_loadcnt 0x5
	v_dot4_i32_iu8 v42, v32, v42, 0 neg_lo:[1,1,0]
	s_wait_loadcnt 0x3
	v_dot4_i32_iu8 v44, v34, v44, 0 neg_lo:[1,1,0]
	v_mul_lo_u32 v40, v28, v40
	s_wait_loadcnt 0x1
	v_dot4_i32_iu8 v47, v35, v38, 0 neg_lo:[1,1,0]
	v_add_co_u32 v38, vcc_lo, v36, v26
	s_wait_alu 0xfffd
	v_add_co_ci_u32_e64 v39, null, 0, v37, vcc_lo
	s_clause 0x7
	global_load_b32 v48, v[38:39], off offset:4
	global_load_b32 v49, v[36:37], off
	global_load_b32 v50, v[38:39], off offset:40
	global_load_b32 v51, v[36:37], off offset:36
	;; [unrolled: 1-line block ×6, first 2 shown]
	v_cvt_f32_i32_e32 v40, v40
	s_delay_alu instid0(VALU_DEP_1) | instskip(SKIP_1) | instid1(VALU_DEP_1)
	v_fma_mix_f32 v40, v41, v40, 0 op_sel_hi:[1,0,0]
	v_mul_lo_u32 v41, v29, v42
	v_cvt_f32_i32_e32 v41, v41
	s_wait_loadcnt 0x7
	v_dot4_i32_iu8 v37, v30, v48, 0 neg_lo:[1,1,0]
	s_wait_loadcnt 0x5
	v_dot4_i32_iu8 v39, v32, v50, 0 neg_lo:[1,1,0]
	;; [unrolled: 2-line block ×3, first 2 shown]
	v_mul_lo_u32 v37, v28, v37
	s_wait_loadcnt 0x1
	v_dot4_i32_iu8 v38, v35, v38, 0 neg_lo:[1,1,0]
	v_mul_lo_u32 v39, v29, v39
	s_delay_alu instid0(VALU_DEP_2) | instskip(NEXT) | instid1(VALU_DEP_4)
	v_mul_lo_u32 v38, v33, v38
	v_cvt_f32_i32_e32 v37, v37
	s_delay_alu instid0(VALU_DEP_3) | instskip(NEXT) | instid1(VALU_DEP_2)
	v_cvt_f32_i32_e32 v39, v39
	v_fma_mix_f32 v37, v49, v37, 0 op_sel_hi:[1,0,0]
	s_delay_alu instid0(VALU_DEP_4) | instskip(NEXT) | instid1(VALU_DEP_2)
	v_cvt_f32_i32_e32 v38, v38
	v_fma_mix_f32 v37, v51, v39, v37 op_sel_hi:[1,0,0]
	v_fma_mix_f32 v39, v43, v41, v40 op_sel_hi:[1,0,0]
	v_mul_lo_u32 v40, v31, v44
	v_mul_lo_u32 v41, v31, v48
	s_delay_alu instid0(VALU_DEP_2) | instskip(NEXT) | instid1(VALU_DEP_2)
	v_cvt_f32_i32_e32 v40, v40
	v_cvt_f32_i32_e32 v41, v41
	s_delay_alu instid0(VALU_DEP_2) | instskip(SKIP_1) | instid1(VALU_DEP_3)
	v_fma_mix_f32 v39, v45, v40, v39 op_sel_hi:[1,0,0]
	v_mul_lo_u32 v40, v33, v47
	v_fma_mix_f32 v37, v53, v41, v37 op_sel_hi:[1,0,0]
	s_wait_loadcnt 0x0
	s_delay_alu instid0(VALU_DEP_1) | instskip(NEXT) | instid1(VALU_DEP_3)
	v_fma_mix_f32 v36, v36, v38, v37 op_sel_hi:[1,0,0]
	v_cvt_f32_i32_e32 v40, v40
	s_delay_alu instid0(VALU_DEP_2) | instskip(SKIP_1) | instid1(VALU_DEP_3)
	v_fma_mix_f32 v10, v36, v27, v10 op_sel_hi:[0,1,0]
	v_add_nc_u32_e32 v36, s7, v23
	v_fma_mix_f32 v37, v46, v40, v39 op_sel_hi:[1,0,0]
	s_delay_alu instid0(VALU_DEP_1) | instskip(NEXT) | instid1(VALU_DEP_3)
	v_fma_mix_f32 v13, v37, v27, v13 op_sel_hi:[0,1,0]
	v_mad_co_u64_u32 v[36:37], null, v36, 36, v[0:1]
	s_delay_alu instid0(VALU_DEP_1) | instskip(SKIP_1) | instid1(VALU_DEP_2)
	v_add_co_u32 v38, vcc_lo, v36, v26
	s_wait_alu 0xfffd
	v_add_co_ci_u32_e64 v39, null, 0, v37, vcc_lo
	s_clause 0x7
	global_load_b32 v40, v[38:39], off offset:4
	global_load_b32 v41, v[36:37], off
	global_load_b32 v42, v[38:39], off offset:40
	global_load_b32 v43, v[36:37], off offset:36
	;; [unrolled: 1-line block ×6, first 2 shown]
	s_wait_alu 0xfffe
	v_add_nc_u32_e32 v36, s8, v23
	s_delay_alu instid0(VALU_DEP_1)
	v_mad_co_u64_u32 v[36:37], null, v36, 36, v[0:1]
	s_wait_loadcnt 0x7
	v_dot4_i32_iu8 v40, v30, v40, 0 neg_lo:[1,1,0]
	s_wait_loadcnt 0x5
	v_dot4_i32_iu8 v42, v32, v42, 0 neg_lo:[1,1,0]
	s_wait_loadcnt 0x3
	v_dot4_i32_iu8 v44, v34, v44, 0 neg_lo:[1,1,0]
	v_mul_lo_u32 v40, v28, v40
	s_wait_loadcnt 0x1
	v_dot4_i32_iu8 v47, v35, v38, 0 neg_lo:[1,1,0]
	v_add_co_u32 v38, vcc_lo, v36, v26
	s_wait_alu 0xfffd
	v_add_co_ci_u32_e64 v39, null, 0, v37, vcc_lo
	s_clause 0x7
	global_load_b32 v48, v[38:39], off offset:4
	global_load_b32 v49, v[36:37], off
	global_load_b32 v50, v[38:39], off offset:40
	global_load_b32 v51, v[36:37], off offset:36
	;; [unrolled: 1-line block ×6, first 2 shown]
	v_cvt_f32_i32_e32 v40, v40
	s_delay_alu instid0(VALU_DEP_1) | instskip(SKIP_1) | instid1(VALU_DEP_1)
	v_fma_mix_f32 v40, v41, v40, 0 op_sel_hi:[1,0,0]
	v_mul_lo_u32 v41, v29, v42
	v_cvt_f32_i32_e32 v41, v41
	s_wait_loadcnt 0x7
	v_dot4_i32_iu8 v37, v30, v48, 0 neg_lo:[1,1,0]
	s_wait_loadcnt 0x5
	v_dot4_i32_iu8 v39, v32, v50, 0 neg_lo:[1,1,0]
	;; [unrolled: 2-line block ×3, first 2 shown]
	v_mul_lo_u32 v37, v28, v37
	s_wait_loadcnt 0x1
	v_dot4_i32_iu8 v38, v35, v38, 0 neg_lo:[1,1,0]
	v_mul_lo_u32 v39, v29, v39
	s_delay_alu instid0(VALU_DEP_2) | instskip(NEXT) | instid1(VALU_DEP_4)
	v_mul_lo_u32 v38, v33, v38
	v_cvt_f32_i32_e32 v37, v37
	s_delay_alu instid0(VALU_DEP_3) | instskip(NEXT) | instid1(VALU_DEP_2)
	v_cvt_f32_i32_e32 v39, v39
	v_fma_mix_f32 v37, v49, v37, 0 op_sel_hi:[1,0,0]
	s_delay_alu instid0(VALU_DEP_4) | instskip(NEXT) | instid1(VALU_DEP_2)
	v_cvt_f32_i32_e32 v38, v38
	v_fma_mix_f32 v37, v51, v39, v37 op_sel_hi:[1,0,0]
	v_fma_mix_f32 v39, v43, v41, v40 op_sel_hi:[1,0,0]
	v_mul_lo_u32 v40, v31, v44
	v_mul_lo_u32 v41, v31, v48
	s_delay_alu instid0(VALU_DEP_2) | instskip(NEXT) | instid1(VALU_DEP_2)
	v_cvt_f32_i32_e32 v40, v40
	v_cvt_f32_i32_e32 v41, v41
	s_delay_alu instid0(VALU_DEP_2) | instskip(SKIP_1) | instid1(VALU_DEP_3)
	v_fma_mix_f32 v39, v45, v40, v39 op_sel_hi:[1,0,0]
	v_mul_lo_u32 v40, v33, v47
	v_fma_mix_f32 v37, v53, v41, v37 op_sel_hi:[1,0,0]
	s_wait_loadcnt 0x0
	s_delay_alu instid0(VALU_DEP_1) | instskip(NEXT) | instid1(VALU_DEP_3)
	v_fma_mix_f32 v36, v36, v38, v37 op_sel_hi:[1,0,0]
	v_cvt_f32_i32_e32 v40, v40
	s_delay_alu instid0(VALU_DEP_2) | instskip(SKIP_1) | instid1(VALU_DEP_3)
	v_fma_mix_f32 v7, v36, v27, v7 op_sel_hi:[0,1,0]
	v_add_nc_u32_e32 v36, s9, v23
	v_fma_mix_f32 v37, v46, v40, v39 op_sel_hi:[1,0,0]
	s_delay_alu instid0(VALU_DEP_1) | instskip(NEXT) | instid1(VALU_DEP_3)
	v_fma_mix_f32 v8, v37, v27, v8 op_sel_hi:[0,1,0]
	v_mad_co_u64_u32 v[36:37], null, v36, 36, v[0:1]
	s_delay_alu instid0(VALU_DEP_1) | instskip(SKIP_1) | instid1(VALU_DEP_2)
	v_add_co_u32 v38, vcc_lo, v36, v26
	s_wait_alu 0xfffd
	v_add_co_ci_u32_e64 v39, null, 0, v37, vcc_lo
	s_clause 0x7
	global_load_b32 v40, v[38:39], off offset:4
	global_load_b32 v41, v[36:37], off
	global_load_b32 v42, v[38:39], off offset:40
	global_load_b32 v43, v[36:37], off offset:36
	;; [unrolled: 1-line block ×6, first 2 shown]
	v_add_nc_u32_e32 v36, s11, v23
	v_add_nc_u32_e32 v23, 16, v23
	s_delay_alu instid0(VALU_DEP_2)
	v_mad_co_u64_u32 v[36:37], null, v36, 36, v[0:1]
	s_wait_loadcnt 0x7
	v_dot4_i32_iu8 v40, v30, v40, 0 neg_lo:[1,1,0]
	s_wait_loadcnt 0x5
	v_dot4_i32_iu8 v42, v32, v42, 0 neg_lo:[1,1,0]
	;; [unrolled: 2-line block ×4, first 2 shown]
	v_add_co_u32 v38, vcc_lo, v36, v26
	s_wait_alu 0xfffd
	v_add_co_ci_u32_e64 v39, null, 0, v37, vcc_lo
	s_clause 0x7
	global_load_b32 v48, v[38:39], off offset:4
	global_load_b32 v49, v[36:37], off
	global_load_b32 v50, v[38:39], off offset:40
	global_load_b32 v51, v[36:37], off offset:36
	;; [unrolled: 1-line block ×6, first 2 shown]
	v_mul_lo_u32 v37, v28, v40
	v_add_co_u32 v2, vcc_lo, 0x240, v2
	s_wait_alu 0xfffd
	v_add_co_ci_u32_e64 v3, null, 0, v3, vcc_lo
	v_cmp_le_u32_e32 vcc_lo, s22, v12
	s_or_b32 s3, vcc_lo, s3
	s_wait_loadcnt 0x7
	v_dot4_i32_iu8 v30, v30, v48, 0 neg_lo:[1,1,0]
	s_wait_loadcnt 0x5
	v_dot4_i32_iu8 v32, v32, v50, 0 neg_lo:[1,1,0]
	;; [unrolled: 2-line block ×3, first 2 shown]
	v_mul_lo_u32 v28, v28, v30
	v_cvt_f32_i32_e32 v30, v37
	v_mul_lo_u32 v32, v29, v32
	v_mul_lo_u32 v29, v29, v42
	s_wait_loadcnt 0x1
	v_dot4_i32_iu8 v35, v35, v38, 0 neg_lo:[1,1,0]
	v_fma_mix_f32 v30, v41, v30, 0 op_sel_hi:[1,0,0]
	v_cvt_f32_i32_e32 v28, v28
	v_cvt_f32_i32_e32 v32, v32
	;; [unrolled: 1-line block ×3, first 2 shown]
	s_delay_alu instid0(VALU_DEP_3) | instskip(NEXT) | instid1(VALU_DEP_2)
	v_fma_mix_f32 v28, v49, v28, 0 op_sel_hi:[1,0,0]
	v_fma_mix_f32 v29, v43, v29, v30 op_sel_hi:[1,0,0]
	v_mul_lo_u32 v30, v31, v44
	v_mul_lo_u32 v31, v31, v34
	s_delay_alu instid0(VALU_DEP_4) | instskip(NEXT) | instid1(VALU_DEP_3)
	v_fma_mix_f32 v28, v51, v32, v28 op_sel_hi:[1,0,0]
	v_cvt_f32_i32_e32 v30, v30
	s_delay_alu instid0(VALU_DEP_3) | instskip(NEXT) | instid1(VALU_DEP_2)
	v_cvt_f32_i32_e32 v31, v31
	v_fma_mix_f32 v29, v45, v30, v29 op_sel_hi:[1,0,0]
	s_delay_alu instid0(VALU_DEP_2) | instskip(SKIP_2) | instid1(VALU_DEP_2)
	v_fma_mix_f32 v28, v53, v31, v28 op_sel_hi:[1,0,0]
	v_mul_lo_u32 v30, v33, v35
	v_mul_lo_u32 v31, v33, v47
	v_cvt_f32_i32_e32 v30, v30
	s_delay_alu instid0(VALU_DEP_2) | instskip(SKIP_1) | instid1(VALU_DEP_2)
	v_cvt_f32_i32_e32 v31, v31
	s_wait_loadcnt 0x0
	v_fma_mix_f32 v28, v36, v30, v28 op_sel_hi:[1,0,0]
	s_delay_alu instid0(VALU_DEP_2) | instskip(NEXT) | instid1(VALU_DEP_2)
	v_fma_mix_f32 v29, v46, v31, v29 op_sel_hi:[1,0,0]
	v_fma_mix_f32 v4, v28, v27, v4 op_sel_hi:[0,1,0]
	s_delay_alu instid0(VALU_DEP_2)
	v_fma_mix_f32 v5, v29, v27, v5 op_sel_hi:[0,1,0]
	s_wait_alu 0xfffe
	s_and_not1_b32 exec_lo, exec_lo, s3
	s_cbranch_execnz .LBB118_2
; %bb.3:
	s_or_b32 exec_lo, exec_lo, s3
.LBB118_4:
	s_delay_alu instid0(SALU_CYCLE_1)
	s_or_b32 exec_lo, exec_lo, s21
	s_mov_b32 s3, 0
	; wave barrier
	global_inv scope:SCOPE_SE
	s_mov_b32 s2, exec_lo
	v_cmpx_eq_u32_e32 0, v9
	s_cbranch_execz .LBB118_19
; %bb.5:
	v_mbcnt_lo_u32_b32 v9, -1, 0
	s_load_b64 s[0:1], s[0:1], 0x38
	s_mul_i32 s2, s10, s19
	s_mul_i32 s4, s18, s20
	s_wait_alu 0xfffe
	s_add_co_i32 s2, s2, ttmp9
	v_xor_b32_e32 v0, 16, v9
	v_xor_b32_e32 v1, 8, v9
	;; [unrolled: 1-line block ×3, first 2 shown]
	s_wait_alu 0xfffe
	s_add_co_i32 s2, s2, s4
	s_wait_alu 0xfffe
	s_lshl_b64 s[2:3], s[2:3], 2
	v_cmp_gt_i32_e32 vcc_lo, 32, v0
	s_wait_alu 0xfffd
	v_cndmask_b32_e32 v0, v9, v0, vcc_lo
	v_cmp_gt_i32_e32 vcc_lo, 32, v1
	s_wait_kmcnt 0x0
	s_wait_alu 0xfffe
	s_add_nc_u64 s[0:1], s[0:1], s[2:3]
	s_wait_alu 0xfffd
	v_cndmask_b32_e32 v1, v9, v1, vcc_lo
	s_delay_alu instid0(VALU_DEP_1)
	v_lshlrev_b32_e32 v1, 2, v1
	v_lshlrev_b32_e32 v0, 2, v0
	ds_bpermute_b32 v2, v0, v11
	s_wait_dscnt 0x0
	v_add_f32_e32 v3, v11, v2
	v_xor_b32_e32 v2, 4, v9
	ds_bpermute_b32 v11, v1, v3
	v_cmp_gt_i32_e32 vcc_lo, 32, v2
	s_wait_dscnt 0x0
	s_wait_alu 0xfffd
	v_dual_cndmask_b32 v2, v9, v2 :: v_dual_add_f32 v11, v3, v11
	s_delay_alu instid0(VALU_DEP_1)
	v_lshlrev_b32_e32 v2, 2, v2
	v_xor_b32_e32 v3, 2, v9
	ds_bpermute_b32 v12, v2, v11
	v_cmp_gt_i32_e32 vcc_lo, 32, v3
	s_wait_alu 0xfffd
	v_cndmask_b32_e32 v3, v9, v3, vcc_lo
	v_cmp_gt_i32_e32 vcc_lo, 32, v14
	s_delay_alu instid0(VALU_DEP_2) | instskip(SKIP_3) | instid1(VALU_DEP_2)
	v_lshlrev_b32_e32 v3, 2, v3
	s_wait_alu 0xfffd
	v_cndmask_b32_e32 v9, v9, v14, vcc_lo
	v_cmp_eq_u32_e32 vcc_lo, 0, v6
	v_lshlrev_b32_e32 v9, 2, v9
	s_wait_dscnt 0x0
	v_add_f32_e32 v11, v11, v12
	ds_bpermute_b32 v12, v3, v11
	s_wait_dscnt 0x0
	v_add_f32_e32 v11, v11, v12
	ds_bpermute_b32 v12, v9, v11
	s_and_saveexec_b32 s2, vcc_lo
	s_cbranch_execz .LBB118_7
; %bb.6:
	s_wait_dscnt 0x0
	v_dual_add_f32 v6, v11, v12 :: v_dual_mov_b32 v11, 0
	global_store_b32 v11, v6, s[0:1]
.LBB118_7:
	s_wait_alu 0xfffe
	s_or_b32 exec_lo, exec_lo, s2
	ds_bpermute_b32 v6, v0, v13
	s_wait_dscnt 0x0
	v_add_f32_e32 v6, v13, v6
	ds_bpermute_b32 v11, v1, v6
	s_wait_dscnt 0x0
	v_add_f32_e32 v6, v6, v11
	;; [unrolled: 3-line block ×4, first 2 shown]
	ds_bpermute_b32 v11, v9, v6
	s_and_saveexec_b32 s2, vcc_lo
	s_cbranch_execz .LBB118_9
; %bb.8:
	s_mov_b32 s7, 0
	s_wait_dscnt 0x0
	v_dual_add_f32 v6, v6, v11 :: v_dual_mov_b32 v11, 0
	s_wait_alu 0xfffe
	s_lshl_b64 s[4:5], s[6:7], 2
	s_wait_alu 0xfffe
	s_add_nc_u64 s[4:5], s[0:1], s[4:5]
	global_store_b32 v11, v6, s[4:5]
.LBB118_9:
	s_wait_alu 0xfffe
	s_or_b32 exec_lo, exec_lo, s2
	ds_bpermute_b32 v6, v0, v10
	s_wait_dscnt 0x0
	v_add_f32_e32 v6, v10, v6
	ds_bpermute_b32 v10, v1, v6
	s_wait_dscnt 0x0
	v_add_f32_e32 v6, v6, v10
	;; [unrolled: 3-line block ×4, first 2 shown]
	ds_bpermute_b32 v10, v9, v6
	s_and_saveexec_b32 s2, vcc_lo
	s_cbranch_execz .LBB118_11
; %bb.10:
	s_lshl_b32 s4, s6, 1
	s_mov_b32 s5, 0
	s_wait_dscnt 0x0
	v_add_f32_e32 v6, v6, v10
	v_mov_b32_e32 v10, 0
	s_wait_alu 0xfffe
	s_lshl_b64 s[4:5], s[4:5], 2
	s_wait_alu 0xfffe
	s_add_nc_u64 s[4:5], s[0:1], s[4:5]
	global_store_b32 v10, v6, s[4:5]
.LBB118_11:
	s_wait_alu 0xfffe
	s_or_b32 exec_lo, exec_lo, s2
	ds_bpermute_b32 v6, v0, v8
	s_wait_dscnt 0x0
	v_add_f32_e32 v6, v8, v6
	ds_bpermute_b32 v8, v1, v6
	s_wait_dscnt 0x0
	v_add_f32_e32 v6, v6, v8
	;; [unrolled: 3-line block ×4, first 2 shown]
	ds_bpermute_b32 v8, v9, v6
	s_and_saveexec_b32 s2, vcc_lo
	s_cbranch_execz .LBB118_13
; %bb.12:
	s_mul_i32 s4, s6, 3
	s_mov_b32 s5, 0
	s_wait_dscnt 0x0
	v_add_f32_e32 v6, v6, v8
	v_mov_b32_e32 v8, 0
	s_wait_alu 0xfffe
	s_lshl_b64 s[4:5], s[4:5], 2
	s_wait_alu 0xfffe
	s_add_nc_u64 s[4:5], s[0:1], s[4:5]
	global_store_b32 v8, v6, s[4:5]
.LBB118_13:
	s_wait_alu 0xfffe
	s_or_b32 exec_lo, exec_lo, s2
	ds_bpermute_b32 v6, v0, v7
	s_wait_dscnt 0x0
	v_add_f32_e32 v6, v7, v6
	ds_bpermute_b32 v7, v1, v6
	s_wait_dscnt 0x0
	v_add_f32_e32 v6, v6, v7
	;; [unrolled: 3-line block ×4, first 2 shown]
	ds_bpermute_b32 v7, v9, v6
	s_and_saveexec_b32 s2, vcc_lo
	s_cbranch_execz .LBB118_15
; %bb.14:
	s_lshl_b32 s4, s6, 2
	s_mov_b32 s5, 0
	s_wait_dscnt 0x0
	v_dual_add_f32 v6, v6, v7 :: v_dual_mov_b32 v7, 0
	s_wait_alu 0xfffe
	s_lshl_b64 s[4:5], s[4:5], 2
	s_wait_alu 0xfffe
	s_add_nc_u64 s[4:5], s[0:1], s[4:5]
	global_store_b32 v7, v6, s[4:5]
.LBB118_15:
	s_wait_alu 0xfffe
	s_or_b32 exec_lo, exec_lo, s2
	ds_bpermute_b32 v6, v0, v5
	s_wait_dscnt 0x0
	v_add_f32_e32 v5, v5, v6
	ds_bpermute_b32 v6, v1, v5
	s_wait_dscnt 0x0
	v_add_f32_e32 v5, v5, v6
	;; [unrolled: 3-line block ×4, first 2 shown]
	ds_bpermute_b32 v6, v9, v5
	s_and_saveexec_b32 s2, vcc_lo
	s_cbranch_execz .LBB118_17
; %bb.16:
	s_mul_i32 s4, s6, 5
	s_mov_b32 s5, 0
	s_wait_dscnt 0x0
	v_dual_add_f32 v5, v5, v6 :: v_dual_mov_b32 v6, 0
	s_wait_alu 0xfffe
	s_lshl_b64 s[4:5], s[4:5], 2
	s_wait_alu 0xfffe
	s_add_nc_u64 s[4:5], s[0:1], s[4:5]
	global_store_b32 v6, v5, s[4:5]
.LBB118_17:
	s_wait_alu 0xfffe
	s_or_b32 exec_lo, exec_lo, s2
	ds_bpermute_b32 v0, v0, v4
	s_wait_dscnt 0x0
	v_add_f32_e32 v0, v4, v0
	ds_bpermute_b32 v1, v1, v0
	s_wait_dscnt 0x0
	v_add_f32_e32 v0, v0, v1
	;; [unrolled: 3-line block ×4, first 2 shown]
	ds_bpermute_b32 v1, v9, v0
	s_and_b32 exec_lo, exec_lo, vcc_lo
	s_cbranch_execz .LBB118_19
; %bb.18:
	s_mul_i32 s2, s6, 6
	s_mov_b32 s3, 0
	s_wait_dscnt 0x0
	v_dual_add_f32 v0, v0, v1 :: v_dual_mov_b32 v1, 0
	s_wait_alu 0xfffe
	s_lshl_b64 s[2:3], s[2:3], 2
	s_wait_alu 0xfffe
	s_add_nc_u64 s[0:1], s[0:1], s[2:3]
	global_store_b32 v1, v0, s[0:1]
.LBB118_19:
	s_endpgm
	.section	.rodata,"a",@progbits
	.p2align	6, 0x0
	.amdhsa_kernel _ZL13mul_mat_vec_qIL9ggml_type11ELi7ELb0ELb0EEvPKvS2_PKi31ggml_cuda_mm_fusion_args_devicePfj15HIP_vector_typeIjLj3EEjjjS8_jjjS8_jjjj
		.amdhsa_group_segment_fixed_size 0
		.amdhsa_private_segment_fixed_size 0
		.amdhsa_kernarg_size 144
		.amdhsa_user_sgpr_count 2
		.amdhsa_user_sgpr_dispatch_ptr 0
		.amdhsa_user_sgpr_queue_ptr 0
		.amdhsa_user_sgpr_kernarg_segment_ptr 1
		.amdhsa_user_sgpr_dispatch_id 0
		.amdhsa_user_sgpr_private_segment_size 0
		.amdhsa_wavefront_size32 1
		.amdhsa_uses_dynamic_stack 0
		.amdhsa_enable_private_segment 0
		.amdhsa_system_sgpr_workgroup_id_x 1
		.amdhsa_system_sgpr_workgroup_id_y 1
		.amdhsa_system_sgpr_workgroup_id_z 1
		.amdhsa_system_sgpr_workgroup_info 0
		.amdhsa_system_vgpr_workitem_id 1
		.amdhsa_next_free_vgpr 54
		.amdhsa_next_free_sgpr 28
		.amdhsa_reserve_vcc 1
		.amdhsa_float_round_mode_32 0
		.amdhsa_float_round_mode_16_64 0
		.amdhsa_float_denorm_mode_32 3
		.amdhsa_float_denorm_mode_16_64 3
		.amdhsa_fp16_overflow 0
		.amdhsa_workgroup_processor_mode 1
		.amdhsa_memory_ordered 1
		.amdhsa_forward_progress 1
		.amdhsa_inst_pref_size 38
		.amdhsa_round_robin_scheduling 0
		.amdhsa_exception_fp_ieee_invalid_op 0
		.amdhsa_exception_fp_denorm_src 0
		.amdhsa_exception_fp_ieee_div_zero 0
		.amdhsa_exception_fp_ieee_overflow 0
		.amdhsa_exception_fp_ieee_underflow 0
		.amdhsa_exception_fp_ieee_inexact 0
		.amdhsa_exception_int_div_zero 0
	.end_amdhsa_kernel
	.section	.text._ZL13mul_mat_vec_qIL9ggml_type11ELi7ELb0ELb0EEvPKvS2_PKi31ggml_cuda_mm_fusion_args_devicePfj15HIP_vector_typeIjLj3EEjjjS8_jjjS8_jjjj,"axG",@progbits,_ZL13mul_mat_vec_qIL9ggml_type11ELi7ELb0ELb0EEvPKvS2_PKi31ggml_cuda_mm_fusion_args_devicePfj15HIP_vector_typeIjLj3EEjjjS8_jjjS8_jjjj,comdat
.Lfunc_end118:
	.size	_ZL13mul_mat_vec_qIL9ggml_type11ELi7ELb0ELb0EEvPKvS2_PKi31ggml_cuda_mm_fusion_args_devicePfj15HIP_vector_typeIjLj3EEjjjS8_jjjS8_jjjj, .Lfunc_end118-_ZL13mul_mat_vec_qIL9ggml_type11ELi7ELb0ELb0EEvPKvS2_PKi31ggml_cuda_mm_fusion_args_devicePfj15HIP_vector_typeIjLj3EEjjjS8_jjjS8_jjjj
                                        ; -- End function
	.set _ZL13mul_mat_vec_qIL9ggml_type11ELi7ELb0ELb0EEvPKvS2_PKi31ggml_cuda_mm_fusion_args_devicePfj15HIP_vector_typeIjLj3EEjjjS8_jjjS8_jjjj.num_vgpr, 54
	.set _ZL13mul_mat_vec_qIL9ggml_type11ELi7ELb0ELb0EEvPKvS2_PKi31ggml_cuda_mm_fusion_args_devicePfj15HIP_vector_typeIjLj3EEjjjS8_jjjS8_jjjj.num_agpr, 0
	.set _ZL13mul_mat_vec_qIL9ggml_type11ELi7ELb0ELb0EEvPKvS2_PKi31ggml_cuda_mm_fusion_args_devicePfj15HIP_vector_typeIjLj3EEjjjS8_jjjS8_jjjj.numbered_sgpr, 28
	.set _ZL13mul_mat_vec_qIL9ggml_type11ELi7ELb0ELb0EEvPKvS2_PKi31ggml_cuda_mm_fusion_args_devicePfj15HIP_vector_typeIjLj3EEjjjS8_jjjS8_jjjj.num_named_barrier, 0
	.set _ZL13mul_mat_vec_qIL9ggml_type11ELi7ELb0ELb0EEvPKvS2_PKi31ggml_cuda_mm_fusion_args_devicePfj15HIP_vector_typeIjLj3EEjjjS8_jjjS8_jjjj.private_seg_size, 0
	.set _ZL13mul_mat_vec_qIL9ggml_type11ELi7ELb0ELb0EEvPKvS2_PKi31ggml_cuda_mm_fusion_args_devicePfj15HIP_vector_typeIjLj3EEjjjS8_jjjS8_jjjj.uses_vcc, 1
	.set _ZL13mul_mat_vec_qIL9ggml_type11ELi7ELb0ELb0EEvPKvS2_PKi31ggml_cuda_mm_fusion_args_devicePfj15HIP_vector_typeIjLj3EEjjjS8_jjjS8_jjjj.uses_flat_scratch, 0
	.set _ZL13mul_mat_vec_qIL9ggml_type11ELi7ELb0ELb0EEvPKvS2_PKi31ggml_cuda_mm_fusion_args_devicePfj15HIP_vector_typeIjLj3EEjjjS8_jjjS8_jjjj.has_dyn_sized_stack, 0
	.set _ZL13mul_mat_vec_qIL9ggml_type11ELi7ELb0ELb0EEvPKvS2_PKi31ggml_cuda_mm_fusion_args_devicePfj15HIP_vector_typeIjLj3EEjjjS8_jjjS8_jjjj.has_recursion, 0
	.set _ZL13mul_mat_vec_qIL9ggml_type11ELi7ELb0ELb0EEvPKvS2_PKi31ggml_cuda_mm_fusion_args_devicePfj15HIP_vector_typeIjLj3EEjjjS8_jjjS8_jjjj.has_indirect_call, 0
	.section	.AMDGPU.csdata,"",@progbits
; Kernel info:
; codeLenInByte = 4832
; TotalNumSgprs: 30
; NumVgprs: 54
; ScratchSize: 0
; MemoryBound: 0
; FloatMode: 240
; IeeeMode: 1
; LDSByteSize: 0 bytes/workgroup (compile time only)
; SGPRBlocks: 0
; VGPRBlocks: 6
; NumSGPRsForWavesPerEU: 30
; NumVGPRsForWavesPerEU: 54
; Occupancy: 16
; WaveLimiterHint : 0
; COMPUTE_PGM_RSRC2:SCRATCH_EN: 0
; COMPUTE_PGM_RSRC2:USER_SGPR: 2
; COMPUTE_PGM_RSRC2:TRAP_HANDLER: 0
; COMPUTE_PGM_RSRC2:TGID_X_EN: 1
; COMPUTE_PGM_RSRC2:TGID_Y_EN: 1
; COMPUTE_PGM_RSRC2:TGID_Z_EN: 1
; COMPUTE_PGM_RSRC2:TIDIG_COMP_CNT: 1
	.section	.text._ZL13mul_mat_vec_qIL9ggml_type11ELi8ELb0ELb0EEvPKvS2_PKi31ggml_cuda_mm_fusion_args_devicePfj15HIP_vector_typeIjLj3EEjjjS8_jjjS8_jjjj,"axG",@progbits,_ZL13mul_mat_vec_qIL9ggml_type11ELi8ELb0ELb0EEvPKvS2_PKi31ggml_cuda_mm_fusion_args_devicePfj15HIP_vector_typeIjLj3EEjjjS8_jjjS8_jjjj,comdat
	.globl	_ZL13mul_mat_vec_qIL9ggml_type11ELi8ELb0ELb0EEvPKvS2_PKi31ggml_cuda_mm_fusion_args_devicePfj15HIP_vector_typeIjLj3EEjjjS8_jjjS8_jjjj ; -- Begin function _ZL13mul_mat_vec_qIL9ggml_type11ELi8ELb0ELb0EEvPKvS2_PKi31ggml_cuda_mm_fusion_args_devicePfj15HIP_vector_typeIjLj3EEjjjS8_jjjS8_jjjj
	.p2align	8
	.type	_ZL13mul_mat_vec_qIL9ggml_type11ELi8ELb0ELb0EEvPKvS2_PKi31ggml_cuda_mm_fusion_args_devicePfj15HIP_vector_typeIjLj3EEjjjS8_jjjS8_jjjj,@function
_ZL13mul_mat_vec_qIL9ggml_type11ELi8ELb0ELb0EEvPKvS2_PKi31ggml_cuda_mm_fusion_args_devicePfj15HIP_vector_typeIjLj3EEjjjS8_jjjS8_jjjj: ; @_ZL13mul_mat_vec_qIL9ggml_type11ELi8ELb0ELb0EEvPKvS2_PKi31ggml_cuda_mm_fusion_args_devicePfj15HIP_vector_typeIjLj3EEjjjS8_jjjS8_jjjj
; %bb.0:
	s_clause 0x5
	s_load_b96 s[16:18], s[0:1], 0x80
	s_load_b32 s2, s[0:1], 0x40
	s_load_b128 s[4:7], s[0:1], 0x50
	s_load_b32 s23, s[0:1], 0x60
	s_load_b128 s[8:11], s[0:1], 0x68
	s_load_b32 s24, s[0:1], 0x78
	v_bfe_u32 v10, v0, 10, 10
	v_dual_mov_b32 v4, 0 :: v_dual_and_b32 v7, 0x3ff, v0
	v_dual_mov_b32 v5, 0 :: v_dual_mov_b32 v6, 0
	v_dual_mov_b32 v8, 0 :: v_dual_mov_b32 v9, 0
	s_delay_alu instid0(VALU_DEP_3) | instskip(SKIP_3) | instid1(VALU_DEP_3)
	v_lshl_or_b32 v0, v10, 5, v7
	v_dual_mov_b32 v11, 0 :: v_dual_mov_b32 v14, 0
	v_mov_b32_e32 v13, 0
	s_and_b32 s19, ttmp7, 0xffff
	v_lshrrev_b32_e32 v12, 4, v0
	s_lshr_b32 s20, ttmp7, 16
	s_mov_b32 s21, exec_lo
	s_wait_kmcnt 0x0
	s_lshr_b32 s22, s2, 8
	s_delay_alu instid0(SALU_CYCLE_1)
	v_cmpx_gt_u32_e64 s22, v12
	s_cbranch_execz .LBB119_4
; %bb.1:
	s_load_b128 s[12:15], s[0:1], 0x0
	v_dual_mov_b32 v4, 0 :: v_dual_and_b32 v5, 7, v7
	v_and_b32_e32 v6, 8, v7
	v_bfe_u32 v15, v7, 2, 1
	v_lshl_add_u32 v2, v10, 5, v7
	v_bfe_u32 v13, v7, 3, 1
	v_lshlrev_b32_e32 v9, 1, v5
	v_lshlrev_b32_e32 v23, 2, v5
	;; [unrolled: 1-line block ×3, first 2 shown]
	v_lshrrev_b32_e32 v18, 4, v2
	v_mul_hi_u32_u24_e32 v3, 0x90, v13
	v_mul_u32_u24_e32 v2, 0x90, v13
	v_mov_b32_e32 v5, 0
	v_or_b32_e32 v11, v15, v6
	s_mul_hi_u32 s7, s7, s19
	s_mul_hi_u32 s11, s11, s20
	v_lshrrev_b32_e32 v0, 1, v7
	s_mul_i32 s2, s17, s20
	s_mov_b32 s3, 0
	s_add_co_i32 s7, s19, s7
	s_add_co_i32 s11, s20, s11
	v_lshlrev_b32_e32 v1, 1, v7
	v_or_b32_e32 v14, 6, v11
	v_mad_co_u64_u32 v[2:3], null, 0x120, v18, v[2:3]
	s_mul_u64 s[26:27], s[2:3], 36
	s_mul_i32 s2, s9, s19
	s_lshr_b32 s7, s7, s23
	s_lshr_b32 s9, s11, s24
	v_and_b32_e32 v16, 4, v0
	v_or_b32_e32 v11, 4, v11
	s_mul_u64 s[24:25], s[2:3], 36
	s_mul_i32 s2, s7, s8
	s_mul_i32 s7, s9, s16
	s_wait_kmcnt 0x0
	s_add_nc_u64 s[8:9], s[14:15], s[26:27]
	v_and_b32_e32 v8, 30, v1
	s_add_nc_u64 s[8:9], s[8:9], s[24:25]
	v_lshrrev_b32_e32 v17, 1, v6
	v_lshrrev_b32_e32 v6, 1, v14
	v_dual_mov_b32 v13, 0 :: v_dual_and_b32 v18, 5, v11
	v_lshrrev_b32_e32 v19, 1, v11
	v_mov_b32_e32 v11, 0
	v_mad_co_u64_u32 v[0:1], null, v16, 36, s[8:9]
	v_add_co_u32 v2, vcc_lo, s8, v2
	s_mul_i32 s4, s4, ttmp9
	v_and_b32_e32 v20, 7, v14
	v_dual_mov_b32 v14, 0 :: v_dual_and_b32 v21, 3, v14
	v_and_b32_e32 v22, 6, v6
	v_add_co_ci_u32_e64 v3, null, s9, v3, vcc_lo
	v_lshlrev_b32_e32 v24, 3, v12
	v_mov_b32_e32 v6, 0
	v_dual_mov_b32 v9, 0 :: v_dual_lshlrev_b32 v26, 1, v9
	v_dual_mov_b32 v8, 0 :: v_dual_lshlrev_b32 v25, 1, v8
	s_add_co_i32 s2, s2, s4
	s_lshl_b32 s4, s5, 1
	s_add_co_i32 s2, s7, s2
	s_mul_i32 s7, s5, 3
	s_lshl_b32 s8, s5, 2
	s_mul_i32 s9, s5, 5
	s_mul_i32 s11, s5, 6
	;; [unrolled: 1-line block ×3, first 2 shown]
.LBB119_2:                              ; =>This Inner Loop Header: Depth=1
	v_add_nc_u32_e32 v28, s2, v12
	v_add_nc_u32_e32 v12, 2, v12
	s_delay_alu instid0(VALU_DEP_2) | instskip(NEXT) | instid1(VALU_DEP_1)
	v_mad_co_i64_i32 v[37:38], null, 0x6e, v28, s[12:13]
	v_add_co_u32 v29, vcc_lo, v37, v25
	s_wait_alu 0xfffd
	s_delay_alu instid0(VALU_DEP_2)
	v_add_co_ci_u32_e64 v30, null, 0, v38, vcc_lo
	s_clause 0x1
	global_load_u16 v28, v[37:38], off offset:108
	global_load_b32 v34, v[29:30], off offset:32
	v_add_co_u32 v29, vcc_lo, v37, v26
	s_wait_alu 0xfffd
	v_add_co_ci_u32_e64 v30, null, 0, v38, vcc_lo
	global_load_b32 v29, v[29:30], off
	v_add_co_u32 v30, vcc_lo, v37, v15
	s_wait_alu 0xfffd
	v_add_co_ci_u32_e64 v31, null, 0, v38, vcc_lo
	global_load_u8 v33, v[30:31], off offset:104
	s_wait_loadcnt 0x2
	v_bfe_u32 v36, v34, 24, 2
	s_wait_loadcnt 0x1
	v_ashrrev_i32_e32 v29, v16, v29
	s_delay_alu instid0(VALU_DEP_1) | instskip(SKIP_4) | instid1(VALU_DEP_2)
	v_not_b32_e32 v41, v29
	global_load_u8 v29, v[30:31], off offset:96
	s_wait_loadcnt 0x1
	v_lshrrev_b32_e32 v32, v17, v33
	v_lshlrev_b32_e32 v40, 2, v41
	v_lshlrev_b32_e32 v32, 4, v32
	s_delay_alu instid0(VALU_DEP_2) | instskip(NEXT) | instid1(VALU_DEP_1)
	v_and_b32_e32 v40, 0x4040404, v40
	v_lshrrev_b32_e32 v42, 16, v40
	v_lshrrev_b32_e32 v43, 24, v40
	v_lshrrev_b16 v44, 8, v40
	s_delay_alu instid0(VALU_DEP_2) | instskip(NEXT) | instid1(VALU_DEP_1)
	v_sub_nc_u16 v36, v36, v43
	v_lshlrev_b16 v36, 8, v36
	s_wait_loadcnt 0x0
	v_bfe_u32 v29, v29, v17, 4
	s_delay_alu instid0(VALU_DEP_1) | instskip(SKIP_1) | instid1(VALU_DEP_2)
	v_and_or_b32 v29, v32, 48, v29
	v_and_b32_e32 v32, 0x3030303, v34
	v_subrev_nc_u32_e32 v29, 32, v29
	s_delay_alu instid0(VALU_DEP_2) | instskip(SKIP_3) | instid1(VALU_DEP_4)
	v_lshrrev_b32_e32 v35, 16, v32
	v_lshrrev_b16 v39, 8, v32
	v_sub_nc_u16 v32, v32, v40
	v_lshlrev_b32_e32 v40, 1, v41
	v_sub_nc_u16 v35, v35, v42
	s_delay_alu instid0(VALU_DEP_4) | instskip(NEXT) | instid1(VALU_DEP_4)
	v_sub_nc_u16 v39, v39, v44
	v_and_b32_e32 v32, 0xff, v32
	s_delay_alu instid0(VALU_DEP_4) | instskip(NEXT) | instid1(VALU_DEP_4)
	v_and_b32_e32 v40, 0x4040404, v40
	v_and_b32_e32 v35, 0xff, v35
	s_delay_alu instid0(VALU_DEP_4) | instskip(NEXT) | instid1(VALU_DEP_3)
	v_lshlrev_b16 v39, 8, v39
	v_lshrrev_b32_e32 v42, 16, v40
	v_lshrrev_b32_e32 v43, 24, v40
	v_lshrrev_b16 v44, 8, v40
	s_delay_alu instid0(VALU_DEP_4) | instskip(SKIP_1) | instid1(VALU_DEP_2)
	v_or_b32_e32 v32, v32, v39
	v_or_b32_e32 v35, v35, v36
	v_and_b32_e32 v32, 0xffff, v32
	s_delay_alu instid0(VALU_DEP_2) | instskip(NEXT) | instid1(VALU_DEP_1)
	v_lshlrev_b32_e32 v35, 16, v35
	v_or_b32_e32 v35, v32, v35
	s_clause 0x1
	global_load_u8 v32, v[30:31], off offset:98
	global_load_u8 v30, v[30:31], off offset:106
	v_lshrrev_b32_e32 v31, 2, v34
	s_wait_loadcnt 0x1
	v_bfe_u32 v32, v32, v17, 4
	s_wait_loadcnt 0x0
	v_lshrrev_b32_e32 v30, v17, v30
	s_delay_alu instid0(VALU_DEP_1) | instskip(NEXT) | instid1(VALU_DEP_1)
	v_lshlrev_b32_e32 v30, 4, v30
	v_and_or_b32 v30, v30, 48, v32
	v_and_b32_e32 v32, 0x3030303, v31
	v_bfe_u32 v31, v31, 24, 2
	s_delay_alu instid0(VALU_DEP_3) | instskip(NEXT) | instid1(VALU_DEP_3)
	v_subrev_nc_u32_e32 v30, 32, v30
	v_lshrrev_b32_e32 v36, 16, v32
	v_lshrrev_b16 v39, 8, v32
	v_sub_nc_u16 v32, v32, v40
	v_sub_nc_u16 v31, v31, v43
	s_delay_alu instid0(VALU_DEP_4) | instskip(NEXT) | instid1(VALU_DEP_4)
	v_sub_nc_u16 v36, v36, v42
	v_sub_nc_u16 v39, v39, v44
	s_delay_alu instid0(VALU_DEP_4) | instskip(NEXT) | instid1(VALU_DEP_4)
	v_and_b32_e32 v32, 0xff, v32
	v_lshlrev_b16 v31, 8, v31
	v_and_b32_e32 v42, 0x4040404, v41
	v_and_b32_e32 v36, 0xff, v36
	v_lshlrev_b16 v39, 8, v39
	s_delay_alu instid0(VALU_DEP_3) | instskip(NEXT) | instid1(VALU_DEP_3)
	v_lshrrev_b32_e32 v43, 16, v42
	v_or_b32_e32 v31, v36, v31
	s_delay_alu instid0(VALU_DEP_3) | instskip(SKIP_2) | instid1(VALU_DEP_4)
	v_or_b32_e32 v32, v32, v39
	v_lshrrev_b32_e32 v44, 24, v42
	v_lshrrev_b16 v45, 8, v42
	v_lshlrev_b32_e32 v31, 16, v31
	s_delay_alu instid0(VALU_DEP_4) | instskip(NEXT) | instid1(VALU_DEP_1)
	v_and_b32_e32 v32, 0xffff, v32
	v_or_b32_e32 v36, v32, v31
	v_add_co_u32 v31, vcc_lo, v37, v18
	s_wait_alu 0xfffd
	v_add_co_ci_u32_e64 v32, null, 0, v38, vcc_lo
	global_load_u8 v31, v[31:32], off offset:96
	v_lshrrev_b32_e32 v32, v19, v33
	s_delay_alu instid0(VALU_DEP_1) | instskip(SKIP_2) | instid1(VALU_DEP_1)
	v_lshlrev_b32_e32 v32, 4, v32
	s_wait_loadcnt 0x0
	v_bfe_u32 v31, v31, v17, 4
	v_and_or_b32 v31, v32, 48, v31
	v_lshrrev_b32_e32 v32, 4, v34
	s_delay_alu instid0(VALU_DEP_2) | instskip(NEXT) | instid1(VALU_DEP_2)
	v_subrev_nc_u32_e32 v31, 32, v31
	v_and_b32_e32 v33, 0x3030303, v32
	v_bfe_u32 v32, v32, 24, 2
	s_delay_alu instid0(VALU_DEP_2) | instskip(SKIP_2) | instid1(VALU_DEP_4)
	v_lshrrev_b32_e32 v39, 16, v33
	v_lshrrev_b16 v40, 8, v33
	v_sub_nc_u16 v33, v33, v42
	v_sub_nc_u16 v32, v32, v44
	s_delay_alu instid0(VALU_DEP_4) | instskip(NEXT) | instid1(VALU_DEP_4)
	v_sub_nc_u16 v39, v39, v43
	v_sub_nc_u16 v40, v40, v45
	s_delay_alu instid0(VALU_DEP_4) | instskip(NEXT) | instid1(VALU_DEP_4)
	v_and_b32_e32 v33, 0xff, v33
	v_lshlrev_b16 v32, 8, v32
	s_delay_alu instid0(VALU_DEP_4) | instskip(NEXT) | instid1(VALU_DEP_4)
	v_and_b32_e32 v39, 0xff, v39
	v_lshlrev_b16 v40, 8, v40
	s_delay_alu instid0(VALU_DEP_2) | instskip(NEXT) | instid1(VALU_DEP_2)
	v_or_b32_e32 v32, v39, v32
	v_or_b32_e32 v33, v33, v40
	v_add_co_u32 v39, vcc_lo, v37, v20
	s_wait_alu 0xfffd
	v_add_co_ci_u32_e64 v40, null, 0, v38, vcc_lo
	v_add_co_u32 v37, vcc_lo, v37, v21
	v_and_b32_e32 v33, 0xffff, v33
	v_lshlrev_b32_e32 v32, 16, v32
	s_wait_alu 0xfffd
	v_add_co_ci_u32_e64 v38, null, 0, v38, vcc_lo
	s_delay_alu instid0(VALU_DEP_2) | instskip(SKIP_4) | instid1(VALU_DEP_1)
	v_or_b32_e32 v33, v33, v32
	s_clause 0x1
	global_load_u8 v32, v[39:40], off offset:96
	global_load_u8 v37, v[37:38], off offset:104
	v_lshrrev_b32_e32 v40, 1, v41
	v_and_b32_e32 v40, 0x4040404, v40
	s_delay_alu instid0(VALU_DEP_1)
	v_lshrrev_b32_e32 v41, 16, v40
	v_lshrrev_b32_e32 v42, 24, v40
	v_lshrrev_b16 v43, 8, v40
	s_wait_loadcnt 0x1
	v_bfe_u32 v32, v32, v17, 4
	s_wait_loadcnt 0x0
	v_lshrrev_b32_e32 v37, v22, v37
	s_delay_alu instid0(VALU_DEP_1) | instskip(NEXT) | instid1(VALU_DEP_1)
	v_lshlrev_b32_e32 v37, 4, v37
	v_and_or_b32 v32, v37, 48, v32
	v_lshrrev_b32_e32 v37, 6, v34
	v_lshrrev_b32_e32 v34, 30, v34
	s_delay_alu instid0(VALU_DEP_3) | instskip(NEXT) | instid1(VALU_DEP_3)
	v_subrev_nc_u32_e32 v32, 32, v32
	v_and_b32_e32 v37, 0x3030303, v37
	s_delay_alu instid0(VALU_DEP_3) | instskip(NEXT) | instid1(VALU_DEP_2)
	v_sub_nc_u16 v34, v34, v42
	v_lshrrev_b32_e32 v38, 16, v37
	v_lshrrev_b16 v39, 8, v37
	v_sub_nc_u16 v37, v37, v40
	s_delay_alu instid0(VALU_DEP_4) | instskip(NEXT) | instid1(VALU_DEP_4)
	v_lshlrev_b16 v34, 8, v34
	v_sub_nc_u16 v38, v38, v41
	s_delay_alu instid0(VALU_DEP_4) | instskip(NEXT) | instid1(VALU_DEP_4)
	v_sub_nc_u16 v39, v39, v43
	v_and_b32_e32 v37, 0xff, v37
	s_delay_alu instid0(VALU_DEP_3) | instskip(NEXT) | instid1(VALU_DEP_3)
	v_and_b32_e32 v38, 0xff, v38
	v_lshlrev_b16 v39, 8, v39
	s_delay_alu instid0(VALU_DEP_2) | instskip(NEXT) | instid1(VALU_DEP_2)
	v_or_b32_e32 v34, v38, v34
	v_or_b32_e32 v37, v37, v39
	s_delay_alu instid0(VALU_DEP_2) | instskip(NEXT) | instid1(VALU_DEP_2)
	v_lshlrev_b32_e32 v34, 16, v34
	v_and_b32_e32 v37, 0xffff, v37
	s_delay_alu instid0(VALU_DEP_1)
	v_or_b32_e32 v34, v37, v34
	v_add_co_u32 v37, vcc_lo, v2, v23
	s_wait_alu 0xfffd
	v_add_co_ci_u32_e64 v38, null, 0, v3, vcc_lo
	s_clause 0x7
	global_load_b32 v39, v[37:38], off offset:4
	global_load_b32 v41, v[2:3], off
	global_load_b32 v40, v[37:38], off offset:40
	global_load_b32 v42, v[2:3], off offset:36
	;; [unrolled: 1-line block ×6, first 2 shown]
	s_wait_loadcnt 0x7
	v_dot4_i32_iu8 v46, v35, v39, 0 neg_lo:[1,1,0]
	s_wait_loadcnt 0x5
	v_dot4_i32_iu8 v47, v36, v40, 0 neg_lo:[1,1,0]
	;; [unrolled: 2-line block ×3, first 2 shown]
	v_mul_lo_u32 v46, v29, v46
	s_wait_loadcnt 0x1
	v_dot4_i32_iu8 v48, v34, v37, 0 neg_lo:[1,1,0]
	v_add_nc_u32_e32 v37, s5, v24
	s_delay_alu instid0(VALU_DEP_1) | instskip(NEXT) | instid1(VALU_DEP_4)
	v_mad_co_u64_u32 v[37:38], null, v37, 36, v[0:1]
	v_cvt_f32_i32_e32 v46, v46
	s_delay_alu instid0(VALU_DEP_1) | instskip(NEXT) | instid1(VALU_DEP_3)
	v_fma_mix_f32 v41, v41, v46, 0 op_sel_hi:[1,0,0]
	v_add_co_u32 v39, vcc_lo, v37, v27
	s_wait_alu 0xfffd
	s_delay_alu instid0(VALU_DEP_4)
	v_add_co_ci_u32_e64 v40, null, 0, v38, vcc_lo
	s_clause 0x7
	global_load_b32 v49, v[39:40], off offset:4
	global_load_b32 v50, v[37:38], off
	global_load_b32 v51, v[39:40], off offset:40
	global_load_b32 v52, v[37:38], off offset:36
	global_load_b32 v53, v[39:40], off offset:76
	global_load_b32 v54, v[37:38], off offset:72
	global_load_b32 v39, v[39:40], off offset:112
	global_load_b32 v37, v[37:38], off offset:108
	v_mul_lo_u32 v46, v30, v47
	s_delay_alu instid0(VALU_DEP_1)
	v_cvt_f32_i32_e32 v46, v46
	s_wait_loadcnt 0x7
	v_dot4_i32_iu8 v38, v35, v49, 0 neg_lo:[1,1,0]
	s_wait_loadcnt 0x5
	v_dot4_i32_iu8 v40, v36, v51, 0 neg_lo:[1,1,0]
	;; [unrolled: 2-line block ×3, first 2 shown]
	v_mul_lo_u32 v38, v29, v38
	s_wait_loadcnt 0x1
	v_dot4_i32_iu8 v39, v34, v39, 0 neg_lo:[1,1,0]
	v_mul_lo_u32 v40, v30, v40
	s_delay_alu instid0(VALU_DEP_2) | instskip(NEXT) | instid1(VALU_DEP_4)
	v_mul_lo_u32 v39, v32, v39
	v_cvt_f32_i32_e32 v38, v38
	s_delay_alu instid0(VALU_DEP_3) | instskip(NEXT) | instid1(VALU_DEP_2)
	v_cvt_f32_i32_e32 v40, v40
	v_fma_mix_f32 v38, v50, v38, 0 op_sel_hi:[1,0,0]
	s_delay_alu instid0(VALU_DEP_4) | instskip(NEXT) | instid1(VALU_DEP_2)
	v_cvt_f32_i32_e32 v39, v39
	v_fma_mix_f32 v38, v52, v40, v38 op_sel_hi:[1,0,0]
	v_fma_mix_f32 v40, v42, v46, v41 op_sel_hi:[1,0,0]
	v_mul_lo_u32 v41, v31, v43
	v_mul_lo_u32 v42, v31, v49
	s_delay_alu instid0(VALU_DEP_2) | instskip(NEXT) | instid1(VALU_DEP_2)
	v_cvt_f32_i32_e32 v41, v41
	v_cvt_f32_i32_e32 v42, v42
	s_delay_alu instid0(VALU_DEP_2) | instskip(SKIP_1) | instid1(VALU_DEP_3)
	v_fma_mix_f32 v40, v44, v41, v40 op_sel_hi:[1,0,0]
	v_mul_lo_u32 v41, v32, v48
	v_fma_mix_f32 v38, v54, v42, v38 op_sel_hi:[1,0,0]
	s_wait_loadcnt 0x0
	s_delay_alu instid0(VALU_DEP_1) | instskip(NEXT) | instid1(VALU_DEP_3)
	v_fma_mix_f32 v37, v37, v39, v38 op_sel_hi:[1,0,0]
	v_cvt_f32_i32_e32 v41, v41
	s_delay_alu instid0(VALU_DEP_2) | instskip(SKIP_1) | instid1(VALU_DEP_3)
	v_fma_mix_f32 v13, v37, v28, v13 op_sel_hi:[0,1,0]
	v_add_nc_u32_e32 v37, s4, v24
	v_fma_mix_f32 v38, v45, v41, v40 op_sel_hi:[1,0,0]
	s_delay_alu instid0(VALU_DEP_1) | instskip(NEXT) | instid1(VALU_DEP_3)
	v_fma_mix_f32 v14, v38, v28, v14 op_sel_hi:[0,1,0]
	v_mad_co_u64_u32 v[37:38], null, v37, 36, v[0:1]
	s_delay_alu instid0(VALU_DEP_1) | instskip(SKIP_1) | instid1(VALU_DEP_2)
	v_add_co_u32 v39, vcc_lo, v37, v27
	s_wait_alu 0xfffd
	v_add_co_ci_u32_e64 v40, null, 0, v38, vcc_lo
	s_clause 0x7
	global_load_b32 v41, v[39:40], off offset:4
	global_load_b32 v42, v[37:38], off
	global_load_b32 v43, v[39:40], off offset:40
	global_load_b32 v44, v[37:38], off offset:36
	;; [unrolled: 1-line block ×6, first 2 shown]
	v_add_nc_u32_e32 v37, s7, v24
	s_delay_alu instid0(VALU_DEP_1)
	v_mad_co_u64_u32 v[37:38], null, v37, 36, v[0:1]
	s_wait_loadcnt 0x7
	v_dot4_i32_iu8 v41, v35, v41, 0 neg_lo:[1,1,0]
	s_wait_loadcnt 0x5
	v_dot4_i32_iu8 v43, v36, v43, 0 neg_lo:[1,1,0]
	;; [unrolled: 2-line block ×3, first 2 shown]
	v_mul_lo_u32 v41, v29, v41
	s_wait_loadcnt 0x1
	v_dot4_i32_iu8 v48, v34, v39, 0 neg_lo:[1,1,0]
	v_add_co_u32 v39, vcc_lo, v37, v27
	s_wait_alu 0xfffd
	v_add_co_ci_u32_e64 v40, null, 0, v38, vcc_lo
	s_clause 0x7
	global_load_b32 v49, v[39:40], off offset:4
	global_load_b32 v50, v[37:38], off
	global_load_b32 v51, v[39:40], off offset:40
	global_load_b32 v52, v[37:38], off offset:36
	;; [unrolled: 1-line block ×6, first 2 shown]
	v_cvt_f32_i32_e32 v41, v41
	s_delay_alu instid0(VALU_DEP_1) | instskip(SKIP_1) | instid1(VALU_DEP_1)
	v_fma_mix_f32 v41, v42, v41, 0 op_sel_hi:[1,0,0]
	v_mul_lo_u32 v42, v30, v43
	v_cvt_f32_i32_e32 v42, v42
	s_wait_loadcnt 0x7
	v_dot4_i32_iu8 v38, v35, v49, 0 neg_lo:[1,1,0]
	s_wait_loadcnt 0x5
	v_dot4_i32_iu8 v40, v36, v51, 0 neg_lo:[1,1,0]
	s_wait_loadcnt 0x3
	v_dot4_i32_iu8 v49, v33, v53, 0 neg_lo:[1,1,0]
	v_mul_lo_u32 v38, v29, v38
	s_wait_loadcnt 0x1
	v_dot4_i32_iu8 v39, v34, v39, 0 neg_lo:[1,1,0]
	v_mul_lo_u32 v40, v30, v40
	s_delay_alu instid0(VALU_DEP_2) | instskip(NEXT) | instid1(VALU_DEP_4)
	v_mul_lo_u32 v39, v32, v39
	v_cvt_f32_i32_e32 v38, v38
	s_delay_alu instid0(VALU_DEP_3) | instskip(NEXT) | instid1(VALU_DEP_2)
	v_cvt_f32_i32_e32 v40, v40
	v_fma_mix_f32 v38, v50, v38, 0 op_sel_hi:[1,0,0]
	s_delay_alu instid0(VALU_DEP_4) | instskip(NEXT) | instid1(VALU_DEP_2)
	v_cvt_f32_i32_e32 v39, v39
	v_fma_mix_f32 v38, v52, v40, v38 op_sel_hi:[1,0,0]
	v_fma_mix_f32 v40, v44, v42, v41 op_sel_hi:[1,0,0]
	v_mul_lo_u32 v41, v31, v45
	v_mul_lo_u32 v42, v31, v49
	s_delay_alu instid0(VALU_DEP_2) | instskip(NEXT) | instid1(VALU_DEP_2)
	v_cvt_f32_i32_e32 v41, v41
	v_cvt_f32_i32_e32 v42, v42
	s_delay_alu instid0(VALU_DEP_2) | instskip(SKIP_1) | instid1(VALU_DEP_3)
	v_fma_mix_f32 v40, v46, v41, v40 op_sel_hi:[1,0,0]
	v_mul_lo_u32 v41, v32, v48
	v_fma_mix_f32 v38, v54, v42, v38 op_sel_hi:[1,0,0]
	s_wait_loadcnt 0x0
	s_delay_alu instid0(VALU_DEP_1) | instskip(NEXT) | instid1(VALU_DEP_3)
	v_fma_mix_f32 v37, v37, v39, v38 op_sel_hi:[1,0,0]
	v_cvt_f32_i32_e32 v41, v41
	s_delay_alu instid0(VALU_DEP_2) | instskip(SKIP_2) | instid1(VALU_DEP_3)
	v_fma_mix_f32 v9, v37, v28, v9 op_sel_hi:[0,1,0]
	s_wait_alu 0xfffe
	v_add_nc_u32_e32 v37, s8, v24
	v_fma_mix_f32 v38, v47, v41, v40 op_sel_hi:[1,0,0]
	s_delay_alu instid0(VALU_DEP_1) | instskip(NEXT) | instid1(VALU_DEP_3)
	v_fma_mix_f32 v11, v38, v28, v11 op_sel_hi:[0,1,0]
	v_mad_co_u64_u32 v[37:38], null, v37, 36, v[0:1]
	s_delay_alu instid0(VALU_DEP_1) | instskip(SKIP_1) | instid1(VALU_DEP_2)
	v_add_co_u32 v39, vcc_lo, v37, v27
	s_wait_alu 0xfffd
	v_add_co_ci_u32_e64 v40, null, 0, v38, vcc_lo
	s_clause 0x7
	global_load_b32 v41, v[39:40], off offset:4
	global_load_b32 v42, v[37:38], off
	global_load_b32 v43, v[39:40], off offset:40
	global_load_b32 v44, v[37:38], off offset:36
	;; [unrolled: 1-line block ×6, first 2 shown]
	v_add_nc_u32_e32 v37, s9, v24
	s_delay_alu instid0(VALU_DEP_1)
	v_mad_co_u64_u32 v[37:38], null, v37, 36, v[0:1]
	s_wait_loadcnt 0x7
	v_dot4_i32_iu8 v41, v35, v41, 0 neg_lo:[1,1,0]
	s_wait_loadcnt 0x5
	v_dot4_i32_iu8 v43, v36, v43, 0 neg_lo:[1,1,0]
	;; [unrolled: 2-line block ×3, first 2 shown]
	v_mul_lo_u32 v41, v29, v41
	s_wait_loadcnt 0x1
	v_dot4_i32_iu8 v48, v34, v39, 0 neg_lo:[1,1,0]
	v_add_co_u32 v39, vcc_lo, v37, v27
	s_wait_alu 0xfffd
	v_add_co_ci_u32_e64 v40, null, 0, v38, vcc_lo
	s_clause 0x7
	global_load_b32 v49, v[39:40], off offset:4
	global_load_b32 v50, v[37:38], off
	global_load_b32 v51, v[39:40], off offset:40
	global_load_b32 v52, v[37:38], off offset:36
	;; [unrolled: 1-line block ×6, first 2 shown]
	v_cvt_f32_i32_e32 v41, v41
	s_delay_alu instid0(VALU_DEP_1) | instskip(SKIP_1) | instid1(VALU_DEP_1)
	v_fma_mix_f32 v41, v42, v41, 0 op_sel_hi:[1,0,0]
	v_mul_lo_u32 v42, v30, v43
	v_cvt_f32_i32_e32 v42, v42
	s_wait_loadcnt 0x7
	v_dot4_i32_iu8 v38, v35, v49, 0 neg_lo:[1,1,0]
	s_wait_loadcnt 0x5
	v_dot4_i32_iu8 v40, v36, v51, 0 neg_lo:[1,1,0]
	;; [unrolled: 2-line block ×3, first 2 shown]
	v_mul_lo_u32 v38, v29, v38
	s_wait_loadcnt 0x1
	v_dot4_i32_iu8 v39, v34, v39, 0 neg_lo:[1,1,0]
	v_mul_lo_u32 v40, v30, v40
	s_delay_alu instid0(VALU_DEP_2) | instskip(NEXT) | instid1(VALU_DEP_4)
	v_mul_lo_u32 v39, v32, v39
	v_cvt_f32_i32_e32 v38, v38
	s_delay_alu instid0(VALU_DEP_3) | instskip(NEXT) | instid1(VALU_DEP_2)
	v_cvt_f32_i32_e32 v40, v40
	v_fma_mix_f32 v38, v50, v38, 0 op_sel_hi:[1,0,0]
	s_delay_alu instid0(VALU_DEP_4) | instskip(NEXT) | instid1(VALU_DEP_2)
	v_cvt_f32_i32_e32 v39, v39
	v_fma_mix_f32 v38, v52, v40, v38 op_sel_hi:[1,0,0]
	v_fma_mix_f32 v40, v44, v42, v41 op_sel_hi:[1,0,0]
	v_mul_lo_u32 v41, v31, v45
	v_mul_lo_u32 v42, v31, v49
	s_delay_alu instid0(VALU_DEP_2) | instskip(NEXT) | instid1(VALU_DEP_2)
	v_cvt_f32_i32_e32 v41, v41
	v_cvt_f32_i32_e32 v42, v42
	s_delay_alu instid0(VALU_DEP_2) | instskip(SKIP_1) | instid1(VALU_DEP_3)
	v_fma_mix_f32 v40, v46, v41, v40 op_sel_hi:[1,0,0]
	v_mul_lo_u32 v41, v32, v48
	v_fma_mix_f32 v38, v54, v42, v38 op_sel_hi:[1,0,0]
	s_wait_loadcnt 0x0
	s_delay_alu instid0(VALU_DEP_1) | instskip(NEXT) | instid1(VALU_DEP_3)
	v_fma_mix_f32 v37, v37, v39, v38 op_sel_hi:[1,0,0]
	v_cvt_f32_i32_e32 v41, v41
	s_delay_alu instid0(VALU_DEP_2) | instskip(SKIP_1) | instid1(VALU_DEP_3)
	v_fma_mix_f32 v6, v37, v28, v6 op_sel_hi:[0,1,0]
	v_add_nc_u32_e32 v37, s11, v24
	v_fma_mix_f32 v38, v47, v41, v40 op_sel_hi:[1,0,0]
	s_delay_alu instid0(VALU_DEP_1) | instskip(NEXT) | instid1(VALU_DEP_3)
	v_fma_mix_f32 v8, v38, v28, v8 op_sel_hi:[0,1,0]
	v_mad_co_u64_u32 v[37:38], null, v37, 36, v[0:1]
	s_delay_alu instid0(VALU_DEP_1) | instskip(SKIP_1) | instid1(VALU_DEP_2)
	v_add_co_u32 v39, vcc_lo, v37, v27
	s_wait_alu 0xfffd
	v_add_co_ci_u32_e64 v40, null, 0, v38, vcc_lo
	s_clause 0x7
	global_load_b32 v41, v[39:40], off offset:4
	global_load_b32 v42, v[37:38], off
	global_load_b32 v43, v[39:40], off offset:40
	global_load_b32 v44, v[37:38], off offset:36
	;; [unrolled: 1-line block ×6, first 2 shown]
	v_add_nc_u32_e32 v37, s14, v24
	v_add_nc_u32_e32 v24, 16, v24
	s_delay_alu instid0(VALU_DEP_2)
	v_mad_co_u64_u32 v[37:38], null, v37, 36, v[0:1]
	s_wait_loadcnt 0x7
	v_dot4_i32_iu8 v41, v35, v41, 0 neg_lo:[1,1,0]
	s_wait_loadcnt 0x5
	v_dot4_i32_iu8 v43, v36, v43, 0 neg_lo:[1,1,0]
	;; [unrolled: 2-line block ×4, first 2 shown]
	v_add_co_u32 v39, vcc_lo, v37, v27
	s_wait_alu 0xfffd
	v_add_co_ci_u32_e64 v40, null, 0, v38, vcc_lo
	s_clause 0x7
	global_load_b32 v49, v[39:40], off offset:4
	global_load_b32 v50, v[37:38], off
	global_load_b32 v51, v[39:40], off offset:40
	global_load_b32 v52, v[37:38], off offset:36
	;; [unrolled: 1-line block ×6, first 2 shown]
	v_mul_lo_u32 v38, v29, v41
	v_add_co_u32 v2, vcc_lo, 0x240, v2
	s_wait_alu 0xfffd
	v_add_co_ci_u32_e64 v3, null, 0, v3, vcc_lo
	v_cmp_le_u32_e32 vcc_lo, s22, v12
	s_or_b32 s3, vcc_lo, s3
	s_wait_loadcnt 0x7
	v_dot4_i32_iu8 v35, v35, v49, 0 neg_lo:[1,1,0]
	s_wait_loadcnt 0x5
	v_dot4_i32_iu8 v36, v36, v51, 0 neg_lo:[1,1,0]
	;; [unrolled: 2-line block ×3, first 2 shown]
	v_mul_lo_u32 v29, v29, v35
	v_cvt_f32_i32_e32 v35, v38
	v_mul_lo_u32 v36, v30, v36
	v_mul_lo_u32 v30, v30, v43
	s_wait_loadcnt 0x1
	v_dot4_i32_iu8 v34, v34, v39, 0 neg_lo:[1,1,0]
	v_fma_mix_f32 v35, v42, v35, 0 op_sel_hi:[1,0,0]
	v_cvt_f32_i32_e32 v29, v29
	v_cvt_f32_i32_e32 v36, v36
	;; [unrolled: 1-line block ×3, first 2 shown]
	s_delay_alu instid0(VALU_DEP_3) | instskip(NEXT) | instid1(VALU_DEP_2)
	v_fma_mix_f32 v29, v50, v29, 0 op_sel_hi:[1,0,0]
	v_fma_mix_f32 v30, v44, v30, v35 op_sel_hi:[1,0,0]
	v_mul_lo_u32 v35, v31, v45
	v_mul_lo_u32 v31, v31, v33
	s_delay_alu instid0(VALU_DEP_4) | instskip(NEXT) | instid1(VALU_DEP_3)
	v_fma_mix_f32 v29, v52, v36, v29 op_sel_hi:[1,0,0]
	v_cvt_f32_i32_e32 v33, v35
	s_delay_alu instid0(VALU_DEP_3) | instskip(NEXT) | instid1(VALU_DEP_2)
	v_cvt_f32_i32_e32 v31, v31
	v_fma_mix_f32 v30, v46, v33, v30 op_sel_hi:[1,0,0]
	s_delay_alu instid0(VALU_DEP_2) | instskip(SKIP_2) | instid1(VALU_DEP_2)
	v_fma_mix_f32 v29, v54, v31, v29 op_sel_hi:[1,0,0]
	v_mul_lo_u32 v31, v32, v34
	v_mul_lo_u32 v32, v32, v48
	v_cvt_f32_i32_e32 v31, v31
	s_delay_alu instid0(VALU_DEP_2) | instskip(SKIP_1) | instid1(VALU_DEP_2)
	v_cvt_f32_i32_e32 v32, v32
	s_wait_loadcnt 0x0
	v_fma_mix_f32 v29, v37, v31, v29 op_sel_hi:[1,0,0]
	s_delay_alu instid0(VALU_DEP_2) | instskip(NEXT) | instid1(VALU_DEP_2)
	v_fma_mix_f32 v30, v47, v32, v30 op_sel_hi:[1,0,0]
	v_fma_mix_f32 v5, v29, v28, v5 op_sel_hi:[0,1,0]
	s_delay_alu instid0(VALU_DEP_2)
	v_fma_mix_f32 v4, v30, v28, v4 op_sel_hi:[0,1,0]
	s_wait_alu 0xfffe
	s_and_not1_b32 exec_lo, exec_lo, s3
	s_cbranch_execnz .LBB119_2
; %bb.3:
	s_or_b32 exec_lo, exec_lo, s3
.LBB119_4:
	s_delay_alu instid0(SALU_CYCLE_1)
	s_or_b32 exec_lo, exec_lo, s21
	s_mov_b32 s3, 0
	; wave barrier
	global_inv scope:SCOPE_SE
	s_mov_b32 s2, exec_lo
	v_cmpx_eq_u32_e32 0, v10
	s_cbranch_execz .LBB119_21
; %bb.5:
	v_mbcnt_lo_u32_b32 v10, -1, 0
	s_load_b64 s[0:1], s[0:1], 0x38
	s_mul_i32 s2, s10, s19
	s_mul_i32 s4, s18, s20
	s_wait_alu 0xfffe
	s_add_co_i32 s2, s2, ttmp9
	v_xor_b32_e32 v0, 16, v10
	v_xor_b32_e32 v1, 8, v10
	;; [unrolled: 1-line block ×3, first 2 shown]
	s_wait_alu 0xfffe
	s_add_co_i32 s2, s2, s4
	s_wait_alu 0xfffe
	s_lshl_b64 s[2:3], s[2:3], 2
	v_cmp_gt_i32_e32 vcc_lo, 32, v0
	s_wait_alu 0xfffd
	v_cndmask_b32_e32 v0, v10, v0, vcc_lo
	v_cmp_gt_i32_e32 vcc_lo, 32, v1
	s_wait_kmcnt 0x0
	s_wait_alu 0xfffe
	s_add_nc_u64 s[0:1], s[0:1], s[2:3]
	s_wait_alu 0xfffd
	v_cndmask_b32_e32 v1, v10, v1, vcc_lo
	s_delay_alu instid0(VALU_DEP_1)
	v_lshlrev_b32_e32 v1, 2, v1
	v_lshlrev_b32_e32 v0, 2, v0
	ds_bpermute_b32 v2, v0, v14
	s_wait_dscnt 0x0
	v_add_f32_e32 v3, v14, v2
	v_xor_b32_e32 v2, 4, v10
	ds_bpermute_b32 v12, v1, v3
	v_cmp_gt_i32_e32 vcc_lo, 32, v2
	s_wait_alu 0xfffd
	v_cndmask_b32_e32 v2, v10, v2, vcc_lo
	s_wait_dscnt 0x0
	v_add_f32_e32 v12, v3, v12
	v_xor_b32_e32 v3, 2, v10
	s_delay_alu instid0(VALU_DEP_1) | instskip(SKIP_3) | instid1(VALU_DEP_2)
	v_cmp_gt_i32_e32 vcc_lo, 32, v3
	s_wait_alu 0xfffd
	v_cndmask_b32_e32 v3, v10, v3, vcc_lo
	v_cmp_gt_i32_e32 vcc_lo, 32, v15
	v_lshlrev_b32_e32 v3, 2, v3
	v_lshlrev_b32_e32 v2, 2, v2
	s_wait_alu 0xfffd
	v_cndmask_b32_e32 v10, v10, v15, vcc_lo
	v_cmp_eq_u32_e32 vcc_lo, 0, v7
	ds_bpermute_b32 v14, v2, v12
	v_lshlrev_b32_e32 v10, 2, v10
	s_wait_dscnt 0x0
	v_add_f32_e32 v12, v12, v14
	ds_bpermute_b32 v14, v3, v12
	s_wait_dscnt 0x0
	v_add_f32_e32 v12, v12, v14
	ds_bpermute_b32 v14, v10, v12
	s_and_saveexec_b32 s2, vcc_lo
	s_cbranch_execz .LBB119_7
; %bb.6:
	s_wait_dscnt 0x0
	v_dual_add_f32 v7, v12, v14 :: v_dual_mov_b32 v12, 0
	global_store_b32 v12, v7, s[0:1]
.LBB119_7:
	s_wait_alu 0xfffe
	s_or_b32 exec_lo, exec_lo, s2
	ds_bpermute_b32 v7, v0, v13
	s_wait_dscnt 0x0
	v_add_f32_e32 v7, v13, v7
	ds_bpermute_b32 v12, v1, v7
	s_wait_dscnt 0x0
	v_add_f32_e32 v7, v7, v12
	;; [unrolled: 3-line block ×4, first 2 shown]
	ds_bpermute_b32 v12, v10, v7
	s_and_saveexec_b32 s2, vcc_lo
	s_cbranch_execz .LBB119_9
; %bb.8:
	s_mov_b32 s7, 0
	s_wait_dscnt 0x0
	v_dual_add_f32 v7, v7, v12 :: v_dual_mov_b32 v12, 0
	s_wait_alu 0xfffe
	s_lshl_b64 s[4:5], s[6:7], 2
	s_wait_alu 0xfffe
	s_add_nc_u64 s[4:5], s[0:1], s[4:5]
	global_store_b32 v12, v7, s[4:5]
.LBB119_9:
	s_wait_alu 0xfffe
	s_or_b32 exec_lo, exec_lo, s2
	ds_bpermute_b32 v7, v0, v11
	s_wait_dscnt 0x0
	v_add_f32_e32 v7, v11, v7
	ds_bpermute_b32 v11, v1, v7
	s_wait_dscnt 0x0
	v_add_f32_e32 v7, v7, v11
	;; [unrolled: 3-line block ×4, first 2 shown]
	ds_bpermute_b32 v11, v10, v7
	s_and_saveexec_b32 s2, vcc_lo
	s_cbranch_execz .LBB119_11
; %bb.10:
	s_lshl_b32 s4, s6, 1
	s_mov_b32 s5, 0
	s_wait_dscnt 0x0
	v_add_f32_e32 v7, v7, v11
	v_mov_b32_e32 v11, 0
	s_wait_alu 0xfffe
	s_lshl_b64 s[4:5], s[4:5], 2
	s_wait_alu 0xfffe
	s_add_nc_u64 s[4:5], s[0:1], s[4:5]
	global_store_b32 v11, v7, s[4:5]
.LBB119_11:
	s_wait_alu 0xfffe
	s_or_b32 exec_lo, exec_lo, s2
	ds_bpermute_b32 v7, v0, v9
	s_wait_dscnt 0x0
	v_add_f32_e32 v7, v9, v7
	ds_bpermute_b32 v9, v1, v7
	s_wait_dscnt 0x0
	v_add_f32_e32 v7, v7, v9
	;; [unrolled: 3-line block ×4, first 2 shown]
	ds_bpermute_b32 v9, v10, v7
	s_and_saveexec_b32 s2, vcc_lo
	s_cbranch_execz .LBB119_13
; %bb.12:
	s_mul_i32 s4, s6, 3
	s_mov_b32 s5, 0
	s_wait_dscnt 0x0
	v_add_f32_e32 v7, v7, v9
	v_mov_b32_e32 v9, 0
	s_wait_alu 0xfffe
	s_lshl_b64 s[4:5], s[4:5], 2
	s_wait_alu 0xfffe
	s_add_nc_u64 s[4:5], s[0:1], s[4:5]
	global_store_b32 v9, v7, s[4:5]
.LBB119_13:
	s_wait_alu 0xfffe
	s_or_b32 exec_lo, exec_lo, s2
	ds_bpermute_b32 v7, v0, v8
	s_wait_dscnt 0x0
	v_add_f32_e32 v7, v8, v7
	ds_bpermute_b32 v8, v1, v7
	s_wait_dscnt 0x0
	v_add_f32_e32 v7, v7, v8
	ds_bpermute_b32 v8, v2, v7
	s_wait_dscnt 0x0
	v_add_f32_e32 v7, v7, v8
	ds_bpermute_b32 v8, v3, v7
	s_wait_dscnt 0x0
	v_add_f32_e32 v7, v7, v8
	ds_bpermute_b32 v8, v10, v7
	s_and_saveexec_b32 s2, vcc_lo
	s_cbranch_execz .LBB119_15
; %bb.14:
	s_lshl_b32 s4, s6, 2
	s_mov_b32 s5, 0
	s_wait_dscnt 0x0
	v_dual_add_f32 v7, v7, v8 :: v_dual_mov_b32 v8, 0
	s_wait_alu 0xfffe
	s_lshl_b64 s[4:5], s[4:5], 2
	s_wait_alu 0xfffe
	s_add_nc_u64 s[4:5], s[0:1], s[4:5]
	global_store_b32 v8, v7, s[4:5]
.LBB119_15:
	s_wait_alu 0xfffe
	s_or_b32 exec_lo, exec_lo, s2
	ds_bpermute_b32 v7, v0, v6
	s_wait_dscnt 0x0
	v_add_f32_e32 v6, v6, v7
	ds_bpermute_b32 v7, v1, v6
	s_wait_dscnt 0x0
	v_add_f32_e32 v6, v6, v7
	;; [unrolled: 3-line block ×4, first 2 shown]
	ds_bpermute_b32 v7, v10, v6
	s_and_saveexec_b32 s2, vcc_lo
	s_cbranch_execz .LBB119_17
; %bb.16:
	s_mul_i32 s4, s6, 5
	s_mov_b32 s5, 0
	s_wait_dscnt 0x0
	v_dual_add_f32 v6, v6, v7 :: v_dual_mov_b32 v7, 0
	s_wait_alu 0xfffe
	s_lshl_b64 s[4:5], s[4:5], 2
	s_wait_alu 0xfffe
	s_add_nc_u64 s[4:5], s[0:1], s[4:5]
	global_store_b32 v7, v6, s[4:5]
.LBB119_17:
	s_wait_alu 0xfffe
	s_or_b32 exec_lo, exec_lo, s2
	ds_bpermute_b32 v6, v0, v4
	s_wait_dscnt 0x0
	v_add_f32_e32 v4, v4, v6
	ds_bpermute_b32 v6, v1, v4
	s_wait_dscnt 0x0
	v_add_f32_e32 v4, v4, v6
	;; [unrolled: 3-line block ×4, first 2 shown]
	ds_bpermute_b32 v6, v10, v4
	s_and_saveexec_b32 s2, vcc_lo
	s_cbranch_execz .LBB119_19
; %bb.18:
	s_mul_i32 s4, s6, 6
	s_mov_b32 s5, 0
	s_wait_dscnt 0x0
	v_add_f32_e32 v4, v4, v6
	v_mov_b32_e32 v6, 0
	s_wait_alu 0xfffe
	s_lshl_b64 s[4:5], s[4:5], 2
	s_wait_alu 0xfffe
	s_add_nc_u64 s[4:5], s[0:1], s[4:5]
	global_store_b32 v6, v4, s[4:5]
.LBB119_19:
	s_wait_alu 0xfffe
	s_or_b32 exec_lo, exec_lo, s2
	ds_bpermute_b32 v0, v0, v5
	s_wait_dscnt 0x0
	v_add_f32_e32 v0, v5, v0
	ds_bpermute_b32 v1, v1, v0
	s_wait_dscnt 0x0
	v_add_f32_e32 v0, v0, v1
	;; [unrolled: 3-line block ×4, first 2 shown]
	ds_bpermute_b32 v1, v10, v0
	s_and_b32 exec_lo, exec_lo, vcc_lo
	s_cbranch_execz .LBB119_21
; %bb.20:
	s_mul_i32 s2, s6, 7
	s_mov_b32 s3, 0
	s_wait_dscnt 0x0
	v_dual_add_f32 v0, v0, v1 :: v_dual_mov_b32 v1, 0
	s_wait_alu 0xfffe
	s_lshl_b64 s[2:3], s[2:3], 2
	s_wait_alu 0xfffe
	s_add_nc_u64 s[0:1], s[0:1], s[2:3]
	global_store_b32 v1, v0, s[0:1]
.LBB119_21:
	s_endpgm
	.section	.rodata,"a",@progbits
	.p2align	6, 0x0
	.amdhsa_kernel _ZL13mul_mat_vec_qIL9ggml_type11ELi8ELb0ELb0EEvPKvS2_PKi31ggml_cuda_mm_fusion_args_devicePfj15HIP_vector_typeIjLj3EEjjjS8_jjjS8_jjjj
		.amdhsa_group_segment_fixed_size 0
		.amdhsa_private_segment_fixed_size 0
		.amdhsa_kernarg_size 144
		.amdhsa_user_sgpr_count 2
		.amdhsa_user_sgpr_dispatch_ptr 0
		.amdhsa_user_sgpr_queue_ptr 0
		.amdhsa_user_sgpr_kernarg_segment_ptr 1
		.amdhsa_user_sgpr_dispatch_id 0
		.amdhsa_user_sgpr_private_segment_size 0
		.amdhsa_wavefront_size32 1
		.amdhsa_uses_dynamic_stack 0
		.amdhsa_enable_private_segment 0
		.amdhsa_system_sgpr_workgroup_id_x 1
		.amdhsa_system_sgpr_workgroup_id_y 1
		.amdhsa_system_sgpr_workgroup_id_z 1
		.amdhsa_system_sgpr_workgroup_info 0
		.amdhsa_system_vgpr_workitem_id 1
		.amdhsa_next_free_vgpr 55
		.amdhsa_next_free_sgpr 28
		.amdhsa_reserve_vcc 1
		.amdhsa_float_round_mode_32 0
		.amdhsa_float_round_mode_16_64 0
		.amdhsa_float_denorm_mode_32 3
		.amdhsa_float_denorm_mode_16_64 3
		.amdhsa_fp16_overflow 0
		.amdhsa_workgroup_processor_mode 1
		.amdhsa_memory_ordered 1
		.amdhsa_forward_progress 1
		.amdhsa_inst_pref_size 42
		.amdhsa_round_robin_scheduling 0
		.amdhsa_exception_fp_ieee_invalid_op 0
		.amdhsa_exception_fp_denorm_src 0
		.amdhsa_exception_fp_ieee_div_zero 0
		.amdhsa_exception_fp_ieee_overflow 0
		.amdhsa_exception_fp_ieee_underflow 0
		.amdhsa_exception_fp_ieee_inexact 0
		.amdhsa_exception_int_div_zero 0
	.end_amdhsa_kernel
	.section	.text._ZL13mul_mat_vec_qIL9ggml_type11ELi8ELb0ELb0EEvPKvS2_PKi31ggml_cuda_mm_fusion_args_devicePfj15HIP_vector_typeIjLj3EEjjjS8_jjjS8_jjjj,"axG",@progbits,_ZL13mul_mat_vec_qIL9ggml_type11ELi8ELb0ELb0EEvPKvS2_PKi31ggml_cuda_mm_fusion_args_devicePfj15HIP_vector_typeIjLj3EEjjjS8_jjjS8_jjjj,comdat
.Lfunc_end119:
	.size	_ZL13mul_mat_vec_qIL9ggml_type11ELi8ELb0ELb0EEvPKvS2_PKi31ggml_cuda_mm_fusion_args_devicePfj15HIP_vector_typeIjLj3EEjjjS8_jjjS8_jjjj, .Lfunc_end119-_ZL13mul_mat_vec_qIL9ggml_type11ELi8ELb0ELb0EEvPKvS2_PKi31ggml_cuda_mm_fusion_args_devicePfj15HIP_vector_typeIjLj3EEjjjS8_jjjS8_jjjj
                                        ; -- End function
	.set _ZL13mul_mat_vec_qIL9ggml_type11ELi8ELb0ELb0EEvPKvS2_PKi31ggml_cuda_mm_fusion_args_devicePfj15HIP_vector_typeIjLj3EEjjjS8_jjjS8_jjjj.num_vgpr, 55
	.set _ZL13mul_mat_vec_qIL9ggml_type11ELi8ELb0ELb0EEvPKvS2_PKi31ggml_cuda_mm_fusion_args_devicePfj15HIP_vector_typeIjLj3EEjjjS8_jjjS8_jjjj.num_agpr, 0
	.set _ZL13mul_mat_vec_qIL9ggml_type11ELi8ELb0ELb0EEvPKvS2_PKi31ggml_cuda_mm_fusion_args_devicePfj15HIP_vector_typeIjLj3EEjjjS8_jjjS8_jjjj.numbered_sgpr, 28
	.set _ZL13mul_mat_vec_qIL9ggml_type11ELi8ELb0ELb0EEvPKvS2_PKi31ggml_cuda_mm_fusion_args_devicePfj15HIP_vector_typeIjLj3EEjjjS8_jjjS8_jjjj.num_named_barrier, 0
	.set _ZL13mul_mat_vec_qIL9ggml_type11ELi8ELb0ELb0EEvPKvS2_PKi31ggml_cuda_mm_fusion_args_devicePfj15HIP_vector_typeIjLj3EEjjjS8_jjjS8_jjjj.private_seg_size, 0
	.set _ZL13mul_mat_vec_qIL9ggml_type11ELi8ELb0ELb0EEvPKvS2_PKi31ggml_cuda_mm_fusion_args_devicePfj15HIP_vector_typeIjLj3EEjjjS8_jjjS8_jjjj.uses_vcc, 1
	.set _ZL13mul_mat_vec_qIL9ggml_type11ELi8ELb0ELb0EEvPKvS2_PKi31ggml_cuda_mm_fusion_args_devicePfj15HIP_vector_typeIjLj3EEjjjS8_jjjS8_jjjj.uses_flat_scratch, 0
	.set _ZL13mul_mat_vec_qIL9ggml_type11ELi8ELb0ELb0EEvPKvS2_PKi31ggml_cuda_mm_fusion_args_devicePfj15HIP_vector_typeIjLj3EEjjjS8_jjjS8_jjjj.has_dyn_sized_stack, 0
	.set _ZL13mul_mat_vec_qIL9ggml_type11ELi8ELb0ELb0EEvPKvS2_PKi31ggml_cuda_mm_fusion_args_devicePfj15HIP_vector_typeIjLj3EEjjjS8_jjjS8_jjjj.has_recursion, 0
	.set _ZL13mul_mat_vec_qIL9ggml_type11ELi8ELb0ELb0EEvPKvS2_PKi31ggml_cuda_mm_fusion_args_devicePfj15HIP_vector_typeIjLj3EEjjjS8_jjjS8_jjjj.has_indirect_call, 0
	.section	.AMDGPU.csdata,"",@progbits
; Kernel info:
; codeLenInByte = 5260
; TotalNumSgprs: 30
; NumVgprs: 55
; ScratchSize: 0
; MemoryBound: 0
; FloatMode: 240
; IeeeMode: 1
; LDSByteSize: 0 bytes/workgroup (compile time only)
; SGPRBlocks: 0
; VGPRBlocks: 6
; NumSGPRsForWavesPerEU: 30
; NumVGPRsForWavesPerEU: 55
; Occupancy: 16
; WaveLimiterHint : 0
; COMPUTE_PGM_RSRC2:SCRATCH_EN: 0
; COMPUTE_PGM_RSRC2:USER_SGPR: 2
; COMPUTE_PGM_RSRC2:TRAP_HANDLER: 0
; COMPUTE_PGM_RSRC2:TGID_X_EN: 1
; COMPUTE_PGM_RSRC2:TGID_Y_EN: 1
; COMPUTE_PGM_RSRC2:TGID_Z_EN: 1
; COMPUTE_PGM_RSRC2:TIDIG_COMP_CNT: 1
	.section	.text._ZL17mul_mat_vec_q_moeIL9ggml_type12ELi2EEvPKvS2_PKiPfj15HIP_vector_typeIjLj3EEjjjjjjjjj,"axG",@progbits,_ZL17mul_mat_vec_q_moeIL9ggml_type12ELi2EEvPKvS2_PKiPfj15HIP_vector_typeIjLj3EEjjjjjjjjj,comdat
	.globl	_ZL17mul_mat_vec_q_moeIL9ggml_type12ELi2EEvPKvS2_PKiPfj15HIP_vector_typeIjLj3EEjjjjjjjjj ; -- Begin function _ZL17mul_mat_vec_q_moeIL9ggml_type12ELi2EEvPKvS2_PKiPfj15HIP_vector_typeIjLj3EEjjjjjjjjj
	.p2align	8
	.type	_ZL17mul_mat_vec_q_moeIL9ggml_type12ELi2EEvPKvS2_PKiPfj15HIP_vector_typeIjLj3EEjjjjjjjjj,@function
_ZL17mul_mat_vec_q_moeIL9ggml_type12ELi2EEvPKvS2_PKiPfj15HIP_vector_typeIjLj3EEjjjjjjjjj: ; @_ZL17mul_mat_vec_q_moeIL9ggml_type12ELi2EEvPKvS2_PKiPfj15HIP_vector_typeIjLj3EEjjjjjjjjj
; %bb.0:
	s_load_b256 s[4:11], s[0:1], 0x30
	v_bfe_u32 v10, v0, 10, 10
	s_mov_b32 s2, exec_lo
	s_wait_kmcnt 0x0
	s_delay_alu instid0(VALU_DEP_1)
	v_cmpx_gt_u32_e64 s11, v10
	s_cbranch_execz .LBB120_15
; %bb.1:
	s_clause 0x2
	s_load_b32 s3, s[0:1], 0x20
	s_load_b32 s2, s[0:1], 0x50
	s_load_b256 s[12:19], s[0:1], 0x0
	v_bfe_u32 v12, v0, 4, 6
	v_dual_mov_b32 v0, 0 :: v_dual_and_b32 v11, 0x3ff, v0
	v_mov_b32_e32 v1, 0
	s_lshl_b32 s11, ttmp9, 1
	s_mov_b32 s21, exec_lo
	s_wait_kmcnt 0x0
	s_lshr_b32 s20, s3, 8
	s_delay_alu instid0(SALU_CYCLE_1)
	v_cmpx_gt_u32_e64 s20, v12
	s_cbranch_execz .LBB120_13
; %bb.2:
	s_mov_b32 s22, ttmp7
	v_lshlrev_b32_e32 v5, 1, v11
	v_mad_co_u64_u32 v[0:1], null, s2, v10, s[22:23]
	v_mov_b32_e32 v1, 0
	s_load_b96 s[0:2], s[0:1], 0x24
	v_lshrrev_b32_e32 v6, 4, v11
	v_mul_lo_u32 v4, s6, v10
	s_mov_b32 s3, 0
	v_bfe_u32 v8, v5, 3, 2
	v_lshlrev_b64_e32 v[2:3], 2, v[0:1]
	v_and_b32_e32 v7, 3, v11
	s_add_co_i32 s6, s11, 1
	s_delay_alu instid0(VALU_DEP_3) | instskip(SKIP_1) | instid1(VALU_DEP_4)
	v_lshlrev_b32_e32 v14, 5, v8
	v_lshlrev_b32_e32 v15, 1, v8
	v_add_co_u32 v2, vcc_lo, s16, v2
	s_delay_alu instid0(VALU_DEP_1)
	v_add_co_ci_u32_e64 v3, null, s17, v3, vcc_lo
	v_lshlrev_b32_e32 v13, 2, v7
	global_load_b32 v0, v[2:3], off
	v_bfe_u32 v2, v11, 2, 2
	s_wait_kmcnt 0x0
	s_mul_hi_u32 s0, s0, ttmp7
	s_delay_alu instid0(SALU_CYCLE_1) | instskip(NEXT) | instid1(VALU_DEP_1)
	s_add_co_i32 s0, ttmp7, s0
	v_mul_hi_u32_u24_e32 v3, 0x48, v2
	v_mul_u32_u24_e32 v2, 0x48, v2
	s_lshr_b32 s0, s0, s1
	s_delay_alu instid0(SALU_CYCLE_1) | instskip(NEXT) | instid1(VALU_DEP_1)
	s_mul_i32 s0, s0, s2
	v_mad_co_u64_u32 v[2:3], null, 0x120, v6, v[2:3]
	s_sub_co_i32 s0, ttmp7, s0
	v_and_b32_e32 v6, 30, v5
	s_mul_i32 s2, s0, s9
	s_wait_alu 0xfffe
	s_mul_u64 s[0:1], s[2:3], 36
	v_mad_co_u64_u32 v[2:3], null, v4, 36, v[2:3]
	s_add_nc_u64 s[0:1], s[14:15], s[0:1]
	v_cmp_lt_u32_e32 vcc_lo, 15, v6
	v_add_co_u32 v5, s0, s0, v2
	s_wait_alu 0xf1ff
	v_add_co_ci_u32_e64 v6, null, s1, v3, s0
	s_wait_loadcnt 0x0
	v_mul_lo_u32 v0, v0, s8
	s_delay_alu instid0(VALU_DEP_1)
	v_mad_co_u64_u32 v[2:3], null, s11, s5, v[0:1]
	v_mad_co_u64_u32 v[3:4], null, s5, s6, v[0:1]
	v_add_co_u32 v4, s0, v5, 36
	s_wait_alu 0xf1ff
	v_add_co_ci_u32_e64 v5, null, 0, v6, s0
	v_mov_b32_e32 v0, v1
	s_branch .LBB120_4
.LBB120_3:                              ;   in Loop: Header=BB120_4 Depth=1
	s_wait_alu 0xfffe
	s_or_b32 exec_lo, exec_lo, s0
	global_load_b32 v6, v[6:7], off
	s_wait_loadcnt 0x9
	v_dot4_i32_iu8 v7, 0x1010101, v21, 0 neg_lo:[1,1,0]
	v_lshrrev_b16 v35, 8, v29
	v_and_b32_e32 v29, 0xff, v29
	s_wait_loadcnt 0x7
	v_dot4_i32_iu8 v8, 0x1010101, v20, 0 neg_lo:[1,1,0]
	v_lshrrev_b16 v9, 8, v25
	v_lshrrev_b32_e32 v30, 24, v25
	v_bfe_u32 v33, v25, 16, 8
	v_and_b32_e32 v25, 0xff, v25
	v_dot4_i32_iu8 v7, 0x1010101, v19, v7 neg_lo:[1,1,0]
	v_and_b32_e32 v29, 0xffff, v29
	s_wait_loadcnt 0x5
	v_and_b32_e32 v31, 0xf0f0f0f, v23
	v_lshrrev_b32_e32 v23, 4, v23
	s_wait_loadcnt 0x3
	v_lshrrev_b32_e32 v34, 16, v22
	v_dot4_i32_iu8 v8, 0x1010101, v18, v8 neg_lo:[1,1,0]
	v_and_b32_e32 v9, 0xffff, v9
	v_and_b32_e32 v35, 0xffff, v35
	v_mul_lo_u32 v25, v7, v25
	v_mul_lo_u32 v7, v7, v29
	v_and_b32_e32 v23, 0xf0f0f0f, v23
	v_cvt_f32_f16_e32 v34, v34
	v_and_b32_e32 v32, 0xf0f0f0f, v24
	v_lshrrev_b32_e32 v24, 4, v24
	v_mul_lo_u32 v9, v8, v9
	v_mul_lo_u32 v8, v8, v35
	v_dot4_i32_iu8 v23, v23, v20, 0 neg_lo:[1,1,0]
	v_cvt_f32_i32_e32 v7, v7
	v_and_b32_e32 v24, 0xf0f0f0f, v24
	s_wait_loadcnt 0x2
	v_and_b32_e32 v37, 0xf0f0f0f, v27
	v_lshrrev_b32_e32 v27, 4, v27
	v_lshrrev_b16 v36, 8, v28
	v_fma_mix_f32 v7, v17, v7, 0 op_sel_hi:[1,0,0]
	v_dot4_i32_iu8 v23, v24, v18, v23 neg_lo:[1,1,0]
	v_cvt_f32_i32_e32 v8, v8
	v_and_b32_e32 v27, 0xf0f0f0f, v27
	v_cvt_f32_i32_e32 v9, v9
	v_and_b32_e32 v28, 0xff, v28
	v_dot4_i32_iu8 v31, v31, v21, 0 neg_lo:[1,1,0]
	v_fma_mix_f32 v7, v16, v8, v7 op_sel_hi:[1,0,0]
	v_dot4_i32_iu8 v20, v27, v20, 0 neg_lo:[1,1,0]
	v_dot4_i32_iu8 v21, v37, v21, 0 neg_lo:[1,1,0]
	v_and_b32_e32 v28, 0xffff, v28
	v_and_b32_e32 v36, 0xffff, v36
	v_mul_lo_u32 v23, v23, v30
	v_add_nc_u32_e32 v12, 2, v12
	v_add_co_u32 v4, s1, 0x240, v4
	s_wait_alu 0xf1ff
	v_add_co_ci_u32_e64 v5, null, 0, v5, s1
	s_delay_alu instid0(VALU_DEP_3) | instskip(SKIP_4) | instid1(VALU_DEP_1)
	v_cmp_le_u32_e64 s0, s20, v12
	v_cvt_f32_i32_e32 v23, v23
	s_or_b32 s3, s0, s3
	s_wait_loadcnt 0x0
	v_lshrrev_b32_e32 v24, 16, v6
	v_cvt_f32_f16_e32 v8, v24
	v_and_b32_e32 v38, 0xf0f0f0f, v26
	v_lshrrev_b32_e32 v26, 4, v26
	s_delay_alu instid0(VALU_DEP_1) | instskip(NEXT) | instid1(VALU_DEP_1)
	v_dual_mul_f32 v7, v7, v8 :: v_dual_and_b32 v26, 0xf0f0f0f, v26
	v_dot4_i32_iu8 v18, v26, v18, v20 neg_lo:[1,1,0]
	v_cvt_f32_i32_e32 v20, v25
	s_delay_alu instid0(VALU_DEP_2) | instskip(NEXT) | instid1(VALU_DEP_2)
	v_mul_lo_u32 v18, v18, v36
	v_fma_mix_f32 v20, v17, v20, 0 op_sel_hi:[1,0,0]
	s_delay_alu instid0(VALU_DEP_1) | instskip(NEXT) | instid1(VALU_DEP_3)
	v_fma_mix_f32 v9, v16, v9, v20 op_sel_hi:[1,0,0]
	v_cvt_f32_i32_e32 v18, v18
	s_delay_alu instid0(VALU_DEP_2) | instskip(SKIP_2) | instid1(VALU_DEP_2)
	v_mul_f32_e32 v9, v9, v34
	v_dot4_i32_iu8 v31, v32, v19, v31 neg_lo:[1,1,0]
	v_dot4_i32_iu8 v19, v38, v19, v21 neg_lo:[1,1,0]
	v_mul_lo_u32 v21, v31, v33
	s_delay_alu instid0(VALU_DEP_2) | instskip(NEXT) | instid1(VALU_DEP_2)
	v_mul_lo_u32 v19, v19, v28
	v_cvt_f32_i32_e32 v21, v21
	s_delay_alu instid0(VALU_DEP_2) | instskip(NEXT) | instid1(VALU_DEP_2)
	v_cvt_f32_i32_e32 v19, v19
	v_fma_mix_f32 v21, v17, v21, 0 op_sel_hi:[1,0,0]
	s_delay_alu instid0(VALU_DEP_2) | instskip(NEXT) | instid1(VALU_DEP_2)
	v_fma_mix_f32 v17, v17, v19, 0 op_sel_hi:[1,0,0]
	v_fma_mix_f32 v19, v16, v23, v21 op_sel_hi:[1,0,0]
	s_delay_alu instid0(VALU_DEP_2) | instskip(NEXT) | instid1(VALU_DEP_2)
	v_fma_mix_f32 v16, v16, v18, v17 op_sel_hi:[1,0,0]
	v_fma_mix_f32 v8, v19, v22, -v9 op_sel_hi:[0,1,0]
	s_delay_alu instid0(VALU_DEP_2) | instskip(NEXT) | instid1(VALU_DEP_1)
	v_fma_mix_f32 v6, v16, v6, -v7 op_sel_hi:[0,1,0]
	v_dual_add_f32 v1, v1, v8 :: v_dual_add_f32 v0, v0, v6
	s_wait_alu 0xfffe
	s_and_not1_b32 exec_lo, exec_lo, s3
	s_cbranch_execz .LBB120_12
.LBB120_4:                              ; =>This Inner Loop Header: Depth=1
	v_add_nc_u32_e32 v6, v2, v12
	s_clause 0x1
	global_load_b32 v17, v[4:5], off offset:-36
	global_load_b32 v16, v[4:5], off
	v_mad_co_i64_i32 v[8:9], null, 0x90, v6, s[12:13]
	v_add_co_u32 v6, s0, v4, v13
	s_wait_alu 0xf1ff
	v_add_co_ci_u32_e64 v7, null, 0, v5, s0
	s_delay_alu instid0(VALU_DEP_3) | instskip(SKIP_1) | instid1(VALU_DEP_4)
	v_add_co_u32 v18, s0, v8, v14
	s_wait_alu 0xf1ff
	v_add_co_ci_u32_e64 v19, null, 0, v9, s0
	s_delay_alu instid0(VALU_DEP_2) | instskip(SKIP_1) | instid1(VALU_DEP_2)
	v_add_co_u32 v24, s0, v18, v13
	s_wait_alu 0xf1ff
	v_add_co_ci_u32_e64 v25, null, 0, v19, s0
	s_clause 0x3
	global_load_b32 v21, v[6:7], off offset:-32
	global_load_b32 v19, v[6:7], off offset:-16
	global_load_b32 v20, v[6:7], off offset:4
	global_load_b32 v18, v[6:7], off offset:20
	s_clause 0x1
	global_load_b32 v23, v[24:25], off offset:16
	global_load_b32 v24, v[24:25], off offset:32
	v_add_co_u32 v6, s0, v8, v15
	s_wait_alu 0xf1ff
	v_add_co_ci_u32_e64 v7, null, 0, v9, s0
                                        ; implicit-def: $vgpr25
	s_and_saveexec_b32 s0, vcc_lo
	s_wait_alu 0xfffe
	s_xor_b32 s0, exec_lo, s0
	s_cbranch_execz .LBB120_6
; %bb.5:                                ;   in Loop: Header=BB120_4 Depth=1
	s_clause 0x1
	global_load_u16 v22, v[6:7], off offset:8
	global_load_u16 v25, v[6:7], off offset:4
	s_wait_loadcnt 0x1
	v_mov_b32_e32 v26, v22
	global_load_d16_hi_b16 v26, v[6:7], off
	s_wait_loadcnt 0x1
	v_perm_b32 v6, v22, v25, 0x5040100
	s_delay_alu instid0(VALU_DEP_1) | instskip(NEXT) | instid1(VALU_DEP_1)
	v_pk_lshrrev_b16 v6, 2, v6
	v_and_b32_e32 v6, 0xf0f3030, v6
	s_wait_loadcnt 0x0
	v_pk_lshrrev_b16 v7, 0x20004, v26
	s_delay_alu instid0(VALU_DEP_1)
	v_and_or_b32 v25, 0x30300f0f, v7, v6
                                        ; implicit-def: $vgpr6_vgpr7
.LBB120_6:                              ;   in Loop: Header=BB120_4 Depth=1
	s_wait_alu 0xfffe
	s_and_not1_saveexec_b32 s0, s0
	s_cbranch_execz .LBB120_8
; %bb.7:                                ;   in Loop: Header=BB120_4 Depth=1
	global_load_u16 v22, v[6:7], off offset:8
	s_wait_loadcnt 0x0
	global_load_d16_hi_b16 v22, v[6:7], off offset:4
	s_wait_loadcnt 0x0
	v_and_b32_e32 v25, 0x3f3f3f3f, v22
.LBB120_8:                              ;   in Loop: Header=BB120_4 Depth=1
	s_wait_alu 0xfffe
	s_or_b32 exec_lo, exec_lo, s0
	v_add_nc_u32_e32 v6, v3, v12
	s_delay_alu instid0(VALU_DEP_1) | instskip(NEXT) | instid1(VALU_DEP_1)
	v_mad_co_i64_i32 v[6:7], null, 0x90, v6, s[12:13]
	v_add_co_u32 v22, s0, v6, v14
	s_wait_alu 0xf1ff
	s_delay_alu instid0(VALU_DEP_2) | instskip(NEXT) | instid1(VALU_DEP_2)
	v_add_co_ci_u32_e64 v26, null, 0, v7, s0
	v_add_co_u32 v28, s0, v22, v13
	s_wait_alu 0xf1ff
	s_delay_alu instid0(VALU_DEP_2)
	v_add_co_ci_u32_e64 v29, null, 0, v26, s0
	s_clause 0x2
	global_load_b32 v22, v[8:9], off
	global_load_b32 v27, v[28:29], off offset:16
	global_load_b32 v26, v[28:29], off offset:32
	v_add_co_u32 v8, s0, v6, v15
	s_wait_alu 0xf1ff
	v_add_co_ci_u32_e64 v9, null, 0, v7, s0
                                        ; implicit-def: $vgpr28
                                        ; implicit-def: $vgpr29
	s_and_saveexec_b32 s0, vcc_lo
	s_wait_alu 0xfffe
	s_xor_b32 s0, exec_lo, s0
	s_cbranch_execz .LBB120_10
; %bb.9:                                ;   in Loop: Header=BB120_4 Depth=1
	s_clause 0x2
	global_load_u16 v28, v[8:9], off
	global_load_u16 v29, v[8:9], off offset:8
	global_load_u16 v8, v[8:9], off offset:4
	s_wait_loadcnt 0x2
	v_lshrrev_b16 v9, 2, v28
	s_wait_loadcnt 0x1
	v_lshrrev_b16 v28, 4, v29
	;; [unrolled: 2-line block ×3, first 2 shown]
	v_and_b32_e32 v29, 0xf0f, v29
	v_and_b32_e32 v9, 0x3030, v9
	;; [unrolled: 1-line block ×3, first 2 shown]
	s_delay_alu instid0(VALU_DEP_4) | instskip(NEXT) | instid1(VALU_DEP_3)
	v_and_b32_e32 v8, 0x3030, v8
	v_or_b32_e32 v28, v9, v29
	s_delay_alu instid0(VALU_DEP_2)
	v_or_b32_e32 v29, v8, v30
                                        ; implicit-def: $vgpr8_vgpr9
.LBB120_10:                             ;   in Loop: Header=BB120_4 Depth=1
	s_wait_alu 0xfffe
	s_and_not1_saveexec_b32 s0, s0
	s_cbranch_execz .LBB120_3
; %bb.11:                               ;   in Loop: Header=BB120_4 Depth=1
	s_clause 0x1
	global_load_u16 v28, v[8:9], off offset:4
	global_load_u16 v8, v[8:9], off offset:8
	s_wait_loadcnt 0x1
	v_and_b32_e32 v28, 0x3f3f, v28
	s_wait_loadcnt 0x0
	v_and_b32_e32 v29, 0x3f3f, v8
	s_branch .LBB120_3
.LBB120_12:
	s_or_b32 exec_lo, exec_lo, s3
.LBB120_13:
	s_delay_alu instid0(SALU_CYCLE_1) | instskip(SKIP_1) | instid1(VALU_DEP_1)
	s_or_b32 exec_lo, exec_lo, s21
	v_mbcnt_lo_u32_b32 v2, -1, 0
	v_xor_b32_e32 v3, 16, v2
	v_xor_b32_e32 v5, 8, v2
	s_delay_alu instid0(VALU_DEP_2) | instskip(SKIP_2) | instid1(VALU_DEP_3)
	v_cmp_gt_i32_e32 vcc_lo, 32, v3
	s_wait_alu 0xfffd
	v_cndmask_b32_e32 v3, v2, v3, vcc_lo
	v_cmp_gt_i32_e32 vcc_lo, 32, v5
	s_delay_alu instid0(VALU_DEP_2)
	v_lshlrev_b32_e32 v3, 2, v3
	ds_bpermute_b32 v4, v3, v1
	ds_bpermute_b32 v3, v3, v0
	s_wait_alu 0xfffd
	v_cndmask_b32_e32 v5, v2, v5, vcc_lo
	s_wait_dscnt 0x0
	v_dual_add_f32 v1, v1, v4 :: v_dual_add_f32 v0, v0, v3
	s_delay_alu instid0(VALU_DEP_2) | instskip(SKIP_3) | instid1(VALU_DEP_1)
	v_lshlrev_b32_e32 v5, 2, v5
	ds_bpermute_b32 v3, v5, v1
	ds_bpermute_b32 v4, v5, v0
	v_xor_b32_e32 v5, 4, v2
	v_cmp_gt_i32_e32 vcc_lo, 32, v5
	s_wait_alu 0xfffd
	v_cndmask_b32_e32 v5, v2, v5, vcc_lo
	s_delay_alu instid0(VALU_DEP_1)
	v_lshlrev_b32_e32 v5, 2, v5
	s_wait_dscnt 0x0
	v_dual_add_f32 v1, v1, v3 :: v_dual_add_f32 v0, v0, v4
	ds_bpermute_b32 v3, v5, v1
	ds_bpermute_b32 v4, v5, v0
	v_xor_b32_e32 v5, 2, v2
	s_delay_alu instid0(VALU_DEP_1) | instskip(SKIP_2) | instid1(VALU_DEP_1)
	v_cmp_gt_i32_e32 vcc_lo, 32, v5
	s_wait_alu 0xfffd
	v_cndmask_b32_e32 v5, v2, v5, vcc_lo
	v_lshlrev_b32_e32 v5, 2, v5
	s_wait_dscnt 0x1
	v_add_f32_e32 v1, v1, v3
	s_wait_dscnt 0x0
	v_add_f32_e32 v3, v0, v4
	ds_bpermute_b32 v0, v5, v1
	ds_bpermute_b32 v4, v5, v3
	v_xor_b32_e32 v5, 1, v2
	s_delay_alu instid0(VALU_DEP_1) | instskip(SKIP_4) | instid1(VALU_DEP_2)
	v_cmp_gt_i32_e32 vcc_lo, 32, v5
	s_wait_alu 0xfffd
	v_cndmask_b32_e32 v2, v2, v5, vcc_lo
	v_cmp_gt_u32_e32 vcc_lo, 2, v11
	s_wait_dscnt 0x1
	v_dual_add_f32 v0, v1, v0 :: v_dual_lshlrev_b32 v5, 2, v2
	s_wait_dscnt 0x0
	s_wait_alu 0xfffe
	v_dual_add_f32 v1, v3, v4 :: v_dual_add_nc_u32 v4, s11, v11
	ds_bpermute_b32 v2, v5, v0
	ds_bpermute_b32 v3, v5, v1
	v_cmp_gt_u32_e64 s0, s4, v4
	s_and_b32 s0, vcc_lo, s0
	s_wait_alu 0xfffe
	s_and_b32 exec_lo, exec_lo, s0
	s_cbranch_execz .LBB120_15
; %bb.14:
	v_mul_lo_u32 v4, s7, v10
	v_or_b32_e32 v6, s11, v11
	s_mul_i32 s0, s10, ttmp7
	s_wait_dscnt 0x1
	v_dual_mov_b32 v5, 0 :: v_dual_add_f32 v2, v0, v2
	s_wait_dscnt 0x0
	v_add_f32_e32 v3, v1, v3
	v_cmp_eq_u32_e32 vcc_lo, 1, v11
	s_wait_alu 0xfffe
	v_add3_u32 v4, v6, v4, s0
	s_wait_alu 0xfffd
	v_cndmask_b32_e32 v2, v2, v3, vcc_lo
	s_delay_alu instid0(VALU_DEP_2) | instskip(NEXT) | instid1(VALU_DEP_1)
	v_lshlrev_b64_e32 v[0:1], 2, v[4:5]
	v_add_co_u32 v0, vcc_lo, s18, v0
	s_wait_alu 0xfffd
	s_delay_alu instid0(VALU_DEP_2)
	v_add_co_ci_u32_e64 v1, null, s19, v1, vcc_lo
	global_store_b32 v[0:1], v2, off
.LBB120_15:
	s_endpgm
	.section	.rodata,"a",@progbits
	.p2align	6, 0x0
	.amdhsa_kernel _ZL17mul_mat_vec_q_moeIL9ggml_type12ELi2EEvPKvS2_PKiPfj15HIP_vector_typeIjLj3EEjjjjjjjjj
		.amdhsa_group_segment_fixed_size 0
		.amdhsa_private_segment_fixed_size 0
		.amdhsa_kernarg_size 84
		.amdhsa_user_sgpr_count 2
		.amdhsa_user_sgpr_dispatch_ptr 0
		.amdhsa_user_sgpr_queue_ptr 0
		.amdhsa_user_sgpr_kernarg_segment_ptr 1
		.amdhsa_user_sgpr_dispatch_id 0
		.amdhsa_user_sgpr_private_segment_size 0
		.amdhsa_wavefront_size32 1
		.amdhsa_uses_dynamic_stack 0
		.amdhsa_enable_private_segment 0
		.amdhsa_system_sgpr_workgroup_id_x 1
		.amdhsa_system_sgpr_workgroup_id_y 1
		.amdhsa_system_sgpr_workgroup_id_z 0
		.amdhsa_system_sgpr_workgroup_info 0
		.amdhsa_system_vgpr_workitem_id 1
		.amdhsa_next_free_vgpr 39
		.amdhsa_next_free_sgpr 24
		.amdhsa_reserve_vcc 1
		.amdhsa_float_round_mode_32 0
		.amdhsa_float_round_mode_16_64 0
		.amdhsa_float_denorm_mode_32 3
		.amdhsa_float_denorm_mode_16_64 3
		.amdhsa_fp16_overflow 0
		.amdhsa_workgroup_processor_mode 1
		.amdhsa_memory_ordered 1
		.amdhsa_forward_progress 1
		.amdhsa_inst_pref_size 18
		.amdhsa_round_robin_scheduling 0
		.amdhsa_exception_fp_ieee_invalid_op 0
		.amdhsa_exception_fp_denorm_src 0
		.amdhsa_exception_fp_ieee_div_zero 0
		.amdhsa_exception_fp_ieee_overflow 0
		.amdhsa_exception_fp_ieee_underflow 0
		.amdhsa_exception_fp_ieee_inexact 0
		.amdhsa_exception_int_div_zero 0
	.end_amdhsa_kernel
	.section	.text._ZL17mul_mat_vec_q_moeIL9ggml_type12ELi2EEvPKvS2_PKiPfj15HIP_vector_typeIjLj3EEjjjjjjjjj,"axG",@progbits,_ZL17mul_mat_vec_q_moeIL9ggml_type12ELi2EEvPKvS2_PKiPfj15HIP_vector_typeIjLj3EEjjjjjjjjj,comdat
.Lfunc_end120:
	.size	_ZL17mul_mat_vec_q_moeIL9ggml_type12ELi2EEvPKvS2_PKiPfj15HIP_vector_typeIjLj3EEjjjjjjjjj, .Lfunc_end120-_ZL17mul_mat_vec_q_moeIL9ggml_type12ELi2EEvPKvS2_PKiPfj15HIP_vector_typeIjLj3EEjjjjjjjjj
                                        ; -- End function
	.set _ZL17mul_mat_vec_q_moeIL9ggml_type12ELi2EEvPKvS2_PKiPfj15HIP_vector_typeIjLj3EEjjjjjjjjj.num_vgpr, 39
	.set _ZL17mul_mat_vec_q_moeIL9ggml_type12ELi2EEvPKvS2_PKiPfj15HIP_vector_typeIjLj3EEjjjjjjjjj.num_agpr, 0
	.set _ZL17mul_mat_vec_q_moeIL9ggml_type12ELi2EEvPKvS2_PKiPfj15HIP_vector_typeIjLj3EEjjjjjjjjj.numbered_sgpr, 24
	.set _ZL17mul_mat_vec_q_moeIL9ggml_type12ELi2EEvPKvS2_PKiPfj15HIP_vector_typeIjLj3EEjjjjjjjjj.num_named_barrier, 0
	.set _ZL17mul_mat_vec_q_moeIL9ggml_type12ELi2EEvPKvS2_PKiPfj15HIP_vector_typeIjLj3EEjjjjjjjjj.private_seg_size, 0
	.set _ZL17mul_mat_vec_q_moeIL9ggml_type12ELi2EEvPKvS2_PKiPfj15HIP_vector_typeIjLj3EEjjjjjjjjj.uses_vcc, 1
	.set _ZL17mul_mat_vec_q_moeIL9ggml_type12ELi2EEvPKvS2_PKiPfj15HIP_vector_typeIjLj3EEjjjjjjjjj.uses_flat_scratch, 0
	.set _ZL17mul_mat_vec_q_moeIL9ggml_type12ELi2EEvPKvS2_PKiPfj15HIP_vector_typeIjLj3EEjjjjjjjjj.has_dyn_sized_stack, 0
	.set _ZL17mul_mat_vec_q_moeIL9ggml_type12ELi2EEvPKvS2_PKiPfj15HIP_vector_typeIjLj3EEjjjjjjjjj.has_recursion, 0
	.set _ZL17mul_mat_vec_q_moeIL9ggml_type12ELi2EEvPKvS2_PKiPfj15HIP_vector_typeIjLj3EEjjjjjjjjj.has_indirect_call, 0
	.section	.AMDGPU.csdata,"",@progbits
; Kernel info:
; codeLenInByte = 2216
; TotalNumSgprs: 26
; NumVgprs: 39
; ScratchSize: 0
; MemoryBound: 0
; FloatMode: 240
; IeeeMode: 1
; LDSByteSize: 0 bytes/workgroup (compile time only)
; SGPRBlocks: 0
; VGPRBlocks: 4
; NumSGPRsForWavesPerEU: 26
; NumVGPRsForWavesPerEU: 39
; Occupancy: 16
; WaveLimiterHint : 1
; COMPUTE_PGM_RSRC2:SCRATCH_EN: 0
; COMPUTE_PGM_RSRC2:USER_SGPR: 2
; COMPUTE_PGM_RSRC2:TRAP_HANDLER: 0
; COMPUTE_PGM_RSRC2:TGID_X_EN: 1
; COMPUTE_PGM_RSRC2:TGID_Y_EN: 1
; COMPUTE_PGM_RSRC2:TGID_Z_EN: 0
; COMPUTE_PGM_RSRC2:TIDIG_COMP_CNT: 1
	.section	.text._ZL13mul_mat_vec_qIL9ggml_type12ELi1ELb1ELb1EEvPKvS2_PKi31ggml_cuda_mm_fusion_args_devicePfj15HIP_vector_typeIjLj3EEjjjS8_jjjS8_jjjj,"axG",@progbits,_ZL13mul_mat_vec_qIL9ggml_type12ELi1ELb1ELb1EEvPKvS2_PKi31ggml_cuda_mm_fusion_args_devicePfj15HIP_vector_typeIjLj3EEjjjS8_jjjS8_jjjj,comdat
	.globl	_ZL13mul_mat_vec_qIL9ggml_type12ELi1ELb1ELb1EEvPKvS2_PKi31ggml_cuda_mm_fusion_args_devicePfj15HIP_vector_typeIjLj3EEjjjS8_jjjS8_jjjj ; -- Begin function _ZL13mul_mat_vec_qIL9ggml_type12ELi1ELb1ELb1EEvPKvS2_PKi31ggml_cuda_mm_fusion_args_devicePfj15HIP_vector_typeIjLj3EEjjjS8_jjjS8_jjjj
	.p2align	8
	.type	_ZL13mul_mat_vec_qIL9ggml_type12ELi1ELb1ELb1EEvPKvS2_PKi31ggml_cuda_mm_fusion_args_devicePfj15HIP_vector_typeIjLj3EEjjjS8_jjjS8_jjjj,@function
_ZL13mul_mat_vec_qIL9ggml_type12ELi1ELb1ELb1EEvPKvS2_PKi31ggml_cuda_mm_fusion_args_devicePfj15HIP_vector_typeIjLj3EEjjjS8_jjjS8_jjjj: ; @_ZL13mul_mat_vec_qIL9ggml_type12ELi1ELb1ELb1EEvPKvS2_PKi31ggml_cuda_mm_fusion_args_devicePfj15HIP_vector_typeIjLj3EEjjjS8_jjjS8_jjjj
; %bb.0:
	s_clause 0x3
	s_load_b256 s[8:15], s[0:1], 0x0
	s_load_b128 s[16:19], s[0:1], 0x20
	s_load_b128 s[20:23], s[0:1], 0x40
	;; [unrolled: 1-line block ×3, first 2 shown]
	s_and_b32 s27, ttmp7, 0xffff
	s_wait_kmcnt 0x0
	s_cmp_lg_u64 s[12:13], 0
	s_cselect_b32 s2, -1, 0
	s_cmp_eq_u64 s[12:13], 0
	s_cbranch_scc1 .LBB121_50
; %bb.1:
	s_lshl_b32 s3, s27, 2
	s_load_b32 s28, s[12:13], s3 offset:0x0
	s_clause 0x1
	s_load_b32 s31, s[0:1], 0x50
	s_load_b32 s30, s[0:1], 0x78
	s_cbranch_execnz .LBB121_3
.LBB121_2:
	s_load_b64 s[12:13], s[0:1], 0x5c
	s_wait_kmcnt 0x0
	s_mul_hi_u32 s3, s12, s27
	s_delay_alu instid0(SALU_CYCLE_1) | instskip(NEXT) | instid1(SALU_CYCLE_1)
	s_add_co_i32 s3, s27, s3
	s_lshr_b32 s28, s3, s13
.LBB121_3:
	s_and_not1_b32 vcc_lo, exec_lo, s2
	s_mov_b32 s3, s27
	s_mov_b32 s29, s27
	s_cbranch_vccnz .LBB121_5
; %bb.4:
	s_mul_hi_u32 s2, s21, s27
	s_wait_kmcnt 0x0
	s_mov_b32 s3, s28
	s_add_co_i32 s2, s27, s2
	s_delay_alu instid0(SALU_CYCLE_1) | instskip(NEXT) | instid1(SALU_CYCLE_1)
	s_lshr_b32 s2, s2, s22
	s_mul_i32 s2, s2, s23
	s_delay_alu instid0(SALU_CYCLE_1)
	s_sub_co_i32 s29, s27, s2
.LBB121_5:
	s_load_b96 s[24:26], s[0:1], 0x80
	v_bfe_u32 v12, v0, 10, 10
	v_dual_mov_b32 v8, 0 :: v_dual_and_b32 v7, 0x3ff, v0
	s_lshr_b32 s21, ttmp7, 16
	s_cmp_lg_u64 s[14:15], 0
	s_delay_alu instid0(VALU_DEP_1) | instskip(SKIP_4) | instid1(VALU_DEP_1)
	v_dual_mov_b32 v9, 0 :: v_dual_lshlrev_b32 v6, 2, v7
	v_or_b32_e32 v0, v7, v12
	s_cselect_b32 s2, -1, 0
	s_mov_b32 s23, 0
	s_mul_i32 s12, s3, s6
	v_cmp_eq_u32_e32 vcc_lo, 0, v0
	s_and_b32 s13, s2, vcc_lo
	s_delay_alu instid0(SALU_CYCLE_1)
	s_and_saveexec_b32 s3, s13
	s_cbranch_execz .LBB121_7
; %bb.6:
	s_wait_kmcnt 0x0
	s_mul_i32 s22, s26, s21
	s_mov_b32 s13, s23
	s_lshl_b64 s[36:37], s[22:23], 2
	s_mov_b32 s34, ttmp9
	s_add_nc_u64 s[14:15], s[14:15], s[36:37]
	s_lshl_b64 s[22:23], s[12:13], 2
	s_ashr_i32 s35, ttmp9, 31
	s_add_nc_u64 s[14:15], s[14:15], s[22:23]
	s_lshl_b64 s[22:23], s[34:35], 2
	s_delay_alu instid0(SALU_CYCLE_1)
	s_add_nc_u64 s[14:15], s[14:15], s[22:23]
	global_load_b32 v9, v6, s[14:15]
.LBB121_7:
	s_or_b32 exec_lo, exec_lo, s3
	s_cmp_lg_u64 s[16:17], 0
	s_cselect_b32 s14, -1, 0
	s_cmp_lg_u64 s[18:19], 0
	s_cselect_b32 s3, -1, 0
	s_delay_alu instid0(SALU_CYCLE_1) | instskip(NEXT) | instid1(SALU_CYCLE_1)
	s_and_b32 s13, s3, s14
	s_and_b32 s13, s13, vcc_lo
	s_delay_alu instid0(SALU_CYCLE_1)
	s_and_saveexec_b32 s15, s13
	s_cbranch_execz .LBB121_9
; %bb.8:
	s_wait_kmcnt 0x0
	s_mul_i32 s34, s26, s21
	s_mov_b32 s35, 0
	s_mov_b32 s22, ttmp9
	s_lshl_b64 s[36:37], s[34:35], 2
	s_mov_b32 s13, s35
	s_add_nc_u64 s[18:19], s[18:19], s[36:37]
	s_lshl_b64 s[12:13], s[12:13], 2
	s_ashr_i32 s23, ttmp9, 31
	s_add_nc_u64 s[12:13], s[18:19], s[12:13]
	s_lshl_b64 s[18:19], s[22:23], 2
	s_delay_alu instid0(SALU_CYCLE_1)
	s_add_nc_u64 s[12:13], s[12:13], s[18:19]
	global_load_b32 v8, v6, s[12:13]
.LBB121_9:
	s_or_b32 exec_lo, exec_lo, s15
	v_lshl_add_u32 v0, v12, 5, v7
	v_mov_b32_e32 v13, 0
	v_cndmask_b32_e64 v10, 0, 1, s14
	v_mov_b32_e32 v11, 0
	s_lshr_b32 s15, s20, 8
	v_lshrrev_b32_e32 v14, 4, v0
	s_mov_b32 s18, exec_lo
	s_wait_alu 0xfffe
	s_delay_alu instid0(VALU_DEP_1)
	v_cmpx_gt_u32_e64 s15, v14
	s_cbranch_execz .LBB121_23
; %bb.10:
	v_bfe_u32 v3, v7, 2, 2
	v_lshrrev_b32_e32 v5, 4, v0
	s_mul_hi_u32 s7, s7, s21
	s_wait_kmcnt 0x0
	s_mul_i32 s19, s28, s4
	s_add_co_i32 s7, s21, s7
	v_mul_hi_u32_u24_e32 v1, 0x48, v3
	v_mul_u32_u24_e32 v0, 0x48, v3
	s_lshr_b32 s4, s7, s30
	s_mul_i32 s12, s25, s21
	s_mov_b32 s13, 0
	s_mul_i32 s7, s4, s24
	v_mad_co_u64_u32 v[0:1], null, 0x120, v5, v[0:1]
	s_mul_i32 s4, s29, s5
	s_mov_b32 s5, s13
	s_mul_u64 s[22:23], s[12:13], 36
	s_mul_u64 s[4:5], s[4:5], 36
	s_add_nc_u64 s[10:11], s[10:11], s[22:23]
	v_dual_mov_b32 v13, 0 :: v_dual_lshlrev_b32 v2, 1, v7
	s_add_nc_u64 s[4:5], s[10:11], s[4:5]
	v_and_b32_e32 v3, 3, v7
	v_add_co_u32 v0, vcc_lo, s4, v0
	s_delay_alu instid0(VALU_DEP_3) | instskip(SKIP_2) | instid1(VALU_DEP_4)
	v_dual_mov_b32 v11, 0 :: v_dual_and_b32 v4, 30, v2
	v_bfe_u32 v2, v2, 3, 2
	v_add_co_ci_u32_e64 v1, null, s5, v1, vcc_lo
	v_add_co_u32 v0, vcc_lo, v0, 36
	s_mul_i32 s31, s31, ttmp9
	v_lshlrev_b32_e32 v15, 5, v2
	v_lshlrev_b32_e32 v16, 2, v3
	v_cmp_lt_u32_e64 s4, 15, v4
	s_wait_alu 0xfffd
	v_add_co_ci_u32_e64 v1, null, 0, v1, vcc_lo
	v_lshlrev_b32_e32 v17, 1, v2
	s_add_co_i32 s7, s7, s31
	s_delay_alu instid0(SALU_CYCLE_1)
	s_add_co_i32 s7, s19, s7
	s_branch .LBB121_13
.LBB121_11:                             ;   in Loop: Header=BB121_13 Depth=1
	s_wait_alu 0xfffe
	s_or_b32 exec_lo, exec_lo, s5
	global_load_b32 v2, v[2:3], off
	s_wait_loadcnt 0x2
	v_and_b32_e32 v3, 0xf0f0f0f, v32
	s_wait_loadcnt 0x1
	v_and_b32_e32 v4, 0xf0f0f0f, v30
	v_lshrrev_b32_e32 v5, 4, v32
	v_lshrrev_b16 v32, 8, v31
	v_lshrrev_b32_e32 v30, 4, v30
	v_dot4_i32_iu8 v3, v3, v22, 0 neg_lo:[1,1,0]
	v_bfe_u32 v33, v31, 16, 8
	v_and_b32_e32 v5, 0xf0f0f0f, v5
	v_and_b32_e32 v32, 0xffff, v32
	;; [unrolled: 1-line block ×3, first 2 shown]
	v_dot4_i32_iu8 v3, v4, v21, v3 neg_lo:[1,1,0]
	v_and_b32_e32 v4, 0xff, v31
	v_dot4_i32_iu8 v5, v5, v20, 0 neg_lo:[1,1,0]
	v_lshrrev_b32_e32 v31, 24, v31
	s_delay_alu instid0(VALU_DEP_4) | instskip(NEXT) | instid1(VALU_DEP_4)
	v_mul_lo_u32 v3, v3, v33
	v_mul_lo_u32 v4, v29, v4
	s_delay_alu instid0(VALU_DEP_4) | instskip(SKIP_1) | instid1(VALU_DEP_2)
	v_dot4_i32_iu8 v5, v30, v19, v5 neg_lo:[1,1,0]
	v_mul_lo_u32 v30, v28, v32
	v_mul_lo_u32 v5, v5, v31
	v_cvt_f32_i32_e32 v3, v3
	v_cvt_f32_i32_e32 v4, v4
	s_delay_alu instid0(VALU_DEP_4) | instskip(NEXT) | instid1(VALU_DEP_3)
	v_cvt_f32_i32_e32 v30, v30
	v_fma_f32 v3, v26, v3, 0
	s_delay_alu instid0(VALU_DEP_3) | instskip(SKIP_1) | instid1(VALU_DEP_2)
	v_fma_f32 v4, v26, v4, 0
	v_cvt_f32_i32_e32 v5, v5
	v_fmac_f32_e32 v4, v27, v30
	s_delay_alu instid0(VALU_DEP_2) | instskip(SKIP_2) | instid1(VALU_DEP_1)
	v_fmac_f32_e32 v3, v27, v5
	s_wait_loadcnt 0x0
	v_lshrrev_b32_e32 v31, 16, v2
	v_cvt_f32_f16_e32 v30, v31
	s_delay_alu instid0(VALU_DEP_1) | instskip(NEXT) | instid1(VALU_DEP_1)
	v_mul_f32_e32 v4, v4, v30
	v_fma_mix_f32 v2, v3, v2, -v4 op_sel_hi:[0,1,0]
	s_delay_alu instid0(VALU_DEP_1)
	v_add_f32_e32 v11, v11, v2
.LBB121_12:                             ;   in Loop: Header=BB121_13 Depth=1
	s_wait_loadcnt 0x2
	v_lshrrev_b32_e32 v4, 4, v25
	s_wait_loadcnt 0x1
	v_lshrrev_b32_e32 v5, 4, v24
	v_and_b32_e32 v2, 0xf0f0f0f, v25
	v_bfe_u32 v25, v23, 16, 8
	v_add_nc_u32_e32 v14, 16, v14
	v_and_b32_e32 v4, 0xf0f0f0f, v4
	v_and_b32_e32 v5, 0xf0f0f0f, v5
	v_dot4_i32_iu8 v2, v2, v22, 0 neg_lo:[1,1,0]
	v_lshrrev_b16 v22, 8, v23
	v_cmp_le_u32_e32 vcc_lo, s15, v14
	v_dot4_i32_iu8 v4, v4, v20, 0 neg_lo:[1,1,0]
	v_lshrrev_b32_e32 v20, 24, v23
	v_add_co_u32 v0, s5, 0x1200, v0
	s_wait_alu 0xf1ff
	v_add_co_ci_u32_e64 v1, null, 0, v1, s5
	v_dot4_i32_iu8 v4, v5, v19, v4 neg_lo:[1,1,0]
	s_wait_loadcnt 0x0
	v_lshrrev_b32_e32 v5, 16, v18
	s_or_b32 s13, vcc_lo, s13
	s_delay_alu instid0(VALU_DEP_2) | instskip(NEXT) | instid1(VALU_DEP_2)
	v_mul_lo_u32 v4, v4, v20
	v_cvt_f32_f16_e32 v5, v5
	v_and_b32_e32 v3, 0xf0f0f0f, v24
	v_and_b32_e32 v24, 0xff, v23
	s_delay_alu instid0(VALU_DEP_2) | instskip(NEXT) | instid1(VALU_DEP_2)
	v_dot4_i32_iu8 v2, v3, v21, v2 neg_lo:[1,1,0]
	v_mul_lo_u32 v24, v29, v24
	v_and_b32_e32 v3, 0xffff, v22
	s_delay_alu instid0(VALU_DEP_3) | instskip(NEXT) | instid1(VALU_DEP_2)
	v_mul_lo_u32 v2, v2, v25
	v_mul_lo_u32 v3, v28, v3
	s_delay_alu instid0(VALU_DEP_4) | instskip(NEXT) | instid1(VALU_DEP_3)
	v_cvt_f32_i32_e32 v21, v24
	v_cvt_f32_i32_e32 v2, v2
	s_delay_alu instid0(VALU_DEP_2) | instskip(NEXT) | instid1(VALU_DEP_4)
	v_fma_f32 v19, v26, v21, 0
	v_cvt_f32_i32_e32 v3, v3
	s_delay_alu instid0(VALU_DEP_3) | instskip(NEXT) | instid1(VALU_DEP_2)
	v_fma_f32 v2, v26, v2, 0
	v_fmac_f32_e32 v19, v27, v3
	v_cvt_f32_i32_e32 v3, v4
	s_delay_alu instid0(VALU_DEP_2) | instskip(NEXT) | instid1(VALU_DEP_2)
	v_mul_f32_e32 v4, v19, v5
	v_fmac_f32_e32 v2, v27, v3
	s_delay_alu instid0(VALU_DEP_1) | instskip(NEXT) | instid1(VALU_DEP_1)
	v_fma_mix_f32 v2, v2, v18, -v4 op_sel_hi:[0,1,0]
	v_add_f32_e32 v13, v13, v2
	s_and_not1_b32 exec_lo, exec_lo, s13
	s_cbranch_execz .LBB121_22
.LBB121_13:                             ; =>This Inner Loop Header: Depth=1
	v_add_nc_u32_e32 v4, s7, v14
	s_delay_alu instid0(VALU_DEP_1) | instskip(NEXT) | instid1(VALU_DEP_1)
	v_mad_co_i64_i32 v[2:3], null, 0x90, v4, s[8:9]
	v_add_co_u32 v5, vcc_lo, v2, v15
	s_wait_alu 0xfffd
	s_delay_alu instid0(VALU_DEP_2)
	v_add_co_ci_u32_e64 v20, null, 0, v3, vcc_lo
	v_add_co_u32 v18, vcc_lo, v0, v16
	s_wait_alu 0xfffd
	v_add_co_ci_u32_e64 v19, null, 0, v1, vcc_lo
	v_add_co_u32 v23, vcc_lo, v5, v16
	s_wait_alu 0xfffd
	v_add_co_ci_u32_e64 v24, null, 0, v20, vcc_lo
	s_clause 0x5
	global_load_b32 v5, v[0:1], off offset:-36
	global_load_b32 v27, v[0:1], off
	global_load_b32 v22, v[18:19], off offset:-32
	global_load_b32 v21, v[18:19], off offset:-16
	global_load_b32 v20, v[18:19], off offset:4
	global_load_b32 v19, v[18:19], off offset:20
	s_clause 0x2
	global_load_b32 v25, v[23:24], off offset:16
	global_load_b32 v24, v[23:24], off offset:32
	global_load_b32 v18, v[2:3], off
	v_add_co_u32 v2, vcc_lo, v2, v17
	s_wait_alu 0xfffd
	v_add_co_ci_u32_e64 v3, null, 0, v3, vcc_lo
                                        ; implicit-def: $vgpr23
	s_and_saveexec_b32 s5, s4
	s_wait_alu 0xfffe
	s_xor_b32 s5, exec_lo, s5
	s_cbranch_execz .LBB121_15
; %bb.14:                               ;   in Loop: Header=BB121_13 Depth=1
	s_clause 0x1
	global_load_u16 v23, v[2:3], off offset:8
	global_load_u16 v26, v[2:3], off offset:4
	s_wait_loadcnt 0x1
	v_mov_b32_e32 v28, v23
	global_load_d16_hi_b16 v28, v[2:3], off
	s_wait_loadcnt 0x1
	v_perm_b32 v2, v23, v26, 0x5040100
	s_delay_alu instid0(VALU_DEP_1) | instskip(NEXT) | instid1(VALU_DEP_1)
	v_pk_lshrrev_b16 v2, 2, v2
	v_and_b32_e32 v2, 0xf0f3030, v2
	s_wait_loadcnt 0x0
	v_pk_lshrrev_b16 v3, 0x20004, v28
	s_delay_alu instid0(VALU_DEP_1)
	v_and_or_b32 v23, 0x30300f0f, v3, v2
                                        ; implicit-def: $vgpr2_vgpr3
.LBB121_15:                             ;   in Loop: Header=BB121_13 Depth=1
	s_wait_alu 0xfffe
	s_and_not1_saveexec_b32 s5, s5
	s_cbranch_execz .LBB121_17
; %bb.16:                               ;   in Loop: Header=BB121_13 Depth=1
	global_load_u16 v23, v[2:3], off offset:8
	s_wait_loadcnt 0x0
	global_load_d16_hi_b16 v23, v[2:3], off offset:4
	s_wait_loadcnt 0x0
	v_and_b32_e32 v23, 0x3f3f3f3f, v23
.LBB121_17:                             ;   in Loop: Header=BB121_13 Depth=1
	s_wait_alu 0xfffe
	s_or_b32 exec_lo, exec_lo, s5
	s_wait_loadcnt 0x6
	v_dot4_i32_iu8 v2, 0x1010101, v22, 0 neg_lo:[1,1,0]
	s_wait_loadcnt 0x4
	v_dot4_i32_iu8 v3, 0x1010101, v20, 0 neg_lo:[1,1,0]
	v_cvt_f32_f16_e32 v26, v5
	v_cvt_f32_f16_e32 v27, v27
	s_and_not1_b32 vcc_lo, exec_lo, s14
	v_dot4_i32_iu8 v29, 0x1010101, v21, v2 neg_lo:[1,1,0]
	s_wait_loadcnt 0x3
	v_dot4_i32_iu8 v28, 0x1010101, v19, v3 neg_lo:[1,1,0]
	s_wait_alu 0xfffe
	s_cbranch_vccnz .LBB121_12
; %bb.18:                               ;   in Loop: Header=BB121_13 Depth=1
	v_mad_co_i64_i32 v[2:3], null, 0x90, v4, s[16:17]
                                        ; implicit-def: $vgpr31
	s_delay_alu instid0(VALU_DEP_1) | instskip(SKIP_1) | instid1(VALU_DEP_2)
	v_add_co_u32 v4, vcc_lo, v2, v15
	s_wait_alu 0xfffd
	v_add_co_ci_u32_e64 v5, null, 0, v3, vcc_lo
	s_delay_alu instid0(VALU_DEP_2) | instskip(SKIP_1) | instid1(VALU_DEP_2)
	v_add_co_u32 v4, vcc_lo, v4, v16
	s_wait_alu 0xfffd
	v_add_co_ci_u32_e64 v5, null, 0, v5, vcc_lo
	s_clause 0x1
	global_load_b32 v32, v[4:5], off offset:16
	global_load_b32 v30, v[4:5], off offset:32
	v_add_co_u32 v4, vcc_lo, v2, v17
	s_wait_alu 0xfffd
	v_add_co_ci_u32_e64 v5, null, 0, v3, vcc_lo
	s_and_saveexec_b32 s5, s4
	s_wait_alu 0xfffe
	s_xor_b32 s5, exec_lo, s5
	s_cbranch_execz .LBB121_20
; %bb.19:                               ;   in Loop: Header=BB121_13 Depth=1
	s_clause 0x1
	global_load_u16 v31, v[4:5], off offset:8
	global_load_u16 v33, v[4:5], off offset:4
	s_wait_loadcnt 0x1
	v_mov_b32_e32 v34, v31
	global_load_d16_hi_b16 v34, v[4:5], off
	s_wait_loadcnt 0x1
	v_perm_b32 v4, v31, v33, 0x5040100
	s_delay_alu instid0(VALU_DEP_1) | instskip(NEXT) | instid1(VALU_DEP_1)
	v_pk_lshrrev_b16 v4, 2, v4
	v_and_b32_e32 v4, 0xf0f3030, v4
	s_wait_loadcnt 0x0
	v_pk_lshrrev_b16 v5, 0x20004, v34
	s_delay_alu instid0(VALU_DEP_1)
	v_and_or_b32 v31, 0x30300f0f, v5, v4
                                        ; implicit-def: $vgpr4_vgpr5
.LBB121_20:                             ;   in Loop: Header=BB121_13 Depth=1
	s_wait_alu 0xfffe
	s_and_not1_saveexec_b32 s5, s5
	s_cbranch_execz .LBB121_11
; %bb.21:                               ;   in Loop: Header=BB121_13 Depth=1
	global_load_u16 v31, v[4:5], off offset:8
	s_wait_loadcnt 0x0
	global_load_d16_hi_b16 v31, v[4:5], off offset:4
	s_wait_loadcnt 0x0
	v_and_b32_e32 v31, 0x3f3f3f3f, v31
	s_branch .LBB121_11
.LBB121_22:
	s_or_b32 exec_lo, exec_lo, s13
.LBB121_23:
	s_delay_alu instid0(SALU_CYCLE_1)
	s_or_b32 exec_lo, exec_lo, s18
	s_load_b32 s5, s[0:1], 0x30
	v_cmp_eq_u32_e64 s4, 0, v12
	s_mov_b32 s7, exec_lo
	v_cmpx_ne_u32_e32 0, v12
	s_cbranch_execz .LBB121_27
; %bb.24:
	v_add_nc_u32_e32 v0, -1, v12
	s_and_b32 vcc_lo, exec_lo, s14
	s_delay_alu instid0(VALU_DEP_1)
	v_lshlrev_b32_e32 v0, 7, v0
	s_wait_alu 0xfffe
	s_cbranch_vccz .LBB121_26
; %bb.25:
	s_delay_alu instid0(VALU_DEP_1)
	v_lshl_add_u32 v1, v7, 2, v0
	ds_store_b32 v1, v11 offset:896
.LBB121_26:
	s_delay_alu instid0(VALU_DEP_1)
	v_lshl_add_u32 v0, v7, 2, v0
	ds_store_b32 v0, v13
.LBB121_27:
	s_wait_alu 0xfffe
	s_or_b32 exec_lo, exec_lo, s7
	s_wait_loadcnt_dscnt 0x0
	s_barrier_signal -1
	s_barrier_wait -1
	global_inv scope:SCOPE_SE
	s_and_saveexec_b32 s7, s4
	s_cbranch_execz .LBB121_69
; %bb.28:
	ds_load_b32 v0, v6
	v_cmp_ne_u32_e32 vcc_lo, 1, v10
	v_add_nc_u32_e32 v1, 0x380, v6
	s_cbranch_vccnz .LBB121_30
; %bb.29:
	ds_load_b32 v2, v1
	s_wait_dscnt 0x0
	v_add_f32_e32 v11, v11, v2
.LBB121_30:
	ds_load_b32 v2, v6 offset:128
	v_cmp_ne_u32_e32 vcc_lo, 1, v10
	s_cbranch_vccnz .LBB121_32
; %bb.31:
	ds_load_b32 v3, v1 offset:128
	s_wait_dscnt 0x0
	v_add_f32_e32 v11, v11, v3
.LBB121_32:
	ds_load_b32 v3, v6 offset:256
	v_cmp_ne_u32_e32 vcc_lo, 1, v10
	s_cbranch_vccnz .LBB121_34
; %bb.33:
	ds_load_b32 v4, v1 offset:256
	s_wait_dscnt 0x0
	v_add_f32_e32 v11, v11, v4
.LBB121_34:
	;; [unrolled: 8-line block ×6, first 2 shown]
	s_wait_dscnt 0x6
	v_add_f32_e32 v0, v13, v0
	v_mbcnt_lo_u32_b32 v1, -1, 0
	s_wait_dscnt 0x5
	s_delay_alu instid0(VALU_DEP_2) | instskip(NEXT) | instid1(VALU_DEP_2)
	v_add_f32_e32 v0, v0, v2
	v_xor_b32_e32 v2, 16, v1
	s_wait_dscnt 0x4
	s_delay_alu instid0(VALU_DEP_2) | instskip(NEXT) | instid1(VALU_DEP_2)
	v_add_f32_e32 v0, v0, v3
	v_cmp_gt_i32_e32 vcc_lo, 32, v2
	v_xor_b32_e32 v3, 8, v1
	s_wait_dscnt 0x3
	s_delay_alu instid0(VALU_DEP_3)
	v_add_f32_e32 v0, v0, v4
	s_wait_alu 0xfffd
	v_cndmask_b32_e32 v2, v1, v2, vcc_lo
	v_cmp_gt_i32_e32 vcc_lo, 32, v3
	s_wait_dscnt 0x2
	s_wait_alu 0xfffd
	v_dual_add_f32 v0, v0, v5 :: v_dual_cndmask_b32 v3, v1, v3
	s_wait_dscnt 0x1
	s_delay_alu instid0(VALU_DEP_1) | instskip(SKIP_1) | instid1(VALU_DEP_1)
	v_dual_add_f32 v0, v0, v12 :: v_dual_lshlrev_b32 v3, 2, v3
	s_wait_dscnt 0x0
	v_add_f32_e32 v4, v0, v14
	v_lshlrev_b32_e32 v0, 2, v2
	ds_bpermute_b32 v2, v0, v4
	s_wait_dscnt 0x0
	v_add_f32_e32 v2, v4, v2
	v_xor_b32_e32 v4, 4, v1
	ds_bpermute_b32 v5, v3, v2
	v_cmp_gt_i32_e32 vcc_lo, 32, v4
	s_wait_alu 0xfffd
	v_cndmask_b32_e32 v4, v1, v4, vcc_lo
	s_delay_alu instid0(VALU_DEP_1)
	v_lshlrev_b32_e32 v4, 2, v4
	s_wait_dscnt 0x0
	v_add_f32_e32 v2, v2, v5
	v_xor_b32_e32 v5, 2, v1
	ds_bpermute_b32 v12, v4, v2
	v_cmp_gt_i32_e32 vcc_lo, 32, v5
	s_wait_alu 0xfffd
	v_cndmask_b32_e32 v5, v1, v5, vcc_lo
	s_wait_dscnt 0x0
	s_delay_alu instid0(VALU_DEP_1)
	v_dual_add_f32 v2, v2, v12 :: v_dual_lshlrev_b32 v5, 2, v5
	v_xor_b32_e32 v12, 1, v1
	ds_bpermute_b32 v13, v5, v2
	v_cmp_gt_i32_e32 vcc_lo, 32, v12
	s_wait_alu 0xfffd
	v_cndmask_b32_e32 v1, v1, v12, vcc_lo
	v_cmp_ne_u32_e32 vcc_lo, 1, v10
	s_delay_alu instid0(VALU_DEP_2)
	v_lshlrev_b32_e32 v12, 2, v1
	s_wait_dscnt 0x0
	v_add_f32_e32 v1, v2, v13
	ds_bpermute_b32 v2, v12, v1
	s_cbranch_vccnz .LBB121_44
; %bb.43:
	ds_bpermute_b32 v0, v0, v11
	s_wait_dscnt 0x0
	v_add_f32_e32 v0, v11, v0
	ds_bpermute_b32 v3, v3, v0
	s_wait_dscnt 0x0
	v_add_f32_e32 v0, v0, v3
	;; [unrolled: 3-line block ×5, first 2 shown]
.LBB121_44:
	v_cmp_eq_u32_e32 vcc_lo, 0, v7
	s_and_b32 exec_lo, exec_lo, vcc_lo
	s_cbranch_execz .LBB121_69
; %bb.45:
	s_wait_dscnt 0x0
	v_add_f32_e32 v0, v1, v2
	v_cmp_ne_u32_e32 vcc_lo, 1, v10
	s_delay_alu instid0(VALU_DEP_2) | instskip(NEXT) | instid1(VALU_DEP_1)
	v_add_f32_e32 v1, v9, v0
	v_cndmask_b32_e64 v0, v0, v1, s2
	s_cbranch_vccnz .LBB121_68
; %bb.46:
	v_add_f32_e32 v1, v8, v11
	s_wait_kmcnt 0x0
	s_cmp_lt_i32 s5, 2
	s_mov_b32 s2, 0
	s_delay_alu instid0(VALU_DEP_1)
	v_cndmask_b32_e64 v1, v11, v1, s3
	s_cbranch_scc1 .LBB121_51
; %bb.47:
	s_cmp_gt_i32 s5, 2
	s_cbranch_scc0 .LBB121_52
; %bb.48:
	s_cmp_eq_u32 s5, 3
	s_cbranch_scc0 .LBB121_53
; %bb.49:
	v_max_num_f32_e32 v2, v1, v1
	s_mov_b32 s3, 0xc0e00000
	s_delay_alu instid0(VALU_DEP_1) | instskip(NEXT) | instid1(VALU_DEP_1)
	v_min_num_f32_e32 v2, 0x40e00000, v2
	v_mul_f32_e32 v3, 0xbfd9db23, v2
	s_delay_alu instid0(VALU_DEP_1) | instskip(NEXT) | instid1(VALU_DEP_1)
	v_mul_f32_e32 v4, 0x3fb8aa3b, v3
	v_fma_f32 v5, 0x3fb8aa3b, v3, -v4
	v_rndne_f32_e32 v7, v4
	s_delay_alu instid0(VALU_DEP_1) | instskip(SKIP_1) | instid1(VALU_DEP_2)
	v_dual_sub_f32 v4, v4, v7 :: v_dual_fmamk_f32 v5, v3, 0x32a5705f, v5
	v_cmp_ngt_f32_e32 vcc_lo, 0xc2ce8ed0, v3
	v_add_f32_e32 v4, v4, v5
	v_cvt_i32_f32_e32 v5, v7
	s_delay_alu instid0(VALU_DEP_2) | instskip(NEXT) | instid1(TRANS32_DEP_1)
	v_exp_f32_e32 v4, v4
	v_ldexp_f32 v4, v4, v5
	s_wait_alu 0xfffd
	s_delay_alu instid0(VALU_DEP_1) | instskip(SKIP_2) | instid1(VALU_DEP_2)
	v_cndmask_b32_e32 v4, 0, v4, vcc_lo
	v_cmp_nlt_f32_e32 vcc_lo, 0x42b17218, v3
	s_wait_alu 0xfffd
	v_cndmask_b32_e32 v3, 0x7f800000, v4, vcc_lo
	s_delay_alu instid0(VALU_DEP_1) | instskip(NEXT) | instid1(VALU_DEP_1)
	v_add_f32_e32 v3, 1.0, v3
	v_div_scale_f32 v4, null, v3, v3, v2
	v_div_scale_f32 v8, vcc_lo, v2, v3, v2
	s_delay_alu instid0(VALU_DEP_2) | instskip(NEXT) | instid1(TRANS32_DEP_1)
	v_rcp_f32_e32 v5, v4
	v_fma_f32 v7, -v4, v5, 1.0
	s_delay_alu instid0(VALU_DEP_1) | instskip(NEXT) | instid1(VALU_DEP_1)
	v_fmac_f32_e32 v5, v7, v5
	v_mul_f32_e32 v7, v8, v5
	s_delay_alu instid0(VALU_DEP_1) | instskip(NEXT) | instid1(VALU_DEP_1)
	v_fma_f32 v9, -v4, v7, v8
	v_fmac_f32_e32 v7, v9, v5
	s_delay_alu instid0(VALU_DEP_1) | instskip(SKIP_2) | instid1(VALU_DEP_2)
	v_fma_f32 v4, -v4, v7, v8
	v_max_num_f32_e32 v8, v0, v0
	s_wait_alu 0xfffd
	v_div_fmas_f32 v4, v4, v5, v7
	s_wait_alu 0xfffe
	s_delay_alu instid0(VALU_DEP_2) | instskip(SKIP_1) | instid1(VALU_DEP_2)
	v_minmax_num_f32 v5, v8, 0x40e00000, s3
	s_mov_b32 s3, 0
	v_div_fixup_f32 v2, v4, v3, v2
	s_delay_alu instid0(VALU_DEP_2) | instskip(NEXT) | instid1(VALU_DEP_1)
	v_add_f32_e32 v3, 1.0, v5
	v_mul_f32_e32 v2, v3, v2
	s_branch .LBB121_54
.LBB121_50:
                                        ; implicit-def: $sgpr28
	s_clause 0x1
	s_load_b32 s31, s[0:1], 0x50
	s_load_b32 s30, s[0:1], 0x78
	s_branch .LBB121_2
.LBB121_51:
	s_mov_b32 s3, 0
                                        ; implicit-def: $vgpr2
	s_cbranch_execnz .LBB121_58
	s_branch .LBB121_59
.LBB121_52:
	s_mov_b32 s4, -1
	s_mov_b32 s3, 0
                                        ; implicit-def: $vgpr2
	s_branch .LBB121_55
.LBB121_53:
	s_mov_b32 s3, -1
                                        ; implicit-def: $vgpr2
.LBB121_54:
	s_mov_b32 s4, 0
.LBB121_55:
	s_wait_alu 0xfffe
	s_and_b32 vcc_lo, exec_lo, s4
	s_wait_alu 0xfffe
	s_cbranch_vccz .LBB121_57
; %bb.56:
	v_mul_f32_e32 v2, 0xbfb8aa3b, v1
	v_cmp_nlt_f32_e32 vcc_lo, 0x42ce8ed0, v1
	s_delay_alu instid0(VALU_DEP_2) | instskip(SKIP_1) | instid1(VALU_DEP_2)
	v_rndne_f32_e32 v3, v2
	v_fma_f32 v4, 0xbfb8aa3b, v1, -v2
	v_sub_f32_e32 v2, v2, v3
	s_delay_alu instid0(VALU_DEP_2) | instskip(SKIP_1) | instid1(VALU_DEP_2)
	v_fmamk_f32 v4, v1, 0xb2a5705f, v4
	v_cvt_i32_f32_e32 v3, v3
	v_add_f32_e32 v2, v2, v4
	s_delay_alu instid0(VALU_DEP_1) | instskip(NEXT) | instid1(TRANS32_DEP_1)
	v_exp_f32_e32 v2, v2
	v_ldexp_f32 v2, v2, v3
	s_wait_alu 0xfffd
	s_delay_alu instid0(VALU_DEP_1) | instskip(SKIP_2) | instid1(VALU_DEP_2)
	v_cndmask_b32_e32 v2, 0, v2, vcc_lo
	v_cmp_ngt_f32_e32 vcc_lo, 0xc2b17218, v1
	s_wait_alu 0xfffd
	v_cndmask_b32_e32 v2, 0x7f800000, v2, vcc_lo
	s_delay_alu instid0(VALU_DEP_1) | instskip(NEXT) | instid1(VALU_DEP_1)
	v_add_f32_e32 v2, 1.0, v2
	v_div_scale_f32 v3, null, v2, v2, v1
	s_delay_alu instid0(VALU_DEP_1) | instskip(NEXT) | instid1(TRANS32_DEP_1)
	v_rcp_f32_e32 v4, v3
	v_fma_f32 v5, -v3, v4, 1.0
	s_delay_alu instid0(VALU_DEP_1) | instskip(SKIP_1) | instid1(VALU_DEP_1)
	v_fmac_f32_e32 v4, v5, v4
	v_div_scale_f32 v5, vcc_lo, v1, v2, v1
	v_mul_f32_e32 v7, v5, v4
	s_delay_alu instid0(VALU_DEP_1) | instskip(NEXT) | instid1(VALU_DEP_1)
	v_fma_f32 v8, -v3, v7, v5
	v_fmac_f32_e32 v7, v8, v4
	s_delay_alu instid0(VALU_DEP_1) | instskip(SKIP_1) | instid1(VALU_DEP_1)
	v_fma_f32 v3, -v3, v7, v5
	s_wait_alu 0xfffd
	v_div_fmas_f32 v3, v3, v4, v7
	s_delay_alu instid0(VALU_DEP_1) | instskip(NEXT) | instid1(VALU_DEP_1)
	v_div_fixup_f32 v2, v3, v2, v1
	v_mul_f32_e32 v2, v0, v2
.LBB121_57:
	s_branch .LBB121_59
.LBB121_58:
	s_cmp_lg_u32 s5, 1
	s_mov_b32 s2, -1
	s_cselect_b32 s3, -1, 0
.LBB121_59:
	s_wait_alu 0xfffe
	s_and_not1_b32 vcc_lo, exec_lo, s3
	s_wait_alu 0xfffe
	s_cbranch_vccz .LBB121_61
; %bb.60:
	s_and_not1_b32 vcc_lo, exec_lo, s2
	s_wait_alu 0xfffe
	s_cbranch_vccz .LBB121_62
	s_branch .LBB121_67
.LBB121_61:
	v_mul_f32_e32 v2, v1, v0
	s_cbranch_execnz .LBB121_67
.LBB121_62:
	v_mul_f32_e32 v2, 0x3d372713, v1
	v_mul_f32_e32 v3, 0x3f4c422a, v1
	s_delay_alu instid0(VALU_DEP_2) | instskip(NEXT) | instid1(VALU_DEP_1)
	v_fma_f32 v2, v1, v2, 1.0
	v_mul_f32_e32 v2, v3, v2
                                        ; implicit-def: $vgpr3
	s_delay_alu instid0(VALU_DEP_1)
	v_cmp_ngt_f32_e64 s2, 0x3f200000, |v2|
	s_and_saveexec_b32 s3, s2
	s_wait_alu 0xfffe
	s_xor_b32 s2, exec_lo, s3
	s_cbranch_execz .LBB121_64
; %bb.63:
	v_add_f32_e64 v3, |v2|, |v2|
	s_delay_alu instid0(VALU_DEP_1) | instskip(SKIP_1) | instid1(VALU_DEP_2)
	v_mul_f32_e32 v4, 0x3fb8aa3b, v3
	v_cmp_ngt_f32_e32 vcc_lo, 0xc2ce8ed0, v3
	v_rndne_f32_e32 v5, v4
	v_fma_f32 v7, 0x3fb8aa3b, v3, -v4
	s_delay_alu instid0(VALU_DEP_1) | instskip(SKIP_1) | instid1(VALU_DEP_2)
	v_dual_sub_f32 v4, v4, v5 :: v_dual_fmamk_f32 v7, v3, 0x32a5705f, v7
	v_cvt_i32_f32_e32 v5, v5
	v_add_f32_e32 v4, v4, v7
	s_delay_alu instid0(VALU_DEP_1) | instskip(NEXT) | instid1(TRANS32_DEP_1)
	v_exp_f32_e32 v4, v4
	v_ldexp_f32 v4, v4, v5
	s_wait_alu 0xfffd
	s_delay_alu instid0(VALU_DEP_1) | instskip(SKIP_2) | instid1(VALU_DEP_2)
	v_cndmask_b32_e32 v4, 0, v4, vcc_lo
	v_cmp_nlt_f32_e32 vcc_lo, 0x42b17218, v3
	s_wait_alu 0xfffd
	v_cndmask_b32_e32 v3, 0x7f800000, v4, vcc_lo
	s_delay_alu instid0(VALU_DEP_1) | instskip(NEXT) | instid1(VALU_DEP_1)
	v_add_f32_e32 v3, 1.0, v3
	v_rcp_f32_e32 v3, v3
	s_delay_alu instid0(TRANS32_DEP_1)
	v_fma_f32 v3, v3, -2.0, 1.0
.LBB121_64:
	s_wait_alu 0xfffe
	s_and_not1_saveexec_b32 s2, s2
	s_cbranch_execz .LBB121_66
; %bb.65:
	v_mul_f32_e32 v3, v2, v2
	s_mov_b32 s3, 0xbbbac73d
	s_wait_alu 0xfffe
	s_delay_alu instid0(VALU_DEP_1) | instskip(NEXT) | instid1(VALU_DEP_1)
	v_fmaak_f32 v4, s3, v3, 0x3ca908c9
	v_fmaak_f32 v4, v3, v4, 0xbd5c1c4e
	s_delay_alu instid0(VALU_DEP_1) | instskip(NEXT) | instid1(VALU_DEP_1)
	v_fmaak_f32 v4, v3, v4, 0x3e088382
	v_fmaak_f32 v4, v3, v4, 0xbeaaaa99
	s_delay_alu instid0(VALU_DEP_1) | instskip(NEXT) | instid1(VALU_DEP_1)
	v_mul_f32_e64 v4, |v2|, v4
	v_fma_f32 v3, v3, v4, |v2|
.LBB121_66:
	s_wait_alu 0xfffe
	s_or_b32 exec_lo, exec_lo, s2
	s_delay_alu instid0(VALU_DEP_1) | instskip(NEXT) | instid1(VALU_DEP_1)
	v_bfi_b32 v2, 0x7fffffff, v3, v2
	v_dual_mul_f32 v1, 0.5, v1 :: v_dual_add_f32 v2, 1.0, v2
	s_delay_alu instid0(VALU_DEP_1) | instskip(NEXT) | instid1(VALU_DEP_1)
	v_mul_f32_e32 v1, v1, v2
	v_mul_f32_e32 v2, v0, v1
.LBB121_67:
	s_delay_alu instid0(VALU_DEP_1)
	v_mov_b32_e32 v0, v2
.LBB121_68:
	s_load_b64 s[0:1], s[0:1], 0x38
	s_mul_i32 s2, s6, s27
	s_wait_kmcnt 0x0
	s_mul_i32 s3, s26, s21
	s_wait_alu 0xfffe
	s_add_co_i32 s2, s2, ttmp9
	s_wait_alu 0xfffe
	s_add_co_i32 s2, s2, s3
	s_mov_b32 s3, 0
	s_wait_alu 0xfffe
	s_lshl_b64 s[2:3], s[2:3], 2
	s_wait_alu 0xfffe
	s_add_nc_u64 s[0:1], s[0:1], s[2:3]
	global_store_b32 v6, v0, s[0:1]
.LBB121_69:
	s_endpgm
	.section	.rodata,"a",@progbits
	.p2align	6, 0x0
	.amdhsa_kernel _ZL13mul_mat_vec_qIL9ggml_type12ELi1ELb1ELb1EEvPKvS2_PKi31ggml_cuda_mm_fusion_args_devicePfj15HIP_vector_typeIjLj3EEjjjS8_jjjS8_jjjj
		.amdhsa_group_segment_fixed_size 1792
		.amdhsa_private_segment_fixed_size 0
		.amdhsa_kernarg_size 144
		.amdhsa_user_sgpr_count 2
		.amdhsa_user_sgpr_dispatch_ptr 0
		.amdhsa_user_sgpr_queue_ptr 0
		.amdhsa_user_sgpr_kernarg_segment_ptr 1
		.amdhsa_user_sgpr_dispatch_id 0
		.amdhsa_user_sgpr_private_segment_size 0
		.amdhsa_wavefront_size32 1
		.amdhsa_uses_dynamic_stack 0
		.amdhsa_enable_private_segment 0
		.amdhsa_system_sgpr_workgroup_id_x 1
		.amdhsa_system_sgpr_workgroup_id_y 1
		.amdhsa_system_sgpr_workgroup_id_z 1
		.amdhsa_system_sgpr_workgroup_info 0
		.amdhsa_system_vgpr_workitem_id 1
		.amdhsa_next_free_vgpr 35
		.amdhsa_next_free_sgpr 38
		.amdhsa_reserve_vcc 1
		.amdhsa_float_round_mode_32 0
		.amdhsa_float_round_mode_16_64 0
		.amdhsa_float_denorm_mode_32 3
		.amdhsa_float_denorm_mode_16_64 3
		.amdhsa_fp16_overflow 0
		.amdhsa_workgroup_processor_mode 1
		.amdhsa_memory_ordered 1
		.amdhsa_forward_progress 1
		.amdhsa_inst_pref_size 31
		.amdhsa_round_robin_scheduling 0
		.amdhsa_exception_fp_ieee_invalid_op 0
		.amdhsa_exception_fp_denorm_src 0
		.amdhsa_exception_fp_ieee_div_zero 0
		.amdhsa_exception_fp_ieee_overflow 0
		.amdhsa_exception_fp_ieee_underflow 0
		.amdhsa_exception_fp_ieee_inexact 0
		.amdhsa_exception_int_div_zero 0
	.end_amdhsa_kernel
	.section	.text._ZL13mul_mat_vec_qIL9ggml_type12ELi1ELb1ELb1EEvPKvS2_PKi31ggml_cuda_mm_fusion_args_devicePfj15HIP_vector_typeIjLj3EEjjjS8_jjjS8_jjjj,"axG",@progbits,_ZL13mul_mat_vec_qIL9ggml_type12ELi1ELb1ELb1EEvPKvS2_PKi31ggml_cuda_mm_fusion_args_devicePfj15HIP_vector_typeIjLj3EEjjjS8_jjjS8_jjjj,comdat
.Lfunc_end121:
	.size	_ZL13mul_mat_vec_qIL9ggml_type12ELi1ELb1ELb1EEvPKvS2_PKi31ggml_cuda_mm_fusion_args_devicePfj15HIP_vector_typeIjLj3EEjjjS8_jjjS8_jjjj, .Lfunc_end121-_ZL13mul_mat_vec_qIL9ggml_type12ELi1ELb1ELb1EEvPKvS2_PKi31ggml_cuda_mm_fusion_args_devicePfj15HIP_vector_typeIjLj3EEjjjS8_jjjS8_jjjj
                                        ; -- End function
	.set _ZL13mul_mat_vec_qIL9ggml_type12ELi1ELb1ELb1EEvPKvS2_PKi31ggml_cuda_mm_fusion_args_devicePfj15HIP_vector_typeIjLj3EEjjjS8_jjjS8_jjjj.num_vgpr, 35
	.set _ZL13mul_mat_vec_qIL9ggml_type12ELi1ELb1ELb1EEvPKvS2_PKi31ggml_cuda_mm_fusion_args_devicePfj15HIP_vector_typeIjLj3EEjjjS8_jjjS8_jjjj.num_agpr, 0
	.set _ZL13mul_mat_vec_qIL9ggml_type12ELi1ELb1ELb1EEvPKvS2_PKi31ggml_cuda_mm_fusion_args_devicePfj15HIP_vector_typeIjLj3EEjjjS8_jjjS8_jjjj.numbered_sgpr, 38
	.set _ZL13mul_mat_vec_qIL9ggml_type12ELi1ELb1ELb1EEvPKvS2_PKi31ggml_cuda_mm_fusion_args_devicePfj15HIP_vector_typeIjLj3EEjjjS8_jjjS8_jjjj.num_named_barrier, 0
	.set _ZL13mul_mat_vec_qIL9ggml_type12ELi1ELb1ELb1EEvPKvS2_PKi31ggml_cuda_mm_fusion_args_devicePfj15HIP_vector_typeIjLj3EEjjjS8_jjjS8_jjjj.private_seg_size, 0
	.set _ZL13mul_mat_vec_qIL9ggml_type12ELi1ELb1ELb1EEvPKvS2_PKi31ggml_cuda_mm_fusion_args_devicePfj15HIP_vector_typeIjLj3EEjjjS8_jjjS8_jjjj.uses_vcc, 1
	.set _ZL13mul_mat_vec_qIL9ggml_type12ELi1ELb1ELb1EEvPKvS2_PKi31ggml_cuda_mm_fusion_args_devicePfj15HIP_vector_typeIjLj3EEjjjS8_jjjS8_jjjj.uses_flat_scratch, 0
	.set _ZL13mul_mat_vec_qIL9ggml_type12ELi1ELb1ELb1EEvPKvS2_PKi31ggml_cuda_mm_fusion_args_devicePfj15HIP_vector_typeIjLj3EEjjjS8_jjjS8_jjjj.has_dyn_sized_stack, 0
	.set _ZL13mul_mat_vec_qIL9ggml_type12ELi1ELb1ELb1EEvPKvS2_PKi31ggml_cuda_mm_fusion_args_devicePfj15HIP_vector_typeIjLj3EEjjjS8_jjjS8_jjjj.has_recursion, 0
	.set _ZL13mul_mat_vec_qIL9ggml_type12ELi1ELb1ELb1EEvPKvS2_PKi31ggml_cuda_mm_fusion_args_devicePfj15HIP_vector_typeIjLj3EEjjjS8_jjjS8_jjjj.has_indirect_call, 0
	.section	.AMDGPU.csdata,"",@progbits
; Kernel info:
; codeLenInByte = 3904
; TotalNumSgprs: 40
; NumVgprs: 35
; ScratchSize: 0
; MemoryBound: 0
; FloatMode: 240
; IeeeMode: 1
; LDSByteSize: 1792 bytes/workgroup (compile time only)
; SGPRBlocks: 0
; VGPRBlocks: 4
; NumSGPRsForWavesPerEU: 40
; NumVGPRsForWavesPerEU: 35
; Occupancy: 16
; WaveLimiterHint : 0
; COMPUTE_PGM_RSRC2:SCRATCH_EN: 0
; COMPUTE_PGM_RSRC2:USER_SGPR: 2
; COMPUTE_PGM_RSRC2:TRAP_HANDLER: 0
; COMPUTE_PGM_RSRC2:TGID_X_EN: 1
; COMPUTE_PGM_RSRC2:TGID_Y_EN: 1
; COMPUTE_PGM_RSRC2:TGID_Z_EN: 1
; COMPUTE_PGM_RSRC2:TIDIG_COMP_CNT: 1
	.section	.text._ZL13mul_mat_vec_qIL9ggml_type12ELi1ELb0ELb1EEvPKvS2_PKi31ggml_cuda_mm_fusion_args_devicePfj15HIP_vector_typeIjLj3EEjjjS8_jjjS8_jjjj,"axG",@progbits,_ZL13mul_mat_vec_qIL9ggml_type12ELi1ELb0ELb1EEvPKvS2_PKi31ggml_cuda_mm_fusion_args_devicePfj15HIP_vector_typeIjLj3EEjjjS8_jjjS8_jjjj,comdat
	.globl	_ZL13mul_mat_vec_qIL9ggml_type12ELi1ELb0ELb1EEvPKvS2_PKi31ggml_cuda_mm_fusion_args_devicePfj15HIP_vector_typeIjLj3EEjjjS8_jjjS8_jjjj ; -- Begin function _ZL13mul_mat_vec_qIL9ggml_type12ELi1ELb0ELb1EEvPKvS2_PKi31ggml_cuda_mm_fusion_args_devicePfj15HIP_vector_typeIjLj3EEjjjS8_jjjS8_jjjj
	.p2align	8
	.type	_ZL13mul_mat_vec_qIL9ggml_type12ELi1ELb0ELb1EEvPKvS2_PKi31ggml_cuda_mm_fusion_args_devicePfj15HIP_vector_typeIjLj3EEjjjS8_jjjS8_jjjj,@function
_ZL13mul_mat_vec_qIL9ggml_type12ELi1ELb0ELb1EEvPKvS2_PKi31ggml_cuda_mm_fusion_args_devicePfj15HIP_vector_typeIjLj3EEjjjS8_jjjS8_jjjj: ; @_ZL13mul_mat_vec_qIL9ggml_type12ELi1ELb0ELb1EEvPKvS2_PKi31ggml_cuda_mm_fusion_args_devicePfj15HIP_vector_typeIjLj3EEjjjS8_jjjS8_jjjj
; %bb.0:
	s_clause 0x1
	s_load_b64 s[2:3], s[0:1], 0x10
	s_load_b128 s[8:11], s[0:1], 0x40
	s_and_b32 s15, ttmp7, 0xffff
	s_wait_kmcnt 0x0
	s_cmp_lg_u64 s[2:3], 0
	s_cselect_b32 s12, -1, 0
	s_cmp_eq_u64 s[2:3], 0
	s_cbranch_scc1 .LBB122_19
; %bb.1:
	s_lshl_b32 s4, s15, 2
	s_load_b32 s2, s[2:3], s4 offset:0x0
	s_clause 0x1
	s_load_b128 s[4:7], s[0:1], 0x68
	s_load_b32 s19, s[0:1], 0x50
	s_cbranch_execnz .LBB122_3
.LBB122_2:
	s_wait_kmcnt 0x0
	s_load_b64 s[2:3], s[0:1], 0x5c
	s_wait_kmcnt 0x0
	s_mul_hi_u32 s2, s2, s15
	s_delay_alu instid0(SALU_CYCLE_1) | instskip(NEXT) | instid1(SALU_CYCLE_1)
	s_add_co_i32 s2, s15, s2
	s_lshr_b32 s2, s2, s3
.LBB122_3:
	s_load_b32 s20, s[0:1], 0x78
	s_and_not1_b32 vcc_lo, exec_lo, s12
	s_mov_b32 s3, s15
	s_cbranch_vccnz .LBB122_5
; %bb.4:
	s_mul_hi_u32 s3, s9, s15
	s_delay_alu instid0(SALU_CYCLE_1) | instskip(NEXT) | instid1(SALU_CYCLE_1)
	s_add_co_i32 s3, s15, s3
	s_lshr_b32 s3, s3, s10
	s_delay_alu instid0(SALU_CYCLE_1) | instskip(NEXT) | instid1(SALU_CYCLE_1)
	s_mul_i32 s3, s3, s11
	s_sub_co_i32 s3, s15, s3
.LBB122_5:
	s_load_b96 s[12:14], s[0:1], 0x80
	v_bfe_u32 v5, v0, 10, 10
	v_and_b32_e32 v4, 0x3ff, v0
	v_mov_b32_e32 v6, 0
	s_lshr_b32 s18, s8, 8
	s_lshr_b32 s16, ttmp7, 16
	s_mov_b32 s17, exec_lo
	v_lshl_add_u32 v0, v5, 5, v4
	s_delay_alu instid0(VALU_DEP_1) | instskip(NEXT) | instid1(VALU_DEP_1)
	v_lshrrev_b32_e32 v7, 4, v0
	v_cmpx_gt_u32_e64 s18, v7
	s_cbranch_execz .LBB122_13
; %bb.6:
	s_load_b128 s[8:11], s[0:1], 0x0
	v_bfe_u32 v3, v4, 2, 2
	s_wait_kmcnt 0x0
	s_mul_hi_u32 s7, s7, s16
	v_lshrrev_b32_e32 v6, 4, v0
	s_add_co_i32 s7, s16, s7
	v_lshlrev_b32_e32 v2, 1, v4
	v_mul_hi_u32_u24_e32 v1, 0x48, v3
	v_mul_u32_u24_e32 v0, 0x48, v3
	s_lshr_b32 s7, s7, s20
	s_mul_i32 s20, s2, s4
	s_mul_i32 s7, s7, s12
	;; [unrolled: 1-line block ×3, first 2 shown]
	s_mov_b32 s13, 0
	v_mad_co_u64_u32 v[0:1], null, 0x120, v6, v[0:1]
	s_mul_i32 s2, s3, s5
	s_mov_b32 s3, s13
	s_mul_u64 s[4:5], s[12:13], 36
	s_mul_u64 s[2:3], s[2:3], 36
	v_and_b32_e32 v10, 30, v2
	s_add_nc_u64 s[4:5], s[10:11], s[4:5]
	v_bfe_u32 v2, v2, 3, 2
	s_add_nc_u64 s[2:3], s[4:5], s[2:3]
	v_dual_mov_b32 v6, 0 :: v_dual_and_b32 v3, 3, v4
	v_add_co_u32 v0, vcc_lo, s2, v0
	s_delay_alu instid0(VALU_DEP_1)
	v_add_co_ci_u32_e64 v1, null, s3, v1, vcc_lo
	s_mul_i32 s19, s19, ttmp9
	v_add_co_u32 v0, s2, v0, 36
	v_lshlrev_b32_e32 v8, 5, v2
	v_lshlrev_b32_e32 v9, 2, v3
	v_cmp_lt_u32_e32 vcc_lo, 15, v10
	s_wait_alu 0xf1ff
	v_add_co_ci_u32_e64 v1, null, 0, v1, s2
	v_lshlrev_b32_e32 v10, 1, v2
	s_wait_alu 0xfffe
	s_add_co_i32 s7, s7, s19
	s_delay_alu instid0(SALU_CYCLE_1)
	s_add_co_i32 s4, s20, s7
	s_branch .LBB122_8
.LBB122_7:                              ;   in Loop: Header=BB122_8 Depth=1
	s_wait_alu 0xfffe
	s_or_b32 exec_lo, exec_lo, s2
	s_wait_loadcnt 0x2
	v_and_b32_e32 v2, 0xf0f0f0f, v20
	s_wait_loadcnt 0x1
	v_and_b32_e32 v3, 0xf0f0f0f, v18
	v_dot4_i32_iu8 v21, 0x1010101, v17, 0 neg_lo:[1,1,0]
	v_lshrrev_b32_e32 v20, 4, v20
	v_lshrrev_b32_e32 v18, 4, v18
	v_dot4_i32_iu8 v2, v2, v17, 0 neg_lo:[1,1,0]
	v_and_b32_e32 v22, 0xff00ff, v19
	v_dot4_i32_iu8 v17, 0x1010101, v15, 0 neg_lo:[1,1,0]
	v_dot4_i32_iu8 v21, 0x1010101, v16, v21 neg_lo:[1,1,0]
	v_and_b32_e32 v20, 0xf0f0f0f, v20
	v_dot4_i32_iu8 v2, v3, v16, v2 neg_lo:[1,1,0]
	v_and_b32_e32 v3, 0xf0f0f0f, v18
	v_lshrrev_b32_e32 v16, 16, v22
	v_pk_lshrrev_b16 v18, 8, v19 op_sel_hi:[0,1]
	v_dot4_i32_iu8 v15, v20, v15, 0 neg_lo:[1,1,0]
	v_dot4_i32_iu8 v17, 0x1010101, v14, v17 neg_lo:[1,1,0]
	v_and_b32_e32 v19, 0xff, v22
	v_mul_lo_u32 v16, v21, v16
	v_lshrrev_b32_e32 v20, 16, v18
	v_dot4_i32_iu8 v3, v3, v14, v15 neg_lo:[1,1,0]
	v_and_b32_e32 v14, 0xff, v18
	v_mul_lo_u32 v2, v2, v19
	v_add_co_u32 v0, s3, 0x1200, v0
	v_mul_lo_u32 v15, v17, v20
	v_cvt_f32_i32_e32 v16, v16
	v_mul_lo_u32 v3, v3, v14
	s_wait_loadcnt 0x0
	v_lshrrev_b32_e32 v14, 16, v13
	s_wait_alu 0xf1ff
	v_add_co_ci_u32_e64 v1, null, 0, v1, s3
	v_cvt_f32_i32_e32 v2, v2
	v_fma_mix_f32 v16, v11, v16, 0 op_sel_hi:[1,0,0]
	v_cvt_f32_i32_e32 v15, v15
	v_cvt_f32_f16_e32 v14, v14
	v_cvt_f32_i32_e32 v3, v3
	v_fma_mix_f32 v2, v11, v2, 0 op_sel_hi:[1,0,0]
	s_delay_alu instid0(VALU_DEP_4) | instskip(NEXT) | instid1(VALU_DEP_2)
	v_fma_mix_f32 v11, v12, v15, v16 op_sel_hi:[1,0,0]
	v_fma_mix_f32 v2, v12, v3, v2 op_sel_hi:[1,0,0]
	s_delay_alu instid0(VALU_DEP_2) | instskip(NEXT) | instid1(VALU_DEP_1)
	v_mul_f32_e32 v3, v11, v14
	v_fma_mix_f32 v2, v2, v13, -v3 op_sel_hi:[0,1,0]
	s_delay_alu instid0(VALU_DEP_1) | instskip(NEXT) | instid1(VALU_DEP_1)
	v_dual_add_f32 v6, v6, v2 :: v_dual_add_nc_u32 v7, 16, v7
	v_cmp_le_u32_e64 s2, s18, v7
	s_or_b32 s13, s2, s13
	s_delay_alu instid0(SALU_CYCLE_1)
	s_and_not1_b32 exec_lo, exec_lo, s13
	s_cbranch_execz .LBB122_12
.LBB122_8:                              ; =>This Inner Loop Header: Depth=1
	v_add_nc_u32_e32 v2, s4, v7
	s_delay_alu instid0(VALU_DEP_1) | instskip(NEXT) | instid1(VALU_DEP_1)
	v_mad_co_i64_i32 v[2:3], null, 0x90, v2, s[8:9]
	v_add_co_u32 v11, s2, v2, v8
	s_wait_alu 0xf1ff
	s_delay_alu instid0(VALU_DEP_2)
	v_add_co_ci_u32_e64 v12, null, 0, v3, s2
	v_add_co_u32 v13, s2, v0, v9
	s_wait_alu 0xf1ff
	v_add_co_ci_u32_e64 v14, null, 0, v1, s2
	v_add_co_u32 v18, s2, v11, v9
	s_wait_alu 0xf1ff
	v_add_co_ci_u32_e64 v19, null, 0, v12, s2
	s_clause 0x5
	global_load_b32 v11, v[0:1], off offset:-36
	global_load_b32 v12, v[0:1], off
	global_load_b32 v17, v[13:14], off offset:-32
	global_load_b32 v16, v[13:14], off offset:-16
	global_load_b32 v15, v[13:14], off offset:4
	global_load_b32 v14, v[13:14], off offset:20
	s_clause 0x2
	global_load_b32 v20, v[18:19], off offset:16
	global_load_b32 v18, v[18:19], off offset:32
	global_load_b32 v13, v[2:3], off
	v_add_co_u32 v2, s2, v2, v10
	s_wait_alu 0xf1ff
	v_add_co_ci_u32_e64 v3, null, 0, v3, s2
                                        ; implicit-def: $vgpr19
	s_and_saveexec_b32 s2, vcc_lo
	s_wait_alu 0xfffe
	s_xor_b32 s2, exec_lo, s2
	s_cbranch_execz .LBB122_10
; %bb.9:                                ;   in Loop: Header=BB122_8 Depth=1
	s_clause 0x1
	global_load_u16 v19, v[2:3], off
	global_load_u16 v21, v[2:3], off offset:8
	s_wait_loadcnt 0x1
	global_load_d16_hi_b16 v19, v[2:3], off offset:4
	s_wait_loadcnt 0x1
	v_pk_lshrrev_b16 v2, 4, v21 op_sel:[1,0] op_sel_hi:[0,0]
	s_delay_alu instid0(VALU_DEP_1) | instskip(SKIP_2) | instid1(VALU_DEP_1)
	v_and_b32_e32 v2, 0xf0f0f0f, v2
	s_wait_loadcnt 0x0
	v_pk_lshrrev_b16 v3, 2, v19 op_sel_hi:[0,1]
	v_and_or_b32 v19, 0x30303030, v3, v2
                                        ; implicit-def: $vgpr2_vgpr3
.LBB122_10:                             ;   in Loop: Header=BB122_8 Depth=1
	s_wait_alu 0xfffe
	s_and_not1_saveexec_b32 s2, s2
	s_cbranch_execz .LBB122_7
; %bb.11:                               ;   in Loop: Header=BB122_8 Depth=1
	global_load_u16 v19, v[2:3], off offset:4
	s_wait_loadcnt 0x0
	global_load_d16_hi_b16 v19, v[2:3], off offset:8
	s_wait_loadcnt 0x0
	v_and_b32_e32 v19, 0x3f3f3f3f, v19
	s_branch .LBB122_7
.LBB122_12:
	s_or_b32 exec_lo, exec_lo, s13
.LBB122_13:
	s_delay_alu instid0(SALU_CYCLE_1)
	s_or_b32 exec_lo, exec_lo, s17
	v_lshlrev_b32_e32 v0, 2, v4
	s_mov_b32 s3, exec_lo
	v_cmp_eq_u32_e32 vcc_lo, 0, v5
	v_cmpx_ne_u32_e32 0, v5
; %bb.14:
	v_lshlrev_b32_e32 v1, 7, v5
	s_delay_alu instid0(VALU_DEP_1)
	v_add3_u32 v1, v1, v0, 0xffffff80
	ds_store_b32 v1, v6
; %bb.15:
	s_wait_alu 0xfffe
	s_or_b32 exec_lo, exec_lo, s3
	s_wait_dscnt 0x0
	s_barrier_signal -1
	s_barrier_wait -1
	global_inv scope:SCOPE_SE
	s_wait_kmcnt 0x0
	s_and_saveexec_b32 s2, vcc_lo
	s_cbranch_execz .LBB122_18
; %bb.16:
	ds_load_2addr_b32 v[1:2], v0 offset1:32
	ds_load_2addr_b32 v[7:8], v0 offset0:64 offset1:96
	ds_load_2addr_b32 v[9:10], v0 offset0:128 offset1:160
	ds_load_b32 v0, v0 offset:768
	s_mov_b32 s3, 0
	s_wait_dscnt 0x3
	v_add_f32_e32 v1, v6, v1
	s_delay_alu instid0(VALU_DEP_1) | instskip(SKIP_2) | instid1(VALU_DEP_2)
	v_add_f32_e32 v1, v1, v2
	v_mbcnt_lo_u32_b32 v2, -1, 0
	s_wait_dscnt 0x2
	v_add_f32_e32 v1, v1, v7
	s_delay_alu instid0(VALU_DEP_2) | instskip(NEXT) | instid1(VALU_DEP_2)
	v_xor_b32_e32 v3, 16, v2
	v_add_f32_e32 v1, v1, v8
	s_delay_alu instid0(VALU_DEP_2) | instskip(SKIP_1) | instid1(VALU_DEP_2)
	v_cmp_gt_i32_e32 vcc_lo, 32, v3
	s_wait_dscnt 0x1
	v_add_f32_e32 v1, v1, v9
	s_delay_alu instid0(VALU_DEP_1) | instskip(SKIP_2) | instid1(VALU_DEP_1)
	v_add_f32_e32 v1, v1, v10
	s_wait_dscnt 0x0
	s_wait_alu 0xfffd
	v_dual_cndmask_b32 v3, v2, v3 :: v_dual_add_f32 v0, v1, v0
	s_delay_alu instid0(VALU_DEP_1)
	v_lshlrev_b32_e32 v1, 2, v3
	v_xor_b32_e32 v3, 8, v2
	ds_bpermute_b32 v1, v1, v0
	v_cmp_gt_i32_e32 vcc_lo, 32, v3
	s_wait_dscnt 0x0
	s_wait_alu 0xfffd
	v_dual_cndmask_b32 v3, v2, v3 :: v_dual_add_f32 v0, v0, v1
	s_delay_alu instid0(VALU_DEP_1) | instskip(SKIP_2) | instid1(VALU_DEP_1)
	v_lshlrev_b32_e32 v3, 2, v3
	ds_bpermute_b32 v1, v3, v0
	v_xor_b32_e32 v3, 4, v2
	v_cmp_gt_i32_e32 vcc_lo, 32, v3
	s_wait_dscnt 0x0
	s_wait_alu 0xfffd
	v_dual_add_f32 v0, v0, v1 :: v_dual_cndmask_b32 v3, v2, v3
	s_delay_alu instid0(VALU_DEP_1) | instskip(SKIP_2) | instid1(VALU_DEP_1)
	v_lshlrev_b32_e32 v3, 2, v3
	ds_bpermute_b32 v1, v3, v0
	v_xor_b32_e32 v3, 2, v2
	v_cmp_gt_i32_e32 vcc_lo, 32, v3
	s_wait_alu 0xfffd
	v_cndmask_b32_e32 v3, v2, v3, vcc_lo
	s_wait_dscnt 0x0
	s_delay_alu instid0(VALU_DEP_1) | instskip(SKIP_2) | instid1(VALU_DEP_1)
	v_dual_add_f32 v0, v0, v1 :: v_dual_lshlrev_b32 v3, 2, v3
	ds_bpermute_b32 v1, v3, v0
	v_xor_b32_e32 v3, 1, v2
	v_cmp_gt_i32_e32 vcc_lo, 32, v3
	s_wait_alu 0xfffd
	v_cndmask_b32_e32 v2, v2, v3, vcc_lo
	v_cmp_eq_u32_e32 vcc_lo, 0, v4
	s_delay_alu instid0(VALU_DEP_2)
	v_lshlrev_b32_e32 v2, 2, v2
	s_wait_dscnt 0x0
	v_add_f32_e32 v0, v0, v1
	ds_bpermute_b32 v1, v2, v0
	s_and_b32 exec_lo, exec_lo, vcc_lo
	s_cbranch_execz .LBB122_18
; %bb.17:
	s_load_b64 s[0:1], s[0:1], 0x38
	s_mul_i32 s2, s6, s15
	s_mul_i32 s4, s14, s16
	s_wait_alu 0xfffe
	s_add_co_i32 s2, s2, ttmp9
	v_mov_b32_e32 v2, 0
	s_wait_alu 0xfffe
	s_add_co_i32 s2, s2, s4
	s_wait_dscnt 0x0
	v_add_f32_e32 v0, v0, v1
	s_wait_alu 0xfffe
	s_lshl_b64 s[2:3], s[2:3], 2
	s_wait_kmcnt 0x0
	s_wait_alu 0xfffe
	s_add_nc_u64 s[0:1], s[0:1], s[2:3]
	global_store_b32 v2, v0, s[0:1]
.LBB122_18:
	s_endpgm
.LBB122_19:
                                        ; implicit-def: $sgpr2
	s_clause 0x1
	s_load_b128 s[4:7], s[0:1], 0x68
	s_load_b32 s19, s[0:1], 0x50
	s_branch .LBB122_2
	.section	.rodata,"a",@progbits
	.p2align	6, 0x0
	.amdhsa_kernel _ZL13mul_mat_vec_qIL9ggml_type12ELi1ELb0ELb1EEvPKvS2_PKi31ggml_cuda_mm_fusion_args_devicePfj15HIP_vector_typeIjLj3EEjjjS8_jjjS8_jjjj
		.amdhsa_group_segment_fixed_size 896
		.amdhsa_private_segment_fixed_size 0
		.amdhsa_kernarg_size 144
		.amdhsa_user_sgpr_count 2
		.amdhsa_user_sgpr_dispatch_ptr 0
		.amdhsa_user_sgpr_queue_ptr 0
		.amdhsa_user_sgpr_kernarg_segment_ptr 1
		.amdhsa_user_sgpr_dispatch_id 0
		.amdhsa_user_sgpr_private_segment_size 0
		.amdhsa_wavefront_size32 1
		.amdhsa_uses_dynamic_stack 0
		.amdhsa_enable_private_segment 0
		.amdhsa_system_sgpr_workgroup_id_x 1
		.amdhsa_system_sgpr_workgroup_id_y 1
		.amdhsa_system_sgpr_workgroup_id_z 1
		.amdhsa_system_sgpr_workgroup_info 0
		.amdhsa_system_vgpr_workitem_id 1
		.amdhsa_next_free_vgpr 23
		.amdhsa_next_free_sgpr 21
		.amdhsa_reserve_vcc 1
		.amdhsa_float_round_mode_32 0
		.amdhsa_float_round_mode_16_64 0
		.amdhsa_float_denorm_mode_32 3
		.amdhsa_float_denorm_mode_16_64 3
		.amdhsa_fp16_overflow 0
		.amdhsa_workgroup_processor_mode 1
		.amdhsa_memory_ordered 1
		.amdhsa_forward_progress 1
		.amdhsa_inst_pref_size 14
		.amdhsa_round_robin_scheduling 0
		.amdhsa_exception_fp_ieee_invalid_op 0
		.amdhsa_exception_fp_denorm_src 0
		.amdhsa_exception_fp_ieee_div_zero 0
		.amdhsa_exception_fp_ieee_overflow 0
		.amdhsa_exception_fp_ieee_underflow 0
		.amdhsa_exception_fp_ieee_inexact 0
		.amdhsa_exception_int_div_zero 0
	.end_amdhsa_kernel
	.section	.text._ZL13mul_mat_vec_qIL9ggml_type12ELi1ELb0ELb1EEvPKvS2_PKi31ggml_cuda_mm_fusion_args_devicePfj15HIP_vector_typeIjLj3EEjjjS8_jjjS8_jjjj,"axG",@progbits,_ZL13mul_mat_vec_qIL9ggml_type12ELi1ELb0ELb1EEvPKvS2_PKi31ggml_cuda_mm_fusion_args_devicePfj15HIP_vector_typeIjLj3EEjjjS8_jjjS8_jjjj,comdat
.Lfunc_end122:
	.size	_ZL13mul_mat_vec_qIL9ggml_type12ELi1ELb0ELb1EEvPKvS2_PKi31ggml_cuda_mm_fusion_args_devicePfj15HIP_vector_typeIjLj3EEjjjS8_jjjS8_jjjj, .Lfunc_end122-_ZL13mul_mat_vec_qIL9ggml_type12ELi1ELb0ELb1EEvPKvS2_PKi31ggml_cuda_mm_fusion_args_devicePfj15HIP_vector_typeIjLj3EEjjjS8_jjjS8_jjjj
                                        ; -- End function
	.set _ZL13mul_mat_vec_qIL9ggml_type12ELi1ELb0ELb1EEvPKvS2_PKi31ggml_cuda_mm_fusion_args_devicePfj15HIP_vector_typeIjLj3EEjjjS8_jjjS8_jjjj.num_vgpr, 23
	.set _ZL13mul_mat_vec_qIL9ggml_type12ELi1ELb0ELb1EEvPKvS2_PKi31ggml_cuda_mm_fusion_args_devicePfj15HIP_vector_typeIjLj3EEjjjS8_jjjS8_jjjj.num_agpr, 0
	.set _ZL13mul_mat_vec_qIL9ggml_type12ELi1ELb0ELb1EEvPKvS2_PKi31ggml_cuda_mm_fusion_args_devicePfj15HIP_vector_typeIjLj3EEjjjS8_jjjS8_jjjj.numbered_sgpr, 21
	.set _ZL13mul_mat_vec_qIL9ggml_type12ELi1ELb0ELb1EEvPKvS2_PKi31ggml_cuda_mm_fusion_args_devicePfj15HIP_vector_typeIjLj3EEjjjS8_jjjS8_jjjj.num_named_barrier, 0
	.set _ZL13mul_mat_vec_qIL9ggml_type12ELi1ELb0ELb1EEvPKvS2_PKi31ggml_cuda_mm_fusion_args_devicePfj15HIP_vector_typeIjLj3EEjjjS8_jjjS8_jjjj.private_seg_size, 0
	.set _ZL13mul_mat_vec_qIL9ggml_type12ELi1ELb0ELb1EEvPKvS2_PKi31ggml_cuda_mm_fusion_args_devicePfj15HIP_vector_typeIjLj3EEjjjS8_jjjS8_jjjj.uses_vcc, 1
	.set _ZL13mul_mat_vec_qIL9ggml_type12ELi1ELb0ELb1EEvPKvS2_PKi31ggml_cuda_mm_fusion_args_devicePfj15HIP_vector_typeIjLj3EEjjjS8_jjjS8_jjjj.uses_flat_scratch, 0
	.set _ZL13mul_mat_vec_qIL9ggml_type12ELi1ELb0ELb1EEvPKvS2_PKi31ggml_cuda_mm_fusion_args_devicePfj15HIP_vector_typeIjLj3EEjjjS8_jjjS8_jjjj.has_dyn_sized_stack, 0
	.set _ZL13mul_mat_vec_qIL9ggml_type12ELi1ELb0ELb1EEvPKvS2_PKi31ggml_cuda_mm_fusion_args_devicePfj15HIP_vector_typeIjLj3EEjjjS8_jjjS8_jjjj.has_recursion, 0
	.set _ZL13mul_mat_vec_qIL9ggml_type12ELi1ELb0ELb1EEvPKvS2_PKi31ggml_cuda_mm_fusion_args_devicePfj15HIP_vector_typeIjLj3EEjjjS8_jjjS8_jjjj.has_indirect_call, 0
	.section	.AMDGPU.csdata,"",@progbits
; Kernel info:
; codeLenInByte = 1684
; TotalNumSgprs: 23
; NumVgprs: 23
; ScratchSize: 0
; MemoryBound: 0
; FloatMode: 240
; IeeeMode: 1
; LDSByteSize: 896 bytes/workgroup (compile time only)
; SGPRBlocks: 0
; VGPRBlocks: 2
; NumSGPRsForWavesPerEU: 23
; NumVGPRsForWavesPerEU: 23
; Occupancy: 16
; WaveLimiterHint : 0
; COMPUTE_PGM_RSRC2:SCRATCH_EN: 0
; COMPUTE_PGM_RSRC2:USER_SGPR: 2
; COMPUTE_PGM_RSRC2:TRAP_HANDLER: 0
; COMPUTE_PGM_RSRC2:TGID_X_EN: 1
; COMPUTE_PGM_RSRC2:TGID_Y_EN: 1
; COMPUTE_PGM_RSRC2:TGID_Z_EN: 1
; COMPUTE_PGM_RSRC2:TIDIG_COMP_CNT: 1
	.section	.text._ZL13mul_mat_vec_qIL9ggml_type12ELi1ELb1ELb0EEvPKvS2_PKi31ggml_cuda_mm_fusion_args_devicePfj15HIP_vector_typeIjLj3EEjjjS8_jjjS8_jjjj,"axG",@progbits,_ZL13mul_mat_vec_qIL9ggml_type12ELi1ELb1ELb0EEvPKvS2_PKi31ggml_cuda_mm_fusion_args_devicePfj15HIP_vector_typeIjLj3EEjjjS8_jjjS8_jjjj,comdat
	.globl	_ZL13mul_mat_vec_qIL9ggml_type12ELi1ELb1ELb0EEvPKvS2_PKi31ggml_cuda_mm_fusion_args_devicePfj15HIP_vector_typeIjLj3EEjjjS8_jjjS8_jjjj ; -- Begin function _ZL13mul_mat_vec_qIL9ggml_type12ELi1ELb1ELb0EEvPKvS2_PKi31ggml_cuda_mm_fusion_args_devicePfj15HIP_vector_typeIjLj3EEjjjS8_jjjS8_jjjj
	.p2align	8
	.type	_ZL13mul_mat_vec_qIL9ggml_type12ELi1ELb1ELb0EEvPKvS2_PKi31ggml_cuda_mm_fusion_args_devicePfj15HIP_vector_typeIjLj3EEjjjS8_jjjS8_jjjj,@function
_ZL13mul_mat_vec_qIL9ggml_type12ELi1ELb1ELb0EEvPKvS2_PKi31ggml_cuda_mm_fusion_args_devicePfj15HIP_vector_typeIjLj3EEjjjS8_jjjS8_jjjj: ; @_ZL13mul_mat_vec_qIL9ggml_type12ELi1ELb1ELb0EEvPKvS2_PKi31ggml_cuda_mm_fusion_args_devicePfj15HIP_vector_typeIjLj3EEjjjS8_jjjS8_jjjj
; %bb.0:
	s_clause 0x3
	s_load_b256 s[8:15], s[0:1], 0x0
	s_load_b128 s[16:19], s[0:1], 0x20
	s_load_b128 s[20:23], s[0:1], 0x40
	s_load_b128 s[4:7], s[0:1], 0x68
	s_and_b32 s27, ttmp7, 0xffff
	s_wait_kmcnt 0x0
	s_cmp_lg_u64 s[12:13], 0
	s_cselect_b32 s2, -1, 0
	s_cmp_eq_u64 s[12:13], 0
	s_cbranch_scc1 .LBB123_50
; %bb.1:
	s_lshl_b32 s3, s27, 2
	s_load_b32 s28, s[12:13], s3 offset:0x0
	s_clause 0x1
	s_load_b32 s31, s[0:1], 0x50
	s_load_b32 s30, s[0:1], 0x78
	s_cbranch_execnz .LBB123_3
.LBB123_2:
	s_load_b64 s[12:13], s[0:1], 0x5c
	s_wait_kmcnt 0x0
	s_mul_hi_u32 s3, s12, s27
	s_delay_alu instid0(SALU_CYCLE_1) | instskip(NEXT) | instid1(SALU_CYCLE_1)
	s_add_co_i32 s3, s27, s3
	s_lshr_b32 s28, s3, s13
.LBB123_3:
	s_and_not1_b32 vcc_lo, exec_lo, s2
	s_mov_b32 s3, s27
	s_mov_b32 s29, s27
	s_cbranch_vccnz .LBB123_5
; %bb.4:
	s_mul_hi_u32 s2, s21, s27
	s_wait_kmcnt 0x0
	s_mov_b32 s3, s28
	s_add_co_i32 s2, s27, s2
	s_delay_alu instid0(SALU_CYCLE_1) | instskip(NEXT) | instid1(SALU_CYCLE_1)
	s_lshr_b32 s2, s2, s22
	s_mul_i32 s2, s2, s23
	s_delay_alu instid0(SALU_CYCLE_1)
	s_sub_co_i32 s29, s27, s2
.LBB123_5:
	s_load_b96 s[24:26], s[0:1], 0x80
	v_bfe_u32 v12, v0, 10, 10
	v_dual_mov_b32 v8, 0 :: v_dual_and_b32 v7, 0x3ff, v0
	s_lshr_b32 s21, ttmp7, 16
	s_cmp_lg_u64 s[14:15], 0
	s_delay_alu instid0(VALU_DEP_1) | instskip(SKIP_4) | instid1(VALU_DEP_1)
	v_dual_mov_b32 v9, 0 :: v_dual_lshlrev_b32 v6, 2, v7
	v_or_b32_e32 v0, v7, v12
	s_cselect_b32 s2, -1, 0
	s_mov_b32 s23, 0
	s_mul_i32 s12, s3, s6
	v_cmp_eq_u32_e32 vcc_lo, 0, v0
	s_and_b32 s13, s2, vcc_lo
	s_delay_alu instid0(SALU_CYCLE_1)
	s_and_saveexec_b32 s3, s13
	s_cbranch_execz .LBB123_7
; %bb.6:
	s_wait_kmcnt 0x0
	s_mul_i32 s22, s26, s21
	s_mov_b32 s13, s23
	s_lshl_b64 s[36:37], s[22:23], 2
	s_mov_b32 s34, ttmp9
	s_add_nc_u64 s[14:15], s[14:15], s[36:37]
	s_lshl_b64 s[22:23], s[12:13], 2
	s_ashr_i32 s35, ttmp9, 31
	s_add_nc_u64 s[14:15], s[14:15], s[22:23]
	s_lshl_b64 s[22:23], s[34:35], 2
	s_delay_alu instid0(SALU_CYCLE_1)
	s_add_nc_u64 s[14:15], s[14:15], s[22:23]
	global_load_b32 v9, v6, s[14:15]
.LBB123_7:
	s_or_b32 exec_lo, exec_lo, s3
	s_cmp_lg_u64 s[16:17], 0
	s_cselect_b32 s14, -1, 0
	s_cmp_lg_u64 s[18:19], 0
	s_cselect_b32 s3, -1, 0
	s_delay_alu instid0(SALU_CYCLE_1) | instskip(NEXT) | instid1(SALU_CYCLE_1)
	s_and_b32 s13, s3, s14
	s_and_b32 s13, s13, vcc_lo
	s_delay_alu instid0(SALU_CYCLE_1)
	s_and_saveexec_b32 s15, s13
	s_cbranch_execz .LBB123_9
; %bb.8:
	s_wait_kmcnt 0x0
	s_mul_i32 s34, s26, s21
	s_mov_b32 s35, 0
	s_mov_b32 s22, ttmp9
	s_lshl_b64 s[36:37], s[34:35], 2
	s_mov_b32 s13, s35
	s_add_nc_u64 s[18:19], s[18:19], s[36:37]
	s_lshl_b64 s[12:13], s[12:13], 2
	s_ashr_i32 s23, ttmp9, 31
	s_add_nc_u64 s[12:13], s[18:19], s[12:13]
	s_lshl_b64 s[18:19], s[22:23], 2
	s_delay_alu instid0(SALU_CYCLE_1)
	s_add_nc_u64 s[12:13], s[12:13], s[18:19]
	global_load_b32 v8, v6, s[12:13]
.LBB123_9:
	s_or_b32 exec_lo, exec_lo, s15
	v_lshl_add_u32 v0, v12, 5, v7
	v_mov_b32_e32 v13, 0
	v_cndmask_b32_e64 v10, 0, 1, s14
	v_mov_b32_e32 v11, 0
	s_lshr_b32 s15, s20, 8
	v_lshrrev_b32_e32 v14, 4, v0
	s_mov_b32 s18, exec_lo
	s_wait_alu 0xfffe
	s_delay_alu instid0(VALU_DEP_1)
	v_cmpx_gt_u32_e64 s15, v14
	s_cbranch_execz .LBB123_23
; %bb.10:
	v_bfe_u32 v3, v7, 2, 2
	v_lshrrev_b32_e32 v5, 4, v0
	s_mul_hi_u32 s7, s7, s21
	s_wait_kmcnt 0x0
	s_mul_i32 s19, s28, s4
	s_add_co_i32 s7, s21, s7
	v_mul_hi_u32_u24_e32 v1, 0x48, v3
	v_mul_u32_u24_e32 v0, 0x48, v3
	s_lshr_b32 s4, s7, s30
	s_mul_i32 s12, s25, s21
	s_mov_b32 s13, 0
	s_mul_i32 s7, s4, s24
	v_mad_co_u64_u32 v[0:1], null, 0x120, v5, v[0:1]
	s_mul_i32 s4, s29, s5
	s_mov_b32 s5, s13
	s_mul_u64 s[22:23], s[12:13], 36
	s_mul_u64 s[4:5], s[4:5], 36
	s_add_nc_u64 s[10:11], s[10:11], s[22:23]
	v_dual_mov_b32 v13, 0 :: v_dual_lshlrev_b32 v2, 1, v7
	s_add_nc_u64 s[4:5], s[10:11], s[4:5]
	v_and_b32_e32 v3, 3, v7
	v_add_co_u32 v0, vcc_lo, s4, v0
	s_delay_alu instid0(VALU_DEP_3) | instskip(SKIP_2) | instid1(VALU_DEP_4)
	v_dual_mov_b32 v11, 0 :: v_dual_and_b32 v4, 30, v2
	v_bfe_u32 v2, v2, 3, 2
	v_add_co_ci_u32_e64 v1, null, s5, v1, vcc_lo
	v_add_co_u32 v0, vcc_lo, v0, 36
	s_mul_i32 s31, s31, ttmp9
	v_lshlrev_b32_e32 v15, 5, v2
	v_lshlrev_b32_e32 v16, 2, v3
	v_cmp_lt_u32_e64 s4, 15, v4
	s_wait_alu 0xfffd
	v_add_co_ci_u32_e64 v1, null, 0, v1, vcc_lo
	v_lshlrev_b32_e32 v17, 1, v2
	s_add_co_i32 s7, s7, s31
	s_delay_alu instid0(SALU_CYCLE_1)
	s_add_co_i32 s7, s19, s7
	s_branch .LBB123_13
.LBB123_11:                             ;   in Loop: Header=BB123_13 Depth=1
	s_wait_alu 0xfffe
	s_or_b32 exec_lo, exec_lo, s5
	global_load_b32 v2, v[2:3], off
	s_wait_loadcnt 0x2
	v_and_b32_e32 v3, 0xf0f0f0f, v32
	s_wait_loadcnt 0x1
	v_and_b32_e32 v4, 0xf0f0f0f, v30
	v_lshrrev_b32_e32 v5, 4, v32
	v_lshrrev_b16 v32, 8, v31
	v_lshrrev_b32_e32 v30, 4, v30
	v_dot4_i32_iu8 v3, v3, v22, 0 neg_lo:[1,1,0]
	v_bfe_u32 v33, v31, 16, 8
	v_and_b32_e32 v5, 0xf0f0f0f, v5
	v_and_b32_e32 v32, 0xffff, v32
	;; [unrolled: 1-line block ×3, first 2 shown]
	v_dot4_i32_iu8 v3, v4, v21, v3 neg_lo:[1,1,0]
	v_and_b32_e32 v4, 0xff, v31
	v_dot4_i32_iu8 v5, v5, v20, 0 neg_lo:[1,1,0]
	v_lshrrev_b32_e32 v31, 24, v31
	s_delay_alu instid0(VALU_DEP_4) | instskip(NEXT) | instid1(VALU_DEP_4)
	v_mul_lo_u32 v3, v3, v33
	v_mul_lo_u32 v4, v29, v4
	s_delay_alu instid0(VALU_DEP_4) | instskip(SKIP_1) | instid1(VALU_DEP_2)
	v_dot4_i32_iu8 v5, v30, v19, v5 neg_lo:[1,1,0]
	v_mul_lo_u32 v30, v28, v32
	v_mul_lo_u32 v5, v5, v31
	v_cvt_f32_i32_e32 v3, v3
	v_cvt_f32_i32_e32 v4, v4
	s_delay_alu instid0(VALU_DEP_4) | instskip(NEXT) | instid1(VALU_DEP_3)
	v_cvt_f32_i32_e32 v30, v30
	v_fma_f32 v3, v26, v3, 0
	s_delay_alu instid0(VALU_DEP_3) | instskip(SKIP_1) | instid1(VALU_DEP_2)
	v_fma_f32 v4, v26, v4, 0
	v_cvt_f32_i32_e32 v5, v5
	v_fmac_f32_e32 v4, v27, v30
	s_delay_alu instid0(VALU_DEP_2) | instskip(SKIP_2) | instid1(VALU_DEP_1)
	v_fmac_f32_e32 v3, v27, v5
	s_wait_loadcnt 0x0
	v_lshrrev_b32_e32 v31, 16, v2
	v_cvt_f32_f16_e32 v30, v31
	s_delay_alu instid0(VALU_DEP_1) | instskip(NEXT) | instid1(VALU_DEP_1)
	v_mul_f32_e32 v4, v4, v30
	v_fma_mix_f32 v2, v3, v2, -v4 op_sel_hi:[0,1,0]
	s_delay_alu instid0(VALU_DEP_1)
	v_add_f32_e32 v11, v11, v2
.LBB123_12:                             ;   in Loop: Header=BB123_13 Depth=1
	s_wait_loadcnt 0x2
	v_lshrrev_b32_e32 v4, 4, v25
	s_wait_loadcnt 0x1
	v_lshrrev_b32_e32 v5, 4, v24
	v_and_b32_e32 v2, 0xf0f0f0f, v25
	v_bfe_u32 v25, v23, 16, 8
	v_add_nc_u32_e32 v14, 16, v14
	v_and_b32_e32 v4, 0xf0f0f0f, v4
	v_and_b32_e32 v5, 0xf0f0f0f, v5
	v_dot4_i32_iu8 v2, v2, v22, 0 neg_lo:[1,1,0]
	v_lshrrev_b16 v22, 8, v23
	v_cmp_le_u32_e32 vcc_lo, s15, v14
	v_dot4_i32_iu8 v4, v4, v20, 0 neg_lo:[1,1,0]
	v_lshrrev_b32_e32 v20, 24, v23
	v_add_co_u32 v0, s5, 0x1200, v0
	s_wait_alu 0xf1ff
	v_add_co_ci_u32_e64 v1, null, 0, v1, s5
	v_dot4_i32_iu8 v4, v5, v19, v4 neg_lo:[1,1,0]
	s_wait_loadcnt 0x0
	v_lshrrev_b32_e32 v5, 16, v18
	s_or_b32 s13, vcc_lo, s13
	s_delay_alu instid0(VALU_DEP_2) | instskip(NEXT) | instid1(VALU_DEP_2)
	v_mul_lo_u32 v4, v4, v20
	v_cvt_f32_f16_e32 v5, v5
	v_and_b32_e32 v3, 0xf0f0f0f, v24
	v_and_b32_e32 v24, 0xff, v23
	s_delay_alu instid0(VALU_DEP_2) | instskip(NEXT) | instid1(VALU_DEP_2)
	v_dot4_i32_iu8 v2, v3, v21, v2 neg_lo:[1,1,0]
	v_mul_lo_u32 v24, v29, v24
	v_and_b32_e32 v3, 0xffff, v22
	s_delay_alu instid0(VALU_DEP_3) | instskip(NEXT) | instid1(VALU_DEP_2)
	v_mul_lo_u32 v2, v2, v25
	v_mul_lo_u32 v3, v28, v3
	s_delay_alu instid0(VALU_DEP_4) | instskip(NEXT) | instid1(VALU_DEP_3)
	v_cvt_f32_i32_e32 v21, v24
	v_cvt_f32_i32_e32 v2, v2
	s_delay_alu instid0(VALU_DEP_2) | instskip(NEXT) | instid1(VALU_DEP_4)
	v_fma_f32 v19, v26, v21, 0
	v_cvt_f32_i32_e32 v3, v3
	s_delay_alu instid0(VALU_DEP_3) | instskip(NEXT) | instid1(VALU_DEP_2)
	v_fma_f32 v2, v26, v2, 0
	v_fmac_f32_e32 v19, v27, v3
	v_cvt_f32_i32_e32 v3, v4
	s_delay_alu instid0(VALU_DEP_2) | instskip(NEXT) | instid1(VALU_DEP_2)
	v_mul_f32_e32 v4, v19, v5
	v_fmac_f32_e32 v2, v27, v3
	s_delay_alu instid0(VALU_DEP_1) | instskip(NEXT) | instid1(VALU_DEP_1)
	v_fma_mix_f32 v2, v2, v18, -v4 op_sel_hi:[0,1,0]
	v_add_f32_e32 v13, v13, v2
	s_and_not1_b32 exec_lo, exec_lo, s13
	s_cbranch_execz .LBB123_22
.LBB123_13:                             ; =>This Inner Loop Header: Depth=1
	v_add_nc_u32_e32 v4, s7, v14
	s_delay_alu instid0(VALU_DEP_1) | instskip(NEXT) | instid1(VALU_DEP_1)
	v_mad_co_i64_i32 v[2:3], null, 0x90, v4, s[8:9]
	v_add_co_u32 v5, vcc_lo, v2, v15
	s_wait_alu 0xfffd
	s_delay_alu instid0(VALU_DEP_2)
	v_add_co_ci_u32_e64 v20, null, 0, v3, vcc_lo
	v_add_co_u32 v18, vcc_lo, v0, v16
	s_wait_alu 0xfffd
	v_add_co_ci_u32_e64 v19, null, 0, v1, vcc_lo
	v_add_co_u32 v23, vcc_lo, v5, v16
	s_wait_alu 0xfffd
	v_add_co_ci_u32_e64 v24, null, 0, v20, vcc_lo
	s_clause 0x5
	global_load_b32 v5, v[0:1], off offset:-36
	global_load_b32 v27, v[0:1], off
	global_load_b32 v22, v[18:19], off offset:-32
	global_load_b32 v21, v[18:19], off offset:-16
	global_load_b32 v20, v[18:19], off offset:4
	global_load_b32 v19, v[18:19], off offset:20
	s_clause 0x2
	global_load_b32 v25, v[23:24], off offset:16
	global_load_b32 v24, v[23:24], off offset:32
	global_load_b32 v18, v[2:3], off
	v_add_co_u32 v2, vcc_lo, v2, v17
	s_wait_alu 0xfffd
	v_add_co_ci_u32_e64 v3, null, 0, v3, vcc_lo
                                        ; implicit-def: $vgpr23
	s_and_saveexec_b32 s5, s4
	s_wait_alu 0xfffe
	s_xor_b32 s5, exec_lo, s5
	s_cbranch_execz .LBB123_15
; %bb.14:                               ;   in Loop: Header=BB123_13 Depth=1
	s_clause 0x1
	global_load_u16 v23, v[2:3], off offset:8
	global_load_u16 v26, v[2:3], off offset:4
	s_wait_loadcnt 0x1
	v_mov_b32_e32 v28, v23
	global_load_d16_hi_b16 v28, v[2:3], off
	s_wait_loadcnt 0x1
	v_perm_b32 v2, v23, v26, 0x5040100
	s_delay_alu instid0(VALU_DEP_1) | instskip(NEXT) | instid1(VALU_DEP_1)
	v_pk_lshrrev_b16 v2, 2, v2
	v_and_b32_e32 v2, 0xf0f3030, v2
	s_wait_loadcnt 0x0
	v_pk_lshrrev_b16 v3, 0x20004, v28
	s_delay_alu instid0(VALU_DEP_1)
	v_and_or_b32 v23, 0x30300f0f, v3, v2
                                        ; implicit-def: $vgpr2_vgpr3
.LBB123_15:                             ;   in Loop: Header=BB123_13 Depth=1
	s_wait_alu 0xfffe
	s_and_not1_saveexec_b32 s5, s5
	s_cbranch_execz .LBB123_17
; %bb.16:                               ;   in Loop: Header=BB123_13 Depth=1
	global_load_u16 v23, v[2:3], off offset:8
	s_wait_loadcnt 0x0
	global_load_d16_hi_b16 v23, v[2:3], off offset:4
	s_wait_loadcnt 0x0
	v_and_b32_e32 v23, 0x3f3f3f3f, v23
.LBB123_17:                             ;   in Loop: Header=BB123_13 Depth=1
	s_wait_alu 0xfffe
	s_or_b32 exec_lo, exec_lo, s5
	s_wait_loadcnt 0x6
	v_dot4_i32_iu8 v2, 0x1010101, v22, 0 neg_lo:[1,1,0]
	s_wait_loadcnt 0x4
	v_dot4_i32_iu8 v3, 0x1010101, v20, 0 neg_lo:[1,1,0]
	v_cvt_f32_f16_e32 v26, v5
	v_cvt_f32_f16_e32 v27, v27
	s_and_not1_b32 vcc_lo, exec_lo, s14
	v_dot4_i32_iu8 v29, 0x1010101, v21, v2 neg_lo:[1,1,0]
	s_wait_loadcnt 0x3
	v_dot4_i32_iu8 v28, 0x1010101, v19, v3 neg_lo:[1,1,0]
	s_wait_alu 0xfffe
	s_cbranch_vccnz .LBB123_12
; %bb.18:                               ;   in Loop: Header=BB123_13 Depth=1
	v_mad_co_i64_i32 v[2:3], null, 0x90, v4, s[16:17]
                                        ; implicit-def: $vgpr31
	s_delay_alu instid0(VALU_DEP_1) | instskip(SKIP_1) | instid1(VALU_DEP_2)
	v_add_co_u32 v4, vcc_lo, v2, v15
	s_wait_alu 0xfffd
	v_add_co_ci_u32_e64 v5, null, 0, v3, vcc_lo
	s_delay_alu instid0(VALU_DEP_2) | instskip(SKIP_1) | instid1(VALU_DEP_2)
	v_add_co_u32 v4, vcc_lo, v4, v16
	s_wait_alu 0xfffd
	v_add_co_ci_u32_e64 v5, null, 0, v5, vcc_lo
	s_clause 0x1
	global_load_b32 v32, v[4:5], off offset:16
	global_load_b32 v30, v[4:5], off offset:32
	v_add_co_u32 v4, vcc_lo, v2, v17
	s_wait_alu 0xfffd
	v_add_co_ci_u32_e64 v5, null, 0, v3, vcc_lo
	s_and_saveexec_b32 s5, s4
	s_wait_alu 0xfffe
	s_xor_b32 s5, exec_lo, s5
	s_cbranch_execz .LBB123_20
; %bb.19:                               ;   in Loop: Header=BB123_13 Depth=1
	s_clause 0x1
	global_load_u16 v31, v[4:5], off offset:8
	global_load_u16 v33, v[4:5], off offset:4
	s_wait_loadcnt 0x1
	v_mov_b32_e32 v34, v31
	global_load_d16_hi_b16 v34, v[4:5], off
	s_wait_loadcnt 0x1
	v_perm_b32 v4, v31, v33, 0x5040100
	s_delay_alu instid0(VALU_DEP_1) | instskip(NEXT) | instid1(VALU_DEP_1)
	v_pk_lshrrev_b16 v4, 2, v4
	v_and_b32_e32 v4, 0xf0f3030, v4
	s_wait_loadcnt 0x0
	v_pk_lshrrev_b16 v5, 0x20004, v34
	s_delay_alu instid0(VALU_DEP_1)
	v_and_or_b32 v31, 0x30300f0f, v5, v4
                                        ; implicit-def: $vgpr4_vgpr5
.LBB123_20:                             ;   in Loop: Header=BB123_13 Depth=1
	s_wait_alu 0xfffe
	s_and_not1_saveexec_b32 s5, s5
	s_cbranch_execz .LBB123_11
; %bb.21:                               ;   in Loop: Header=BB123_13 Depth=1
	global_load_u16 v31, v[4:5], off offset:8
	s_wait_loadcnt 0x0
	global_load_d16_hi_b16 v31, v[4:5], off offset:4
	s_wait_loadcnt 0x0
	v_and_b32_e32 v31, 0x3f3f3f3f, v31
	s_branch .LBB123_11
.LBB123_22:
	s_or_b32 exec_lo, exec_lo, s13
.LBB123_23:
	s_delay_alu instid0(SALU_CYCLE_1)
	s_or_b32 exec_lo, exec_lo, s18
	s_load_b32 s5, s[0:1], 0x30
	v_cmp_eq_u32_e64 s4, 0, v12
	s_mov_b32 s7, exec_lo
	v_cmpx_ne_u32_e32 0, v12
	s_cbranch_execz .LBB123_27
; %bb.24:
	v_add_nc_u32_e32 v0, -1, v12
	s_and_b32 vcc_lo, exec_lo, s14
	s_delay_alu instid0(VALU_DEP_1)
	v_lshlrev_b32_e32 v0, 7, v0
	s_wait_alu 0xfffe
	s_cbranch_vccz .LBB123_26
; %bb.25:
	s_delay_alu instid0(VALU_DEP_1)
	v_lshl_add_u32 v1, v7, 2, v0
	ds_store_b32 v1, v11 offset:896
.LBB123_26:
	s_delay_alu instid0(VALU_DEP_1)
	v_lshl_add_u32 v0, v7, 2, v0
	ds_store_b32 v0, v13
.LBB123_27:
	s_wait_alu 0xfffe
	s_or_b32 exec_lo, exec_lo, s7
	s_wait_loadcnt_dscnt 0x0
	s_barrier_signal -1
	s_barrier_wait -1
	global_inv scope:SCOPE_SE
	s_and_saveexec_b32 s7, s4
	s_cbranch_execz .LBB123_69
; %bb.28:
	ds_load_b32 v0, v6
	v_cmp_ne_u32_e32 vcc_lo, 1, v10
	v_add_nc_u32_e32 v1, 0x380, v6
	s_cbranch_vccnz .LBB123_30
; %bb.29:
	ds_load_b32 v2, v1
	s_wait_dscnt 0x0
	v_add_f32_e32 v11, v11, v2
.LBB123_30:
	ds_load_b32 v2, v6 offset:128
	v_cmp_ne_u32_e32 vcc_lo, 1, v10
	s_cbranch_vccnz .LBB123_32
; %bb.31:
	ds_load_b32 v3, v1 offset:128
	s_wait_dscnt 0x0
	v_add_f32_e32 v11, v11, v3
.LBB123_32:
	ds_load_b32 v3, v6 offset:256
	v_cmp_ne_u32_e32 vcc_lo, 1, v10
	s_cbranch_vccnz .LBB123_34
; %bb.33:
	ds_load_b32 v4, v1 offset:256
	s_wait_dscnt 0x0
	v_add_f32_e32 v11, v11, v4
.LBB123_34:
	;; [unrolled: 8-line block ×6, first 2 shown]
	s_wait_dscnt 0x6
	v_add_f32_e32 v0, v13, v0
	v_mbcnt_lo_u32_b32 v1, -1, 0
	s_wait_dscnt 0x5
	s_delay_alu instid0(VALU_DEP_2) | instskip(NEXT) | instid1(VALU_DEP_2)
	v_add_f32_e32 v0, v0, v2
	v_xor_b32_e32 v2, 16, v1
	s_wait_dscnt 0x4
	s_delay_alu instid0(VALU_DEP_2) | instskip(NEXT) | instid1(VALU_DEP_2)
	v_add_f32_e32 v0, v0, v3
	v_cmp_gt_i32_e32 vcc_lo, 32, v2
	v_xor_b32_e32 v3, 8, v1
	s_wait_dscnt 0x3
	s_delay_alu instid0(VALU_DEP_3)
	v_add_f32_e32 v0, v0, v4
	s_wait_alu 0xfffd
	v_cndmask_b32_e32 v2, v1, v2, vcc_lo
	v_cmp_gt_i32_e32 vcc_lo, 32, v3
	s_wait_dscnt 0x2
	s_wait_alu 0xfffd
	v_dual_add_f32 v0, v0, v5 :: v_dual_cndmask_b32 v3, v1, v3
	s_wait_dscnt 0x1
	s_delay_alu instid0(VALU_DEP_1) | instskip(SKIP_1) | instid1(VALU_DEP_1)
	v_dual_add_f32 v0, v0, v12 :: v_dual_lshlrev_b32 v3, 2, v3
	s_wait_dscnt 0x0
	v_add_f32_e32 v4, v0, v14
	v_lshlrev_b32_e32 v0, 2, v2
	ds_bpermute_b32 v2, v0, v4
	s_wait_dscnt 0x0
	v_add_f32_e32 v2, v4, v2
	v_xor_b32_e32 v4, 4, v1
	ds_bpermute_b32 v5, v3, v2
	v_cmp_gt_i32_e32 vcc_lo, 32, v4
	s_wait_alu 0xfffd
	v_cndmask_b32_e32 v4, v1, v4, vcc_lo
	s_delay_alu instid0(VALU_DEP_1)
	v_lshlrev_b32_e32 v4, 2, v4
	s_wait_dscnt 0x0
	v_add_f32_e32 v2, v2, v5
	v_xor_b32_e32 v5, 2, v1
	ds_bpermute_b32 v12, v4, v2
	v_cmp_gt_i32_e32 vcc_lo, 32, v5
	s_wait_alu 0xfffd
	v_cndmask_b32_e32 v5, v1, v5, vcc_lo
	s_wait_dscnt 0x0
	s_delay_alu instid0(VALU_DEP_1)
	v_dual_add_f32 v2, v2, v12 :: v_dual_lshlrev_b32 v5, 2, v5
	v_xor_b32_e32 v12, 1, v1
	ds_bpermute_b32 v13, v5, v2
	v_cmp_gt_i32_e32 vcc_lo, 32, v12
	s_wait_alu 0xfffd
	v_cndmask_b32_e32 v1, v1, v12, vcc_lo
	v_cmp_ne_u32_e32 vcc_lo, 1, v10
	s_delay_alu instid0(VALU_DEP_2)
	v_lshlrev_b32_e32 v12, 2, v1
	s_wait_dscnt 0x0
	v_add_f32_e32 v1, v2, v13
	ds_bpermute_b32 v2, v12, v1
	s_cbranch_vccnz .LBB123_44
; %bb.43:
	ds_bpermute_b32 v0, v0, v11
	s_wait_dscnt 0x0
	v_add_f32_e32 v0, v11, v0
	ds_bpermute_b32 v3, v3, v0
	s_wait_dscnt 0x0
	v_add_f32_e32 v0, v0, v3
	ds_bpermute_b32 v3, v4, v0
	s_wait_dscnt 0x0
	v_add_f32_e32 v0, v0, v3
	ds_bpermute_b32 v3, v5, v0
	s_wait_dscnt 0x0
	v_add_f32_e32 v0, v0, v3
	ds_bpermute_b32 v3, v12, v0
	s_wait_dscnt 0x0
	v_add_f32_e32 v11, v0, v3
.LBB123_44:
	v_cmp_eq_u32_e32 vcc_lo, 0, v7
	s_and_b32 exec_lo, exec_lo, vcc_lo
	s_cbranch_execz .LBB123_69
; %bb.45:
	s_wait_dscnt 0x0
	v_add_f32_e32 v0, v1, v2
	v_cmp_ne_u32_e32 vcc_lo, 1, v10
	s_delay_alu instid0(VALU_DEP_2) | instskip(NEXT) | instid1(VALU_DEP_1)
	v_add_f32_e32 v1, v9, v0
	v_cndmask_b32_e64 v0, v0, v1, s2
	s_cbranch_vccnz .LBB123_68
; %bb.46:
	v_add_f32_e32 v1, v8, v11
	s_wait_kmcnt 0x0
	s_cmp_lt_i32 s5, 2
	s_mov_b32 s2, 0
	s_delay_alu instid0(VALU_DEP_1)
	v_cndmask_b32_e64 v1, v11, v1, s3
	s_cbranch_scc1 .LBB123_51
; %bb.47:
	s_cmp_gt_i32 s5, 2
	s_cbranch_scc0 .LBB123_52
; %bb.48:
	s_cmp_eq_u32 s5, 3
	s_cbranch_scc0 .LBB123_53
; %bb.49:
	v_max_num_f32_e32 v2, v1, v1
	s_mov_b32 s3, 0xc0e00000
	s_delay_alu instid0(VALU_DEP_1) | instskip(NEXT) | instid1(VALU_DEP_1)
	v_min_num_f32_e32 v2, 0x40e00000, v2
	v_mul_f32_e32 v3, 0xbfd9db23, v2
	s_delay_alu instid0(VALU_DEP_1) | instskip(NEXT) | instid1(VALU_DEP_1)
	v_mul_f32_e32 v4, 0x3fb8aa3b, v3
	v_fma_f32 v5, 0x3fb8aa3b, v3, -v4
	v_rndne_f32_e32 v7, v4
	s_delay_alu instid0(VALU_DEP_1) | instskip(SKIP_1) | instid1(VALU_DEP_2)
	v_dual_sub_f32 v4, v4, v7 :: v_dual_fmamk_f32 v5, v3, 0x32a5705f, v5
	v_cmp_ngt_f32_e32 vcc_lo, 0xc2ce8ed0, v3
	v_add_f32_e32 v4, v4, v5
	v_cvt_i32_f32_e32 v5, v7
	s_delay_alu instid0(VALU_DEP_2) | instskip(NEXT) | instid1(TRANS32_DEP_1)
	v_exp_f32_e32 v4, v4
	v_ldexp_f32 v4, v4, v5
	s_wait_alu 0xfffd
	s_delay_alu instid0(VALU_DEP_1) | instskip(SKIP_2) | instid1(VALU_DEP_2)
	v_cndmask_b32_e32 v4, 0, v4, vcc_lo
	v_cmp_nlt_f32_e32 vcc_lo, 0x42b17218, v3
	s_wait_alu 0xfffd
	v_cndmask_b32_e32 v3, 0x7f800000, v4, vcc_lo
	s_delay_alu instid0(VALU_DEP_1) | instskip(NEXT) | instid1(VALU_DEP_1)
	v_add_f32_e32 v3, 1.0, v3
	v_div_scale_f32 v4, null, v3, v3, v2
	v_div_scale_f32 v8, vcc_lo, v2, v3, v2
	s_delay_alu instid0(VALU_DEP_2) | instskip(NEXT) | instid1(TRANS32_DEP_1)
	v_rcp_f32_e32 v5, v4
	v_fma_f32 v7, -v4, v5, 1.0
	s_delay_alu instid0(VALU_DEP_1) | instskip(NEXT) | instid1(VALU_DEP_1)
	v_fmac_f32_e32 v5, v7, v5
	v_mul_f32_e32 v7, v8, v5
	s_delay_alu instid0(VALU_DEP_1) | instskip(NEXT) | instid1(VALU_DEP_1)
	v_fma_f32 v9, -v4, v7, v8
	v_fmac_f32_e32 v7, v9, v5
	s_delay_alu instid0(VALU_DEP_1) | instskip(SKIP_2) | instid1(VALU_DEP_2)
	v_fma_f32 v4, -v4, v7, v8
	v_max_num_f32_e32 v8, v0, v0
	s_wait_alu 0xfffd
	v_div_fmas_f32 v4, v4, v5, v7
	s_wait_alu 0xfffe
	s_delay_alu instid0(VALU_DEP_2) | instskip(SKIP_1) | instid1(VALU_DEP_2)
	v_minmax_num_f32 v5, v8, 0x40e00000, s3
	s_mov_b32 s3, 0
	v_div_fixup_f32 v2, v4, v3, v2
	s_delay_alu instid0(VALU_DEP_2) | instskip(NEXT) | instid1(VALU_DEP_1)
	v_add_f32_e32 v3, 1.0, v5
	v_mul_f32_e32 v2, v3, v2
	s_branch .LBB123_54
.LBB123_50:
                                        ; implicit-def: $sgpr28
	s_clause 0x1
	s_load_b32 s31, s[0:1], 0x50
	s_load_b32 s30, s[0:1], 0x78
	s_branch .LBB123_2
.LBB123_51:
	s_mov_b32 s3, 0
                                        ; implicit-def: $vgpr2
	s_cbranch_execnz .LBB123_58
	s_branch .LBB123_59
.LBB123_52:
	s_mov_b32 s4, -1
	s_mov_b32 s3, 0
                                        ; implicit-def: $vgpr2
	s_branch .LBB123_55
.LBB123_53:
	s_mov_b32 s3, -1
                                        ; implicit-def: $vgpr2
.LBB123_54:
	s_mov_b32 s4, 0
.LBB123_55:
	s_wait_alu 0xfffe
	s_and_b32 vcc_lo, exec_lo, s4
	s_wait_alu 0xfffe
	s_cbranch_vccz .LBB123_57
; %bb.56:
	v_mul_f32_e32 v2, 0xbfb8aa3b, v1
	v_cmp_nlt_f32_e32 vcc_lo, 0x42ce8ed0, v1
	s_delay_alu instid0(VALU_DEP_2) | instskip(SKIP_1) | instid1(VALU_DEP_2)
	v_rndne_f32_e32 v3, v2
	v_fma_f32 v4, 0xbfb8aa3b, v1, -v2
	v_sub_f32_e32 v2, v2, v3
	s_delay_alu instid0(VALU_DEP_2) | instskip(SKIP_1) | instid1(VALU_DEP_2)
	v_fmamk_f32 v4, v1, 0xb2a5705f, v4
	v_cvt_i32_f32_e32 v3, v3
	v_add_f32_e32 v2, v2, v4
	s_delay_alu instid0(VALU_DEP_1) | instskip(NEXT) | instid1(TRANS32_DEP_1)
	v_exp_f32_e32 v2, v2
	v_ldexp_f32 v2, v2, v3
	s_wait_alu 0xfffd
	s_delay_alu instid0(VALU_DEP_1) | instskip(SKIP_2) | instid1(VALU_DEP_2)
	v_cndmask_b32_e32 v2, 0, v2, vcc_lo
	v_cmp_ngt_f32_e32 vcc_lo, 0xc2b17218, v1
	s_wait_alu 0xfffd
	v_cndmask_b32_e32 v2, 0x7f800000, v2, vcc_lo
	s_delay_alu instid0(VALU_DEP_1) | instskip(NEXT) | instid1(VALU_DEP_1)
	v_add_f32_e32 v2, 1.0, v2
	v_div_scale_f32 v3, null, v2, v2, v1
	s_delay_alu instid0(VALU_DEP_1) | instskip(NEXT) | instid1(TRANS32_DEP_1)
	v_rcp_f32_e32 v4, v3
	v_fma_f32 v5, -v3, v4, 1.0
	s_delay_alu instid0(VALU_DEP_1) | instskip(SKIP_1) | instid1(VALU_DEP_1)
	v_fmac_f32_e32 v4, v5, v4
	v_div_scale_f32 v5, vcc_lo, v1, v2, v1
	v_mul_f32_e32 v7, v5, v4
	s_delay_alu instid0(VALU_DEP_1) | instskip(NEXT) | instid1(VALU_DEP_1)
	v_fma_f32 v8, -v3, v7, v5
	v_fmac_f32_e32 v7, v8, v4
	s_delay_alu instid0(VALU_DEP_1) | instskip(SKIP_1) | instid1(VALU_DEP_1)
	v_fma_f32 v3, -v3, v7, v5
	s_wait_alu 0xfffd
	v_div_fmas_f32 v3, v3, v4, v7
	s_delay_alu instid0(VALU_DEP_1) | instskip(NEXT) | instid1(VALU_DEP_1)
	v_div_fixup_f32 v2, v3, v2, v1
	v_mul_f32_e32 v2, v0, v2
.LBB123_57:
	s_branch .LBB123_59
.LBB123_58:
	s_cmp_lg_u32 s5, 1
	s_mov_b32 s2, -1
	s_cselect_b32 s3, -1, 0
.LBB123_59:
	s_wait_alu 0xfffe
	s_and_not1_b32 vcc_lo, exec_lo, s3
	s_wait_alu 0xfffe
	s_cbranch_vccz .LBB123_61
; %bb.60:
	s_and_not1_b32 vcc_lo, exec_lo, s2
	s_wait_alu 0xfffe
	s_cbranch_vccz .LBB123_62
	s_branch .LBB123_67
.LBB123_61:
	v_mul_f32_e32 v2, v1, v0
	s_cbranch_execnz .LBB123_67
.LBB123_62:
	v_mul_f32_e32 v2, 0x3d372713, v1
	v_mul_f32_e32 v3, 0x3f4c422a, v1
	s_delay_alu instid0(VALU_DEP_2) | instskip(NEXT) | instid1(VALU_DEP_1)
	v_fma_f32 v2, v1, v2, 1.0
	v_mul_f32_e32 v2, v3, v2
                                        ; implicit-def: $vgpr3
	s_delay_alu instid0(VALU_DEP_1)
	v_cmp_ngt_f32_e64 s2, 0x3f200000, |v2|
	s_and_saveexec_b32 s3, s2
	s_wait_alu 0xfffe
	s_xor_b32 s2, exec_lo, s3
	s_cbranch_execz .LBB123_64
; %bb.63:
	v_add_f32_e64 v3, |v2|, |v2|
	s_delay_alu instid0(VALU_DEP_1) | instskip(SKIP_1) | instid1(VALU_DEP_2)
	v_mul_f32_e32 v4, 0x3fb8aa3b, v3
	v_cmp_ngt_f32_e32 vcc_lo, 0xc2ce8ed0, v3
	v_rndne_f32_e32 v5, v4
	v_fma_f32 v7, 0x3fb8aa3b, v3, -v4
	s_delay_alu instid0(VALU_DEP_1) | instskip(SKIP_1) | instid1(VALU_DEP_2)
	v_dual_sub_f32 v4, v4, v5 :: v_dual_fmamk_f32 v7, v3, 0x32a5705f, v7
	v_cvt_i32_f32_e32 v5, v5
	v_add_f32_e32 v4, v4, v7
	s_delay_alu instid0(VALU_DEP_1) | instskip(NEXT) | instid1(TRANS32_DEP_1)
	v_exp_f32_e32 v4, v4
	v_ldexp_f32 v4, v4, v5
	s_wait_alu 0xfffd
	s_delay_alu instid0(VALU_DEP_1) | instskip(SKIP_2) | instid1(VALU_DEP_2)
	v_cndmask_b32_e32 v4, 0, v4, vcc_lo
	v_cmp_nlt_f32_e32 vcc_lo, 0x42b17218, v3
	s_wait_alu 0xfffd
	v_cndmask_b32_e32 v3, 0x7f800000, v4, vcc_lo
	s_delay_alu instid0(VALU_DEP_1) | instskip(NEXT) | instid1(VALU_DEP_1)
	v_add_f32_e32 v3, 1.0, v3
	v_rcp_f32_e32 v3, v3
	s_delay_alu instid0(TRANS32_DEP_1)
	v_fma_f32 v3, v3, -2.0, 1.0
.LBB123_64:
	s_wait_alu 0xfffe
	s_and_not1_saveexec_b32 s2, s2
	s_cbranch_execz .LBB123_66
; %bb.65:
	v_mul_f32_e32 v3, v2, v2
	s_mov_b32 s3, 0xbbbac73d
	s_wait_alu 0xfffe
	s_delay_alu instid0(VALU_DEP_1) | instskip(NEXT) | instid1(VALU_DEP_1)
	v_fmaak_f32 v4, s3, v3, 0x3ca908c9
	v_fmaak_f32 v4, v3, v4, 0xbd5c1c4e
	s_delay_alu instid0(VALU_DEP_1) | instskip(NEXT) | instid1(VALU_DEP_1)
	v_fmaak_f32 v4, v3, v4, 0x3e088382
	v_fmaak_f32 v4, v3, v4, 0xbeaaaa99
	s_delay_alu instid0(VALU_DEP_1) | instskip(NEXT) | instid1(VALU_DEP_1)
	v_mul_f32_e64 v4, |v2|, v4
	v_fma_f32 v3, v3, v4, |v2|
.LBB123_66:
	s_wait_alu 0xfffe
	s_or_b32 exec_lo, exec_lo, s2
	s_delay_alu instid0(VALU_DEP_1) | instskip(NEXT) | instid1(VALU_DEP_1)
	v_bfi_b32 v2, 0x7fffffff, v3, v2
	v_dual_mul_f32 v1, 0.5, v1 :: v_dual_add_f32 v2, 1.0, v2
	s_delay_alu instid0(VALU_DEP_1) | instskip(NEXT) | instid1(VALU_DEP_1)
	v_mul_f32_e32 v1, v1, v2
	v_mul_f32_e32 v2, v0, v1
.LBB123_67:
	s_delay_alu instid0(VALU_DEP_1)
	v_mov_b32_e32 v0, v2
.LBB123_68:
	s_load_b64 s[0:1], s[0:1], 0x38
	s_mul_i32 s2, s6, s27
	s_wait_kmcnt 0x0
	s_mul_i32 s3, s26, s21
	s_wait_alu 0xfffe
	s_add_co_i32 s2, s2, ttmp9
	s_wait_alu 0xfffe
	s_add_co_i32 s2, s2, s3
	s_mov_b32 s3, 0
	s_wait_alu 0xfffe
	s_lshl_b64 s[2:3], s[2:3], 2
	s_wait_alu 0xfffe
	s_add_nc_u64 s[0:1], s[0:1], s[2:3]
	global_store_b32 v6, v0, s[0:1]
.LBB123_69:
	s_endpgm
	.section	.rodata,"a",@progbits
	.p2align	6, 0x0
	.amdhsa_kernel _ZL13mul_mat_vec_qIL9ggml_type12ELi1ELb1ELb0EEvPKvS2_PKi31ggml_cuda_mm_fusion_args_devicePfj15HIP_vector_typeIjLj3EEjjjS8_jjjS8_jjjj
		.amdhsa_group_segment_fixed_size 1792
		.amdhsa_private_segment_fixed_size 0
		.amdhsa_kernarg_size 144
		.amdhsa_user_sgpr_count 2
		.amdhsa_user_sgpr_dispatch_ptr 0
		.amdhsa_user_sgpr_queue_ptr 0
		.amdhsa_user_sgpr_kernarg_segment_ptr 1
		.amdhsa_user_sgpr_dispatch_id 0
		.amdhsa_user_sgpr_private_segment_size 0
		.amdhsa_wavefront_size32 1
		.amdhsa_uses_dynamic_stack 0
		.amdhsa_enable_private_segment 0
		.amdhsa_system_sgpr_workgroup_id_x 1
		.amdhsa_system_sgpr_workgroup_id_y 1
		.amdhsa_system_sgpr_workgroup_id_z 1
		.amdhsa_system_sgpr_workgroup_info 0
		.amdhsa_system_vgpr_workitem_id 1
		.amdhsa_next_free_vgpr 35
		.amdhsa_next_free_sgpr 38
		.amdhsa_reserve_vcc 1
		.amdhsa_float_round_mode_32 0
		.amdhsa_float_round_mode_16_64 0
		.amdhsa_float_denorm_mode_32 3
		.amdhsa_float_denorm_mode_16_64 3
		.amdhsa_fp16_overflow 0
		.amdhsa_workgroup_processor_mode 1
		.amdhsa_memory_ordered 1
		.amdhsa_forward_progress 1
		.amdhsa_inst_pref_size 31
		.amdhsa_round_robin_scheduling 0
		.amdhsa_exception_fp_ieee_invalid_op 0
		.amdhsa_exception_fp_denorm_src 0
		.amdhsa_exception_fp_ieee_div_zero 0
		.amdhsa_exception_fp_ieee_overflow 0
		.amdhsa_exception_fp_ieee_underflow 0
		.amdhsa_exception_fp_ieee_inexact 0
		.amdhsa_exception_int_div_zero 0
	.end_amdhsa_kernel
	.section	.text._ZL13mul_mat_vec_qIL9ggml_type12ELi1ELb1ELb0EEvPKvS2_PKi31ggml_cuda_mm_fusion_args_devicePfj15HIP_vector_typeIjLj3EEjjjS8_jjjS8_jjjj,"axG",@progbits,_ZL13mul_mat_vec_qIL9ggml_type12ELi1ELb1ELb0EEvPKvS2_PKi31ggml_cuda_mm_fusion_args_devicePfj15HIP_vector_typeIjLj3EEjjjS8_jjjS8_jjjj,comdat
.Lfunc_end123:
	.size	_ZL13mul_mat_vec_qIL9ggml_type12ELi1ELb1ELb0EEvPKvS2_PKi31ggml_cuda_mm_fusion_args_devicePfj15HIP_vector_typeIjLj3EEjjjS8_jjjS8_jjjj, .Lfunc_end123-_ZL13mul_mat_vec_qIL9ggml_type12ELi1ELb1ELb0EEvPKvS2_PKi31ggml_cuda_mm_fusion_args_devicePfj15HIP_vector_typeIjLj3EEjjjS8_jjjS8_jjjj
                                        ; -- End function
	.set _ZL13mul_mat_vec_qIL9ggml_type12ELi1ELb1ELb0EEvPKvS2_PKi31ggml_cuda_mm_fusion_args_devicePfj15HIP_vector_typeIjLj3EEjjjS8_jjjS8_jjjj.num_vgpr, 35
	.set _ZL13mul_mat_vec_qIL9ggml_type12ELi1ELb1ELb0EEvPKvS2_PKi31ggml_cuda_mm_fusion_args_devicePfj15HIP_vector_typeIjLj3EEjjjS8_jjjS8_jjjj.num_agpr, 0
	.set _ZL13mul_mat_vec_qIL9ggml_type12ELi1ELb1ELb0EEvPKvS2_PKi31ggml_cuda_mm_fusion_args_devicePfj15HIP_vector_typeIjLj3EEjjjS8_jjjS8_jjjj.numbered_sgpr, 38
	.set _ZL13mul_mat_vec_qIL9ggml_type12ELi1ELb1ELb0EEvPKvS2_PKi31ggml_cuda_mm_fusion_args_devicePfj15HIP_vector_typeIjLj3EEjjjS8_jjjS8_jjjj.num_named_barrier, 0
	.set _ZL13mul_mat_vec_qIL9ggml_type12ELi1ELb1ELb0EEvPKvS2_PKi31ggml_cuda_mm_fusion_args_devicePfj15HIP_vector_typeIjLj3EEjjjS8_jjjS8_jjjj.private_seg_size, 0
	.set _ZL13mul_mat_vec_qIL9ggml_type12ELi1ELb1ELb0EEvPKvS2_PKi31ggml_cuda_mm_fusion_args_devicePfj15HIP_vector_typeIjLj3EEjjjS8_jjjS8_jjjj.uses_vcc, 1
	.set _ZL13mul_mat_vec_qIL9ggml_type12ELi1ELb1ELb0EEvPKvS2_PKi31ggml_cuda_mm_fusion_args_devicePfj15HIP_vector_typeIjLj3EEjjjS8_jjjS8_jjjj.uses_flat_scratch, 0
	.set _ZL13mul_mat_vec_qIL9ggml_type12ELi1ELb1ELb0EEvPKvS2_PKi31ggml_cuda_mm_fusion_args_devicePfj15HIP_vector_typeIjLj3EEjjjS8_jjjS8_jjjj.has_dyn_sized_stack, 0
	.set _ZL13mul_mat_vec_qIL9ggml_type12ELi1ELb1ELb0EEvPKvS2_PKi31ggml_cuda_mm_fusion_args_devicePfj15HIP_vector_typeIjLj3EEjjjS8_jjjS8_jjjj.has_recursion, 0
	.set _ZL13mul_mat_vec_qIL9ggml_type12ELi1ELb1ELb0EEvPKvS2_PKi31ggml_cuda_mm_fusion_args_devicePfj15HIP_vector_typeIjLj3EEjjjS8_jjjS8_jjjj.has_indirect_call, 0
	.section	.AMDGPU.csdata,"",@progbits
; Kernel info:
; codeLenInByte = 3904
; TotalNumSgprs: 40
; NumVgprs: 35
; ScratchSize: 0
; MemoryBound: 0
; FloatMode: 240
; IeeeMode: 1
; LDSByteSize: 1792 bytes/workgroup (compile time only)
; SGPRBlocks: 0
; VGPRBlocks: 4
; NumSGPRsForWavesPerEU: 40
; NumVGPRsForWavesPerEU: 35
; Occupancy: 16
; WaveLimiterHint : 0
; COMPUTE_PGM_RSRC2:SCRATCH_EN: 0
; COMPUTE_PGM_RSRC2:USER_SGPR: 2
; COMPUTE_PGM_RSRC2:TRAP_HANDLER: 0
; COMPUTE_PGM_RSRC2:TGID_X_EN: 1
; COMPUTE_PGM_RSRC2:TGID_Y_EN: 1
; COMPUTE_PGM_RSRC2:TGID_Z_EN: 1
; COMPUTE_PGM_RSRC2:TIDIG_COMP_CNT: 1
	.section	.text._ZL13mul_mat_vec_qIL9ggml_type12ELi1ELb0ELb0EEvPKvS2_PKi31ggml_cuda_mm_fusion_args_devicePfj15HIP_vector_typeIjLj3EEjjjS8_jjjS8_jjjj,"axG",@progbits,_ZL13mul_mat_vec_qIL9ggml_type12ELi1ELb0ELb0EEvPKvS2_PKi31ggml_cuda_mm_fusion_args_devicePfj15HIP_vector_typeIjLj3EEjjjS8_jjjS8_jjjj,comdat
	.globl	_ZL13mul_mat_vec_qIL9ggml_type12ELi1ELb0ELb0EEvPKvS2_PKi31ggml_cuda_mm_fusion_args_devicePfj15HIP_vector_typeIjLj3EEjjjS8_jjjS8_jjjj ; -- Begin function _ZL13mul_mat_vec_qIL9ggml_type12ELi1ELb0ELb0EEvPKvS2_PKi31ggml_cuda_mm_fusion_args_devicePfj15HIP_vector_typeIjLj3EEjjjS8_jjjS8_jjjj
	.p2align	8
	.type	_ZL13mul_mat_vec_qIL9ggml_type12ELi1ELb0ELb0EEvPKvS2_PKi31ggml_cuda_mm_fusion_args_devicePfj15HIP_vector_typeIjLj3EEjjjS8_jjjS8_jjjj,@function
_ZL13mul_mat_vec_qIL9ggml_type12ELi1ELb0ELb0EEvPKvS2_PKi31ggml_cuda_mm_fusion_args_devicePfj15HIP_vector_typeIjLj3EEjjjS8_jjjS8_jjjj: ; @_ZL13mul_mat_vec_qIL9ggml_type12ELi1ELb0ELb0EEvPKvS2_PKi31ggml_cuda_mm_fusion_args_devicePfj15HIP_vector_typeIjLj3EEjjjS8_jjjS8_jjjj
; %bb.0:
	s_clause 0x1
	s_load_b64 s[2:3], s[0:1], 0x10
	s_load_b128 s[8:11], s[0:1], 0x40
	s_and_b32 s15, ttmp7, 0xffff
	s_wait_kmcnt 0x0
	s_cmp_lg_u64 s[2:3], 0
	s_cselect_b32 s12, -1, 0
	s_cmp_eq_u64 s[2:3], 0
	s_cbranch_scc1 .LBB124_19
; %bb.1:
	s_lshl_b32 s4, s15, 2
	s_load_b32 s2, s[2:3], s4 offset:0x0
	s_clause 0x1
	s_load_b128 s[4:7], s[0:1], 0x68
	s_load_b32 s19, s[0:1], 0x50
	s_cbranch_execnz .LBB124_3
.LBB124_2:
	s_wait_kmcnt 0x0
	s_load_b64 s[2:3], s[0:1], 0x5c
	s_wait_kmcnt 0x0
	s_mul_hi_u32 s2, s2, s15
	s_delay_alu instid0(SALU_CYCLE_1) | instskip(NEXT) | instid1(SALU_CYCLE_1)
	s_add_co_i32 s2, s15, s2
	s_lshr_b32 s2, s2, s3
.LBB124_3:
	s_load_b32 s20, s[0:1], 0x78
	s_and_not1_b32 vcc_lo, exec_lo, s12
	s_mov_b32 s3, s15
	s_cbranch_vccnz .LBB124_5
; %bb.4:
	s_mul_hi_u32 s3, s9, s15
	s_delay_alu instid0(SALU_CYCLE_1) | instskip(NEXT) | instid1(SALU_CYCLE_1)
	s_add_co_i32 s3, s15, s3
	s_lshr_b32 s3, s3, s10
	s_delay_alu instid0(SALU_CYCLE_1) | instskip(NEXT) | instid1(SALU_CYCLE_1)
	s_mul_i32 s3, s3, s11
	s_sub_co_i32 s3, s15, s3
.LBB124_5:
	s_load_b96 s[12:14], s[0:1], 0x80
	v_bfe_u32 v5, v0, 10, 10
	v_and_b32_e32 v4, 0x3ff, v0
	v_mov_b32_e32 v6, 0
	s_lshr_b32 s18, s8, 8
	s_lshr_b32 s16, ttmp7, 16
	s_mov_b32 s17, exec_lo
	v_lshl_add_u32 v0, v5, 5, v4
	s_delay_alu instid0(VALU_DEP_1) | instskip(NEXT) | instid1(VALU_DEP_1)
	v_lshrrev_b32_e32 v7, 4, v0
	v_cmpx_gt_u32_e64 s18, v7
	s_cbranch_execz .LBB124_13
; %bb.6:
	s_load_b128 s[8:11], s[0:1], 0x0
	v_bfe_u32 v3, v4, 2, 2
	s_wait_kmcnt 0x0
	s_mul_hi_u32 s7, s7, s16
	v_lshrrev_b32_e32 v6, 4, v0
	s_add_co_i32 s7, s16, s7
	v_lshlrev_b32_e32 v2, 1, v4
	v_mul_hi_u32_u24_e32 v1, 0x48, v3
	v_mul_u32_u24_e32 v0, 0x48, v3
	s_lshr_b32 s7, s7, s20
	s_mul_i32 s20, s2, s4
	s_mul_i32 s7, s7, s12
	s_mul_i32 s12, s13, s16
	s_mov_b32 s13, 0
	v_mad_co_u64_u32 v[0:1], null, 0x120, v6, v[0:1]
	s_mul_i32 s2, s3, s5
	s_mov_b32 s3, s13
	s_mul_u64 s[4:5], s[12:13], 36
	s_mul_u64 s[2:3], s[2:3], 36
	v_and_b32_e32 v10, 30, v2
	s_add_nc_u64 s[4:5], s[10:11], s[4:5]
	v_bfe_u32 v2, v2, 3, 2
	s_add_nc_u64 s[2:3], s[4:5], s[2:3]
	v_dual_mov_b32 v6, 0 :: v_dual_and_b32 v3, 3, v4
	v_add_co_u32 v0, vcc_lo, s2, v0
	s_delay_alu instid0(VALU_DEP_1)
	v_add_co_ci_u32_e64 v1, null, s3, v1, vcc_lo
	s_mul_i32 s19, s19, ttmp9
	v_add_co_u32 v0, s2, v0, 36
	v_lshlrev_b32_e32 v8, 5, v2
	v_lshlrev_b32_e32 v9, 2, v3
	v_cmp_lt_u32_e32 vcc_lo, 15, v10
	s_wait_alu 0xf1ff
	v_add_co_ci_u32_e64 v1, null, 0, v1, s2
	v_lshlrev_b32_e32 v10, 1, v2
	s_wait_alu 0xfffe
	s_add_co_i32 s7, s7, s19
	s_delay_alu instid0(SALU_CYCLE_1)
	s_add_co_i32 s4, s20, s7
	s_branch .LBB124_8
.LBB124_7:                              ;   in Loop: Header=BB124_8 Depth=1
	s_wait_alu 0xfffe
	s_or_b32 exec_lo, exec_lo, s2
	s_wait_loadcnt 0x2
	v_and_b32_e32 v2, 0xf0f0f0f, v20
	s_wait_loadcnt 0x1
	v_and_b32_e32 v3, 0xf0f0f0f, v18
	v_dot4_i32_iu8 v21, 0x1010101, v17, 0 neg_lo:[1,1,0]
	v_lshrrev_b32_e32 v20, 4, v20
	v_lshrrev_b32_e32 v18, 4, v18
	v_dot4_i32_iu8 v2, v2, v17, 0 neg_lo:[1,1,0]
	v_and_b32_e32 v22, 0xff00ff, v19
	v_dot4_i32_iu8 v17, 0x1010101, v15, 0 neg_lo:[1,1,0]
	v_dot4_i32_iu8 v21, 0x1010101, v16, v21 neg_lo:[1,1,0]
	v_and_b32_e32 v20, 0xf0f0f0f, v20
	v_dot4_i32_iu8 v2, v3, v16, v2 neg_lo:[1,1,0]
	v_and_b32_e32 v3, 0xf0f0f0f, v18
	v_lshrrev_b32_e32 v16, 16, v22
	v_pk_lshrrev_b16 v18, 8, v19 op_sel_hi:[0,1]
	v_dot4_i32_iu8 v15, v20, v15, 0 neg_lo:[1,1,0]
	v_dot4_i32_iu8 v17, 0x1010101, v14, v17 neg_lo:[1,1,0]
	v_and_b32_e32 v19, 0xff, v22
	v_mul_lo_u32 v16, v21, v16
	v_lshrrev_b32_e32 v20, 16, v18
	v_dot4_i32_iu8 v3, v3, v14, v15 neg_lo:[1,1,0]
	v_and_b32_e32 v14, 0xff, v18
	v_mul_lo_u32 v2, v2, v19
	v_add_co_u32 v0, s3, 0x1200, v0
	v_mul_lo_u32 v15, v17, v20
	v_cvt_f32_i32_e32 v16, v16
	v_mul_lo_u32 v3, v3, v14
	s_wait_loadcnt 0x0
	v_lshrrev_b32_e32 v14, 16, v13
	s_wait_alu 0xf1ff
	v_add_co_ci_u32_e64 v1, null, 0, v1, s3
	v_cvt_f32_i32_e32 v2, v2
	v_fma_mix_f32 v16, v11, v16, 0 op_sel_hi:[1,0,0]
	v_cvt_f32_i32_e32 v15, v15
	v_cvt_f32_f16_e32 v14, v14
	v_cvt_f32_i32_e32 v3, v3
	v_fma_mix_f32 v2, v11, v2, 0 op_sel_hi:[1,0,0]
	s_delay_alu instid0(VALU_DEP_4) | instskip(NEXT) | instid1(VALU_DEP_2)
	v_fma_mix_f32 v11, v12, v15, v16 op_sel_hi:[1,0,0]
	v_fma_mix_f32 v2, v12, v3, v2 op_sel_hi:[1,0,0]
	s_delay_alu instid0(VALU_DEP_2) | instskip(NEXT) | instid1(VALU_DEP_1)
	v_mul_f32_e32 v3, v11, v14
	v_fma_mix_f32 v2, v2, v13, -v3 op_sel_hi:[0,1,0]
	s_delay_alu instid0(VALU_DEP_1) | instskip(NEXT) | instid1(VALU_DEP_1)
	v_dual_add_f32 v6, v6, v2 :: v_dual_add_nc_u32 v7, 16, v7
	v_cmp_le_u32_e64 s2, s18, v7
	s_or_b32 s13, s2, s13
	s_delay_alu instid0(SALU_CYCLE_1)
	s_and_not1_b32 exec_lo, exec_lo, s13
	s_cbranch_execz .LBB124_12
.LBB124_8:                              ; =>This Inner Loop Header: Depth=1
	v_add_nc_u32_e32 v2, s4, v7
	s_delay_alu instid0(VALU_DEP_1) | instskip(NEXT) | instid1(VALU_DEP_1)
	v_mad_co_i64_i32 v[2:3], null, 0x90, v2, s[8:9]
	v_add_co_u32 v11, s2, v2, v8
	s_wait_alu 0xf1ff
	s_delay_alu instid0(VALU_DEP_2)
	v_add_co_ci_u32_e64 v12, null, 0, v3, s2
	v_add_co_u32 v13, s2, v0, v9
	s_wait_alu 0xf1ff
	v_add_co_ci_u32_e64 v14, null, 0, v1, s2
	v_add_co_u32 v18, s2, v11, v9
	s_wait_alu 0xf1ff
	v_add_co_ci_u32_e64 v19, null, 0, v12, s2
	s_clause 0x5
	global_load_b32 v11, v[0:1], off offset:-36
	global_load_b32 v12, v[0:1], off
	global_load_b32 v17, v[13:14], off offset:-32
	global_load_b32 v16, v[13:14], off offset:-16
	global_load_b32 v15, v[13:14], off offset:4
	global_load_b32 v14, v[13:14], off offset:20
	s_clause 0x2
	global_load_b32 v20, v[18:19], off offset:16
	global_load_b32 v18, v[18:19], off offset:32
	global_load_b32 v13, v[2:3], off
	v_add_co_u32 v2, s2, v2, v10
	s_wait_alu 0xf1ff
	v_add_co_ci_u32_e64 v3, null, 0, v3, s2
                                        ; implicit-def: $vgpr19
	s_and_saveexec_b32 s2, vcc_lo
	s_wait_alu 0xfffe
	s_xor_b32 s2, exec_lo, s2
	s_cbranch_execz .LBB124_10
; %bb.9:                                ;   in Loop: Header=BB124_8 Depth=1
	s_clause 0x1
	global_load_u16 v19, v[2:3], off
	global_load_u16 v21, v[2:3], off offset:8
	s_wait_loadcnt 0x1
	global_load_d16_hi_b16 v19, v[2:3], off offset:4
	s_wait_loadcnt 0x1
	v_pk_lshrrev_b16 v2, 4, v21 op_sel:[1,0] op_sel_hi:[0,0]
	s_delay_alu instid0(VALU_DEP_1) | instskip(SKIP_2) | instid1(VALU_DEP_1)
	v_and_b32_e32 v2, 0xf0f0f0f, v2
	s_wait_loadcnt 0x0
	v_pk_lshrrev_b16 v3, 2, v19 op_sel_hi:[0,1]
	v_and_or_b32 v19, 0x30303030, v3, v2
                                        ; implicit-def: $vgpr2_vgpr3
.LBB124_10:                             ;   in Loop: Header=BB124_8 Depth=1
	s_wait_alu 0xfffe
	s_and_not1_saveexec_b32 s2, s2
	s_cbranch_execz .LBB124_7
; %bb.11:                               ;   in Loop: Header=BB124_8 Depth=1
	global_load_u16 v19, v[2:3], off offset:4
	s_wait_loadcnt 0x0
	global_load_d16_hi_b16 v19, v[2:3], off offset:8
	s_wait_loadcnt 0x0
	v_and_b32_e32 v19, 0x3f3f3f3f, v19
	s_branch .LBB124_7
.LBB124_12:
	s_or_b32 exec_lo, exec_lo, s13
.LBB124_13:
	s_delay_alu instid0(SALU_CYCLE_1)
	s_or_b32 exec_lo, exec_lo, s17
	v_lshlrev_b32_e32 v0, 2, v4
	s_mov_b32 s3, exec_lo
	v_cmp_eq_u32_e32 vcc_lo, 0, v5
	v_cmpx_ne_u32_e32 0, v5
; %bb.14:
	v_lshlrev_b32_e32 v1, 7, v5
	s_delay_alu instid0(VALU_DEP_1)
	v_add3_u32 v1, v1, v0, 0xffffff80
	ds_store_b32 v1, v6
; %bb.15:
	s_wait_alu 0xfffe
	s_or_b32 exec_lo, exec_lo, s3
	s_wait_dscnt 0x0
	s_barrier_signal -1
	s_barrier_wait -1
	global_inv scope:SCOPE_SE
	s_wait_kmcnt 0x0
	s_and_saveexec_b32 s2, vcc_lo
	s_cbranch_execz .LBB124_18
; %bb.16:
	ds_load_2addr_b32 v[1:2], v0 offset1:32
	ds_load_2addr_b32 v[7:8], v0 offset0:64 offset1:96
	ds_load_2addr_b32 v[9:10], v0 offset0:128 offset1:160
	ds_load_b32 v0, v0 offset:768
	s_mov_b32 s3, 0
	s_wait_dscnt 0x3
	v_add_f32_e32 v1, v6, v1
	s_delay_alu instid0(VALU_DEP_1) | instskip(SKIP_2) | instid1(VALU_DEP_2)
	v_add_f32_e32 v1, v1, v2
	v_mbcnt_lo_u32_b32 v2, -1, 0
	s_wait_dscnt 0x2
	v_add_f32_e32 v1, v1, v7
	s_delay_alu instid0(VALU_DEP_2) | instskip(NEXT) | instid1(VALU_DEP_2)
	v_xor_b32_e32 v3, 16, v2
	v_add_f32_e32 v1, v1, v8
	s_delay_alu instid0(VALU_DEP_2) | instskip(SKIP_1) | instid1(VALU_DEP_2)
	v_cmp_gt_i32_e32 vcc_lo, 32, v3
	s_wait_dscnt 0x1
	v_add_f32_e32 v1, v1, v9
	s_delay_alu instid0(VALU_DEP_1) | instskip(SKIP_2) | instid1(VALU_DEP_1)
	v_add_f32_e32 v1, v1, v10
	s_wait_dscnt 0x0
	s_wait_alu 0xfffd
	v_dual_cndmask_b32 v3, v2, v3 :: v_dual_add_f32 v0, v1, v0
	s_delay_alu instid0(VALU_DEP_1)
	v_lshlrev_b32_e32 v1, 2, v3
	v_xor_b32_e32 v3, 8, v2
	ds_bpermute_b32 v1, v1, v0
	v_cmp_gt_i32_e32 vcc_lo, 32, v3
	s_wait_dscnt 0x0
	s_wait_alu 0xfffd
	v_dual_cndmask_b32 v3, v2, v3 :: v_dual_add_f32 v0, v0, v1
	s_delay_alu instid0(VALU_DEP_1) | instskip(SKIP_2) | instid1(VALU_DEP_1)
	v_lshlrev_b32_e32 v3, 2, v3
	ds_bpermute_b32 v1, v3, v0
	v_xor_b32_e32 v3, 4, v2
	v_cmp_gt_i32_e32 vcc_lo, 32, v3
	s_wait_dscnt 0x0
	s_wait_alu 0xfffd
	v_dual_add_f32 v0, v0, v1 :: v_dual_cndmask_b32 v3, v2, v3
	s_delay_alu instid0(VALU_DEP_1) | instskip(SKIP_2) | instid1(VALU_DEP_1)
	v_lshlrev_b32_e32 v3, 2, v3
	ds_bpermute_b32 v1, v3, v0
	v_xor_b32_e32 v3, 2, v2
	v_cmp_gt_i32_e32 vcc_lo, 32, v3
	s_wait_alu 0xfffd
	v_cndmask_b32_e32 v3, v2, v3, vcc_lo
	s_wait_dscnt 0x0
	s_delay_alu instid0(VALU_DEP_1) | instskip(SKIP_2) | instid1(VALU_DEP_1)
	v_dual_add_f32 v0, v0, v1 :: v_dual_lshlrev_b32 v3, 2, v3
	ds_bpermute_b32 v1, v3, v0
	v_xor_b32_e32 v3, 1, v2
	v_cmp_gt_i32_e32 vcc_lo, 32, v3
	s_wait_alu 0xfffd
	v_cndmask_b32_e32 v2, v2, v3, vcc_lo
	v_cmp_eq_u32_e32 vcc_lo, 0, v4
	s_delay_alu instid0(VALU_DEP_2)
	v_lshlrev_b32_e32 v2, 2, v2
	s_wait_dscnt 0x0
	v_add_f32_e32 v0, v0, v1
	ds_bpermute_b32 v1, v2, v0
	s_and_b32 exec_lo, exec_lo, vcc_lo
	s_cbranch_execz .LBB124_18
; %bb.17:
	s_load_b64 s[0:1], s[0:1], 0x38
	s_mul_i32 s2, s6, s15
	s_mul_i32 s4, s14, s16
	s_wait_alu 0xfffe
	s_add_co_i32 s2, s2, ttmp9
	v_mov_b32_e32 v2, 0
	s_wait_alu 0xfffe
	s_add_co_i32 s2, s2, s4
	s_wait_dscnt 0x0
	v_add_f32_e32 v0, v0, v1
	s_wait_alu 0xfffe
	s_lshl_b64 s[2:3], s[2:3], 2
	s_wait_kmcnt 0x0
	s_wait_alu 0xfffe
	s_add_nc_u64 s[0:1], s[0:1], s[2:3]
	global_store_b32 v2, v0, s[0:1]
.LBB124_18:
	s_endpgm
.LBB124_19:
                                        ; implicit-def: $sgpr2
	s_clause 0x1
	s_load_b128 s[4:7], s[0:1], 0x68
	s_load_b32 s19, s[0:1], 0x50
	s_branch .LBB124_2
	.section	.rodata,"a",@progbits
	.p2align	6, 0x0
	.amdhsa_kernel _ZL13mul_mat_vec_qIL9ggml_type12ELi1ELb0ELb0EEvPKvS2_PKi31ggml_cuda_mm_fusion_args_devicePfj15HIP_vector_typeIjLj3EEjjjS8_jjjS8_jjjj
		.amdhsa_group_segment_fixed_size 896
		.amdhsa_private_segment_fixed_size 0
		.amdhsa_kernarg_size 144
		.amdhsa_user_sgpr_count 2
		.amdhsa_user_sgpr_dispatch_ptr 0
		.amdhsa_user_sgpr_queue_ptr 0
		.amdhsa_user_sgpr_kernarg_segment_ptr 1
		.amdhsa_user_sgpr_dispatch_id 0
		.amdhsa_user_sgpr_private_segment_size 0
		.amdhsa_wavefront_size32 1
		.amdhsa_uses_dynamic_stack 0
		.amdhsa_enable_private_segment 0
		.amdhsa_system_sgpr_workgroup_id_x 1
		.amdhsa_system_sgpr_workgroup_id_y 1
		.amdhsa_system_sgpr_workgroup_id_z 1
		.amdhsa_system_sgpr_workgroup_info 0
		.amdhsa_system_vgpr_workitem_id 1
		.amdhsa_next_free_vgpr 23
		.amdhsa_next_free_sgpr 21
		.amdhsa_reserve_vcc 1
		.amdhsa_float_round_mode_32 0
		.amdhsa_float_round_mode_16_64 0
		.amdhsa_float_denorm_mode_32 3
		.amdhsa_float_denorm_mode_16_64 3
		.amdhsa_fp16_overflow 0
		.amdhsa_workgroup_processor_mode 1
		.amdhsa_memory_ordered 1
		.amdhsa_forward_progress 1
		.amdhsa_inst_pref_size 14
		.amdhsa_round_robin_scheduling 0
		.amdhsa_exception_fp_ieee_invalid_op 0
		.amdhsa_exception_fp_denorm_src 0
		.amdhsa_exception_fp_ieee_div_zero 0
		.amdhsa_exception_fp_ieee_overflow 0
		.amdhsa_exception_fp_ieee_underflow 0
		.amdhsa_exception_fp_ieee_inexact 0
		.amdhsa_exception_int_div_zero 0
	.end_amdhsa_kernel
	.section	.text._ZL13mul_mat_vec_qIL9ggml_type12ELi1ELb0ELb0EEvPKvS2_PKi31ggml_cuda_mm_fusion_args_devicePfj15HIP_vector_typeIjLj3EEjjjS8_jjjS8_jjjj,"axG",@progbits,_ZL13mul_mat_vec_qIL9ggml_type12ELi1ELb0ELb0EEvPKvS2_PKi31ggml_cuda_mm_fusion_args_devicePfj15HIP_vector_typeIjLj3EEjjjS8_jjjS8_jjjj,comdat
.Lfunc_end124:
	.size	_ZL13mul_mat_vec_qIL9ggml_type12ELi1ELb0ELb0EEvPKvS2_PKi31ggml_cuda_mm_fusion_args_devicePfj15HIP_vector_typeIjLj3EEjjjS8_jjjS8_jjjj, .Lfunc_end124-_ZL13mul_mat_vec_qIL9ggml_type12ELi1ELb0ELb0EEvPKvS2_PKi31ggml_cuda_mm_fusion_args_devicePfj15HIP_vector_typeIjLj3EEjjjS8_jjjS8_jjjj
                                        ; -- End function
	.set _ZL13mul_mat_vec_qIL9ggml_type12ELi1ELb0ELb0EEvPKvS2_PKi31ggml_cuda_mm_fusion_args_devicePfj15HIP_vector_typeIjLj3EEjjjS8_jjjS8_jjjj.num_vgpr, 23
	.set _ZL13mul_mat_vec_qIL9ggml_type12ELi1ELb0ELb0EEvPKvS2_PKi31ggml_cuda_mm_fusion_args_devicePfj15HIP_vector_typeIjLj3EEjjjS8_jjjS8_jjjj.num_agpr, 0
	.set _ZL13mul_mat_vec_qIL9ggml_type12ELi1ELb0ELb0EEvPKvS2_PKi31ggml_cuda_mm_fusion_args_devicePfj15HIP_vector_typeIjLj3EEjjjS8_jjjS8_jjjj.numbered_sgpr, 21
	.set _ZL13mul_mat_vec_qIL9ggml_type12ELi1ELb0ELb0EEvPKvS2_PKi31ggml_cuda_mm_fusion_args_devicePfj15HIP_vector_typeIjLj3EEjjjS8_jjjS8_jjjj.num_named_barrier, 0
	.set _ZL13mul_mat_vec_qIL9ggml_type12ELi1ELb0ELb0EEvPKvS2_PKi31ggml_cuda_mm_fusion_args_devicePfj15HIP_vector_typeIjLj3EEjjjS8_jjjS8_jjjj.private_seg_size, 0
	.set _ZL13mul_mat_vec_qIL9ggml_type12ELi1ELb0ELb0EEvPKvS2_PKi31ggml_cuda_mm_fusion_args_devicePfj15HIP_vector_typeIjLj3EEjjjS8_jjjS8_jjjj.uses_vcc, 1
	.set _ZL13mul_mat_vec_qIL9ggml_type12ELi1ELb0ELb0EEvPKvS2_PKi31ggml_cuda_mm_fusion_args_devicePfj15HIP_vector_typeIjLj3EEjjjS8_jjjS8_jjjj.uses_flat_scratch, 0
	.set _ZL13mul_mat_vec_qIL9ggml_type12ELi1ELb0ELb0EEvPKvS2_PKi31ggml_cuda_mm_fusion_args_devicePfj15HIP_vector_typeIjLj3EEjjjS8_jjjS8_jjjj.has_dyn_sized_stack, 0
	.set _ZL13mul_mat_vec_qIL9ggml_type12ELi1ELb0ELb0EEvPKvS2_PKi31ggml_cuda_mm_fusion_args_devicePfj15HIP_vector_typeIjLj3EEjjjS8_jjjS8_jjjj.has_recursion, 0
	.set _ZL13mul_mat_vec_qIL9ggml_type12ELi1ELb0ELb0EEvPKvS2_PKi31ggml_cuda_mm_fusion_args_devicePfj15HIP_vector_typeIjLj3EEjjjS8_jjjS8_jjjj.has_indirect_call, 0
	.section	.AMDGPU.csdata,"",@progbits
; Kernel info:
; codeLenInByte = 1684
; TotalNumSgprs: 23
; NumVgprs: 23
; ScratchSize: 0
; MemoryBound: 0
; FloatMode: 240
; IeeeMode: 1
; LDSByteSize: 896 bytes/workgroup (compile time only)
; SGPRBlocks: 0
; VGPRBlocks: 2
; NumSGPRsForWavesPerEU: 23
; NumVGPRsForWavesPerEU: 23
; Occupancy: 16
; WaveLimiterHint : 0
; COMPUTE_PGM_RSRC2:SCRATCH_EN: 0
; COMPUTE_PGM_RSRC2:USER_SGPR: 2
; COMPUTE_PGM_RSRC2:TRAP_HANDLER: 0
; COMPUTE_PGM_RSRC2:TGID_X_EN: 1
; COMPUTE_PGM_RSRC2:TGID_Y_EN: 1
; COMPUTE_PGM_RSRC2:TGID_Z_EN: 1
; COMPUTE_PGM_RSRC2:TIDIG_COMP_CNT: 1
	.section	.text._ZL13mul_mat_vec_qIL9ggml_type12ELi2ELb0ELb0EEvPKvS2_PKi31ggml_cuda_mm_fusion_args_devicePfj15HIP_vector_typeIjLj3EEjjjS8_jjjS8_jjjj,"axG",@progbits,_ZL13mul_mat_vec_qIL9ggml_type12ELi2ELb0ELb0EEvPKvS2_PKi31ggml_cuda_mm_fusion_args_devicePfj15HIP_vector_typeIjLj3EEjjjS8_jjjS8_jjjj,comdat
	.globl	_ZL13mul_mat_vec_qIL9ggml_type12ELi2ELb0ELb0EEvPKvS2_PKi31ggml_cuda_mm_fusion_args_devicePfj15HIP_vector_typeIjLj3EEjjjS8_jjjS8_jjjj ; -- Begin function _ZL13mul_mat_vec_qIL9ggml_type12ELi2ELb0ELb0EEvPKvS2_PKi31ggml_cuda_mm_fusion_args_devicePfj15HIP_vector_typeIjLj3EEjjjS8_jjjS8_jjjj
	.p2align	8
	.type	_ZL13mul_mat_vec_qIL9ggml_type12ELi2ELb0ELb0EEvPKvS2_PKi31ggml_cuda_mm_fusion_args_devicePfj15HIP_vector_typeIjLj3EEjjjS8_jjjS8_jjjj,@function
_ZL13mul_mat_vec_qIL9ggml_type12ELi2ELb0ELb0EEvPKvS2_PKi31ggml_cuda_mm_fusion_args_devicePfj15HIP_vector_typeIjLj3EEjjjS8_jjjS8_jjjj: ; @_ZL13mul_mat_vec_qIL9ggml_type12ELi2ELb0ELb0EEvPKvS2_PKi31ggml_cuda_mm_fusion_args_devicePfj15HIP_vector_typeIjLj3EEjjjS8_jjjS8_jjjj
; %bb.0:
	s_clause 0x5
	s_load_b96 s[16:18], s[0:1], 0x80
	s_load_b32 s12, s[0:1], 0x40
	s_load_b128 s[4:7], s[0:1], 0x50
	s_load_b32 s2, s[0:1], 0x60
	s_load_b128 s[8:11], s[0:1], 0x68
	s_load_b32 s3, s[0:1], 0x78
	v_bfe_u32 v8, v0, 10, 10
	v_dual_mov_b32 v7, 0 :: v_dual_and_b32 v6, 0x3ff, v0
	v_mov_b32_e32 v10, 0
	s_and_b32 s19, ttmp7, 0xffff
	s_lshr_b32 s22, ttmp7, 16
	s_delay_alu instid0(VALU_DEP_2) | instskip(SKIP_1) | instid1(VALU_DEP_1)
	v_lshl_or_b32 v0, v8, 5, v6
	s_mov_b32 s24, exec_lo
	v_lshrrev_b32_e32 v9, 4, v0
	s_wait_kmcnt 0x0
	s_lshr_b32 s23, s12, 8
	s_delay_alu instid0(VALU_DEP_1) | instid1(SALU_CYCLE_1)
	v_cmpx_gt_u32_e64 s23, v9
	s_cbranch_execz .LBB125_12
; %bb.1:
	s_load_b128 s[12:15], s[0:1], 0x0
	v_lshl_add_u32 v0, v8, 5, v6
	v_bfe_u32 v3, v6, 2, 2
	v_dual_mov_b32 v7, 0 :: v_dual_lshlrev_b32 v2, 1, v6
	s_mul_hi_u32 s7, s7, s19
	s_delay_alu instid0(VALU_DEP_3) | instskip(NEXT) | instid1(VALU_DEP_3)
	v_lshrrev_b32_e32 v4, 4, v0
	v_mul_hi_u32_u24_e32 v1, 0x48, v3
	v_mul_u32_u24_e32 v0, 0x48, v3
	s_mul_hi_u32 s11, s11, s22
	s_mul_i32 s20, s17, s22
	s_mov_b32 s21, 0
	s_add_co_i32 s7, s19, s7
	s_add_co_i32 s11, s22, s11
	v_mad_co_u64_u32 v[0:1], null, 0x120, v4, v[0:1]
	s_mul_u64 s[26:27], s[20:21], 36
	s_mul_i32 s20, s9, s19
	s_lshr_b32 s7, s7, s2
	s_lshr_b32 s9, s11, s3
	v_bfe_u32 v5, v2, 3, 2
	v_and_b32_e32 v3, 30, v2
	v_and_b32_e32 v10, 3, v6
	s_mul_u64 s[2:3], s[20:21], 36
	s_mul_i32 s7, s7, s8
	s_mul_i32 s11, s9, s16
	s_wait_kmcnt 0x0
	s_add_nc_u64 s[8:9], s[14:15], s[26:27]
	v_lshlrev_b32_e32 v2, 1, v5
	s_add_nc_u64 s[8:9], s[8:9], s[2:3]
	v_lshlrev_b32_e32 v12, 2, v10
	v_dual_mov_b32 v10, 0 :: v_dual_lshlrev_b32 v15, 2, v10
	v_cmp_lt_u32_e32 vcc_lo, 15, v3
	v_add_co_u32 v3, s2, s8, v0
	s_delay_alu instid0(VALU_DEP_1) | instskip(SKIP_1) | instid1(VALU_DEP_3)
	v_add_co_ci_u32_e64 v4, null, s9, v1, s2
	v_mad_co_u64_u32 v[0:1], null, v2, 36, s[8:9]
	v_add_co_u32 v2, s2, v3, 36
	s_mul_i32 s4, s4, ttmp9
	v_lshlrev_b32_e32 v11, 5, v5
	s_wait_alu 0xf1ff
	v_add_co_ci_u32_e64 v3, null, 0, v4, s2
	v_lshl_add_u32 v13, v9, 3, s5
	v_lshlrev_b32_e32 v14, 1, v5
	s_add_co_i32 s7, s7, s4
	s_delay_alu instid0(SALU_CYCLE_1)
	s_add_co_i32 s4, s11, s7
	s_branch .LBB125_3
.LBB125_2:                              ;   in Loop: Header=BB125_3 Depth=1
	s_wait_alu 0xfffe
	s_or_b32 exec_lo, exec_lo, s2
	s_wait_loadcnt 0xe
	v_and_b32_e32 v4, 0xf0f0f0f, v26
	s_wait_loadcnt 0xd
	v_and_b32_e32 v5, 0xf0f0f0f, v24
	v_bfe_u32 v37, v30, 16, 8
	v_lshrrev_b32_e32 v26, 4, v26
	v_lshrrev_b16 v36, 8, v30
	s_wait_loadcnt 0x9
	v_dot4_i32_iu8 v34, v4, v27, 0 neg_lo:[1,1,0]
	v_dot4_i32_iu8 v27, 0x1010101, v27, 0 neg_lo:[1,1,0]
	v_lshrrev_b32_e32 v38, 24, v30
	v_and_b32_e32 v30, 0xff, v30
	v_lshrrev_b32_e32 v24, 4, v24
	s_wait_loadcnt 0x8
	v_dot4_i32_iu8 v34, v5, v21, v34 neg_lo:[1,1,0]
	v_dot4_i32_iu8 v21, 0x1010101, v21, v27 neg_lo:[1,1,0]
	v_lshrrev_b32_e32 v33, 16, v16
	v_and_b32_e32 v26, 0xf0f0f0f, v26
	s_wait_loadcnt 0x7
	v_dot4_i32_iu8 v35, 0x1010101, v20, 0 neg_lo:[1,1,0]
	v_mul_lo_u32 v27, v34, v37
	v_mul_lo_u32 v21, v21, v30
	s_wait_loadcnt 0x4
	v_dot4_i32_iu8 v39, 0x1010101, v31, 0 neg_lo:[1,1,0]
	v_and_b32_e32 v24, 0xf0f0f0f, v24
	v_cvt_f32_f16_e32 v30, v33
	v_and_b32_e32 v34, 0xff00ff, v32
	v_dot4_i32_iu8 v20, v26, v20, 0 neg_lo:[1,1,0]
	v_dot4_i32_iu8 v4, v4, v31, 0 neg_lo:[1,1,0]
	v_cvt_f32_i32_e32 v27, v27
	v_dot4_i32_iu8 v33, 0x1010101, v19, v35 neg_lo:[1,1,0]
	v_pk_lshrrev_b16 v32, 8, v32 op_sel_hi:[0,1]
	v_dot4_i32_iu8 v19, v24, v19, v20 neg_lo:[1,1,0]
	v_cvt_f32_i32_e32 v20, v21
	v_fma_mix_f32 v21, v18, v27, 0 op_sel_hi:[1,0,0]
	s_wait_loadcnt 0x3
	v_dot4_i32_iu8 v4, v5, v29, v4 neg_lo:[1,1,0]
	s_wait_loadcnt 0x2
	v_dot4_i32_iu8 v5, 0x1010101, v28, 0 neg_lo:[1,1,0]
	v_dot4_i32_iu8 v27, 0x1010101, v29, v39 neg_lo:[1,1,0]
	v_lshrrev_b32_e32 v29, 16, v34
	v_dot4_i32_iu8 v26, v26, v28, 0 neg_lo:[1,1,0]
	v_fma_mix_f32 v18, v18, v20, 0 op_sel_hi:[1,0,0]
	s_wait_loadcnt 0x1
	v_dot4_i32_iu8 v5, 0x1010101, v25, v5 neg_lo:[1,1,0]
	v_and_b32_e32 v31, 0xffff, v36
	v_mul_lo_u32 v27, v27, v29
	v_lshrrev_b32_e32 v29, 16, v32
	v_dot4_i32_iu8 v24, v24, v25, v26 neg_lo:[1,1,0]
	v_and_b32_e32 v25, 0xff, v32
	v_mul_lo_u32 v31, v33, v31
	v_mul_lo_u32 v19, v19, v38
	;; [unrolled: 1-line block ×3, first 2 shown]
	v_add_nc_u32_e32 v9, 2, v9
	v_cvt_f32_i32_e32 v26, v27
	v_mul_lo_u32 v20, v24, v25
	v_add_co_u32 v2, s3, 0x240, v2
	v_cvt_f32_i32_e32 v24, v31
	s_delay_alu instid0(VALU_DEP_4)
	v_fma_mix_f32 v25, v22, v26, 0 op_sel_hi:[1,0,0]
	v_cvt_f32_i32_e32 v5, v5
	v_cvt_f32_i32_e32 v19, v19
	v_cmp_le_u32_e64 s2, s23, v9
	v_fma_mix_f32 v18, v17, v24, v18 op_sel_hi:[1,0,0]
	v_cvt_f32_i32_e32 v20, v20
	s_wait_loadcnt 0x0
	v_fma_mix_f32 v5, v23, v5, v25 op_sel_hi:[1,0,0]
	v_fma_mix_f32 v17, v17, v19, v21 op_sel_hi:[1,0,0]
	s_wait_alu 0xf1ff
	v_add_co_ci_u32_e64 v3, null, 0, v3, s3
	v_mul_f32_e32 v18, v18, v30
	v_mul_f32_e32 v5, v5, v30
	v_and_b32_e32 v28, 0xff, v34
	v_add_nc_u32_e32 v13, 16, v13
	s_or_b32 s21, s2, s21
	v_fma_mix_f32 v17, v17, v16, -v18 op_sel_hi:[0,1,0]
	s_delay_alu instid0(VALU_DEP_3) | instskip(NEXT) | instid1(VALU_DEP_2)
	v_mul_lo_u32 v4, v4, v28
	v_add_f32_e32 v10, v10, v17
	s_delay_alu instid0(VALU_DEP_2) | instskip(NEXT) | instid1(VALU_DEP_1)
	v_cvt_f32_i32_e32 v4, v4
	v_fma_mix_f32 v4, v22, v4, 0 op_sel_hi:[1,0,0]
	s_delay_alu instid0(VALU_DEP_1) | instskip(NEXT) | instid1(VALU_DEP_1)
	v_fma_mix_f32 v4, v23, v20, v4 op_sel_hi:[1,0,0]
	v_fma_mix_f32 v4, v4, v16, -v5 op_sel_hi:[0,1,0]
	s_delay_alu instid0(VALU_DEP_1)
	v_add_f32_e32 v7, v7, v4
	s_and_not1_b32 exec_lo, exec_lo, s21
	s_cbranch_execz .LBB125_11
.LBB125_3:                              ; =>This Inner Loop Header: Depth=1
	s_wait_alu 0xfffe
	v_add_nc_u32_e32 v4, s4, v9
                                        ; implicit-def: $vgpr30
                                        ; implicit-def: $vgpr33
	s_delay_alu instid0(VALU_DEP_1) | instskip(NEXT) | instid1(VALU_DEP_1)
	v_mad_co_i64_i32 v[4:5], null, 0x90, v4, s[12:13]
	v_add_co_u32 v16, s2, v4, v11
	s_wait_alu 0xf1ff
	s_delay_alu instid0(VALU_DEP_2) | instskip(NEXT) | instid1(VALU_DEP_2)
	v_add_co_ci_u32_e64 v17, null, 0, v5, s2
	v_add_co_u32 v16, s2, v16, v12
	s_wait_alu 0xf1ff
	s_delay_alu instid0(VALU_DEP_2)
	v_add_co_ci_u32_e64 v17, null, 0, v17, s2
	v_add_co_u32 v22, s2, v2, v12
	s_wait_alu 0xf1ff
	v_add_co_ci_u32_e64 v23, null, 0, v3, s2
	s_clause 0x2
	global_load_b32 v26, v[16:17], off offset:16
	global_load_b32 v24, v[16:17], off offset:32
	global_load_b32 v16, v[4:5], off
	s_clause 0x5
	global_load_b32 v18, v[2:3], off offset:-36
	global_load_b32 v17, v[2:3], off
	global_load_b32 v27, v[22:23], off offset:-32
	global_load_b32 v21, v[22:23], off offset:-16
	global_load_b32 v20, v[22:23], off offset:4
	global_load_b32 v19, v[22:23], off offset:20
	v_add_co_u32 v4, s2, v4, v14
	s_wait_alu 0xf1ff
	v_add_co_ci_u32_e64 v5, null, 0, v5, s2
	s_and_saveexec_b32 s2, vcc_lo
	s_wait_alu 0xfffe
	s_xor_b32 s2, exec_lo, s2
	s_cbranch_execz .LBB125_5
; %bb.4:                                ;   in Loop: Header=BB125_3 Depth=1
	s_clause 0x1
	global_load_u16 v22, v[4:5], off offset:8
	global_load_u16 v23, v[4:5], off offset:4
	s_wait_loadcnt 0x1
	v_mov_b32_e32 v25, v22
	s_wait_loadcnt 0x0
	v_perm_b32 v33, v22, v23, 0x5040100
	s_delay_alu instid0(VALU_DEP_1) | instskip(NEXT) | instid1(VALU_DEP_1)
	v_pk_lshrrev_b16 v22, 2, v33
	v_and_b32_e32 v22, 0xf0f3030, v22
	global_load_d16_hi_b16 v25, v[4:5], off
	s_wait_loadcnt 0x0
	v_pk_lshrrev_b16 v23, 0x20004, v25
	s_delay_alu instid0(VALU_DEP_1)
	v_and_or_b32 v30, 0x30300f0f, v23, v22
.LBB125_5:                              ;   in Loop: Header=BB125_3 Depth=1
	s_wait_alu 0xfffe
	s_and_not1_saveexec_b32 s2, s2
	s_cbranch_execz .LBB125_7
; %bb.6:                                ;   in Loop: Header=BB125_3 Depth=1
	s_clause 0x1
	global_load_u16 v22, v[4:5], off offset:4
	global_load_u16 v23, v[4:5], off offset:8
	s_wait_loadcnt 0x0
	v_perm_b32 v25, v22, v23, 0x5040100
	v_perm_b32 v33, v23, v22, 0x5040100
	s_delay_alu instid0(VALU_DEP_2)
	v_and_b32_e32 v30, 0x3f3f3f3f, v25
.LBB125_7:                              ;   in Loop: Header=BB125_3 Depth=1
	s_wait_alu 0xfffe
	s_or_b32 exec_lo, exec_lo, s2
	v_mad_co_u64_u32 v[34:35], null, v13, 36, v[0:1]
                                        ; implicit-def: $vgpr32
	s_delay_alu instid0(VALU_DEP_1) | instskip(SKIP_1) | instid1(VALU_DEP_2)
	v_add_co_u32 v36, s2, v34, v15
	s_wait_alu 0xf1ff
	v_add_co_ci_u32_e64 v37, null, 0, v35, s2
	s_clause 0x5
	global_load_b32 v22, v[34:35], off
	global_load_b32 v31, v[36:37], off offset:4
	global_load_b32 v29, v[36:37], off offset:20
	;; [unrolled: 1-line block ×5, first 2 shown]
	s_and_saveexec_b32 s2, vcc_lo
	s_wait_alu 0xfffe
	s_xor_b32 s2, exec_lo, s2
	s_cbranch_execz .LBB125_9
; %bb.8:                                ;   in Loop: Header=BB125_3 Depth=1
	v_mov_b32_e32 v32, v33
	global_load_d16_b16 v32, v[4:5], off
	v_lshrrev_b16 v4, 2, v33
	s_delay_alu instid0(VALU_DEP_1) | instskip(NEXT) | instid1(VALU_DEP_1)
	v_alignbit_b32 v4, v4, v33, 16
                                        ; implicit-def: $vgpr33
	v_and_b32_e32 v4, 0x30300f0f, v4
	s_wait_loadcnt 0x0
	v_pk_lshrrev_b16 v5, 0x40002, v32
	s_delay_alu instid0(VALU_DEP_1)
	v_and_or_b32 v32, 0xf0f3030, v5, v4
.LBB125_9:                              ;   in Loop: Header=BB125_3 Depth=1
	s_wait_alu 0xfffe
	s_and_not1_saveexec_b32 s2, s2
	s_cbranch_execz .LBB125_2
; %bb.10:                               ;   in Loop: Header=BB125_3 Depth=1
	v_and_b32_e32 v32, 0x3f3f3f3f, v33
	s_branch .LBB125_2
.LBB125_11:
	s_or_b32 exec_lo, exec_lo, s21
.LBB125_12:
	s_delay_alu instid0(SALU_CYCLE_1)
	s_or_b32 exec_lo, exec_lo, s24
	s_mov_b32 s3, 0
	; wave barrier
	global_inv scope:SCOPE_SE
	s_mov_b32 s2, exec_lo
	v_cmpx_eq_u32_e32 0, v8
	s_cbranch_execz .LBB125_17
; %bb.13:
	v_mbcnt_lo_u32_b32 v4, -1, 0
	s_load_b64 s[0:1], s[0:1], 0x38
	s_mul_i32 s2, s10, s19
	s_mul_i32 s4, s18, s22
	s_wait_alu 0xfffe
	s_add_co_i32 s2, s2, ttmp9
	v_xor_b32_e32 v0, 16, v4
	v_xor_b32_e32 v1, 8, v4
	;; [unrolled: 1-line block ×3, first 2 shown]
	s_wait_alu 0xfffe
	s_add_co_i32 s2, s2, s4
	s_wait_alu 0xfffe
	s_lshl_b64 s[2:3], s[2:3], 2
	v_cmp_gt_i32_e32 vcc_lo, 32, v0
	v_cndmask_b32_e32 v0, v4, v0, vcc_lo
	v_cmp_gt_i32_e32 vcc_lo, 32, v1
	s_wait_kmcnt 0x0
	s_wait_alu 0xfffe
	s_add_nc_u64 s[0:1], s[0:1], s[2:3]
	s_wait_alu 0xfffd
	v_cndmask_b32_e32 v1, v4, v1, vcc_lo
	s_delay_alu instid0(VALU_DEP_1)
	v_lshlrev_b32_e32 v1, 2, v1
	v_lshlrev_b32_e32 v0, 2, v0
	ds_bpermute_b32 v2, v0, v10
	s_wait_dscnt 0x0
	v_add_f32_e32 v3, v10, v2
	v_xor_b32_e32 v2, 4, v4
	ds_bpermute_b32 v5, v1, v3
	v_cmp_gt_i32_e32 vcc_lo, 32, v2
	s_wait_dscnt 0x0
	s_wait_alu 0xfffd
	v_dual_cndmask_b32 v2, v4, v2 :: v_dual_add_f32 v5, v3, v5
	s_delay_alu instid0(VALU_DEP_1)
	v_lshlrev_b32_e32 v2, 2, v2
	v_xor_b32_e32 v3, 2, v4
	ds_bpermute_b32 v8, v2, v5
	v_cmp_gt_i32_e32 vcc_lo, 32, v3
	s_wait_alu 0xfffd
	v_cndmask_b32_e32 v3, v4, v3, vcc_lo
	v_cmp_gt_i32_e32 vcc_lo, 32, v9
	s_wait_alu 0xfffd
	v_cndmask_b32_e32 v4, v4, v9, vcc_lo
	v_cmp_eq_u32_e32 vcc_lo, 0, v6
	s_delay_alu instid0(VALU_DEP_2)
	v_lshlrev_b32_e32 v4, 2, v4
	v_lshlrev_b32_e32 v3, 2, v3
	s_wait_dscnt 0x0
	v_add_f32_e32 v5, v5, v8
	ds_bpermute_b32 v8, v3, v5
	s_wait_dscnt 0x0
	v_add_f32_e32 v5, v5, v8
	ds_bpermute_b32 v8, v4, v5
	s_and_saveexec_b32 s2, vcc_lo
	s_cbranch_execz .LBB125_15
; %bb.14:
	s_wait_dscnt 0x0
	v_dual_add_f32 v5, v5, v8 :: v_dual_mov_b32 v6, 0
	global_store_b32 v6, v5, s[0:1]
.LBB125_15:
	s_wait_alu 0xfffe
	s_or_b32 exec_lo, exec_lo, s2
	ds_bpermute_b32 v0, v0, v7
	s_wait_dscnt 0x0
	v_add_f32_e32 v0, v7, v0
	ds_bpermute_b32 v1, v1, v0
	s_wait_dscnt 0x0
	v_add_f32_e32 v0, v0, v1
	ds_bpermute_b32 v1, v2, v0
	s_wait_dscnt 0x0
	v_add_f32_e32 v0, v0, v1
	ds_bpermute_b32 v1, v3, v0
	s_wait_dscnt 0x0
	v_add_f32_e32 v0, v0, v1
	ds_bpermute_b32 v1, v4, v0
	s_and_b32 exec_lo, exec_lo, vcc_lo
	s_cbranch_execz .LBB125_17
; %bb.16:
	s_mov_b32 s7, 0
	s_wait_dscnt 0x0
	v_dual_add_f32 v0, v0, v1 :: v_dual_mov_b32 v1, 0
	s_lshl_b64 s[2:3], s[6:7], 2
	s_wait_alu 0xfffe
	s_add_nc_u64 s[0:1], s[0:1], s[2:3]
	global_store_b32 v1, v0, s[0:1]
.LBB125_17:
	s_endpgm
	.section	.rodata,"a",@progbits
	.p2align	6, 0x0
	.amdhsa_kernel _ZL13mul_mat_vec_qIL9ggml_type12ELi2ELb0ELb0EEvPKvS2_PKi31ggml_cuda_mm_fusion_args_devicePfj15HIP_vector_typeIjLj3EEjjjS8_jjjS8_jjjj
		.amdhsa_group_segment_fixed_size 0
		.amdhsa_private_segment_fixed_size 0
		.amdhsa_kernarg_size 144
		.amdhsa_user_sgpr_count 2
		.amdhsa_user_sgpr_dispatch_ptr 0
		.amdhsa_user_sgpr_queue_ptr 0
		.amdhsa_user_sgpr_kernarg_segment_ptr 1
		.amdhsa_user_sgpr_dispatch_id 0
		.amdhsa_user_sgpr_private_segment_size 0
		.amdhsa_wavefront_size32 1
		.amdhsa_uses_dynamic_stack 0
		.amdhsa_enable_private_segment 0
		.amdhsa_system_sgpr_workgroup_id_x 1
		.amdhsa_system_sgpr_workgroup_id_y 1
		.amdhsa_system_sgpr_workgroup_id_z 1
		.amdhsa_system_sgpr_workgroup_info 0
		.amdhsa_system_vgpr_workitem_id 1
		.amdhsa_next_free_vgpr 40
		.amdhsa_next_free_sgpr 28
		.amdhsa_reserve_vcc 1
		.amdhsa_float_round_mode_32 0
		.amdhsa_float_round_mode_16_64 0
		.amdhsa_float_denorm_mode_32 3
		.amdhsa_float_denorm_mode_16_64 3
		.amdhsa_fp16_overflow 0
		.amdhsa_workgroup_processor_mode 1
		.amdhsa_memory_ordered 1
		.amdhsa_forward_progress 1
		.amdhsa_inst_pref_size 17
		.amdhsa_round_robin_scheduling 0
		.amdhsa_exception_fp_ieee_invalid_op 0
		.amdhsa_exception_fp_denorm_src 0
		.amdhsa_exception_fp_ieee_div_zero 0
		.amdhsa_exception_fp_ieee_overflow 0
		.amdhsa_exception_fp_ieee_underflow 0
		.amdhsa_exception_fp_ieee_inexact 0
		.amdhsa_exception_int_div_zero 0
	.end_amdhsa_kernel
	.section	.text._ZL13mul_mat_vec_qIL9ggml_type12ELi2ELb0ELb0EEvPKvS2_PKi31ggml_cuda_mm_fusion_args_devicePfj15HIP_vector_typeIjLj3EEjjjS8_jjjS8_jjjj,"axG",@progbits,_ZL13mul_mat_vec_qIL9ggml_type12ELi2ELb0ELb0EEvPKvS2_PKi31ggml_cuda_mm_fusion_args_devicePfj15HIP_vector_typeIjLj3EEjjjS8_jjjS8_jjjj,comdat
.Lfunc_end125:
	.size	_ZL13mul_mat_vec_qIL9ggml_type12ELi2ELb0ELb0EEvPKvS2_PKi31ggml_cuda_mm_fusion_args_devicePfj15HIP_vector_typeIjLj3EEjjjS8_jjjS8_jjjj, .Lfunc_end125-_ZL13mul_mat_vec_qIL9ggml_type12ELi2ELb0ELb0EEvPKvS2_PKi31ggml_cuda_mm_fusion_args_devicePfj15HIP_vector_typeIjLj3EEjjjS8_jjjS8_jjjj
                                        ; -- End function
	.set _ZL13mul_mat_vec_qIL9ggml_type12ELi2ELb0ELb0EEvPKvS2_PKi31ggml_cuda_mm_fusion_args_devicePfj15HIP_vector_typeIjLj3EEjjjS8_jjjS8_jjjj.num_vgpr, 40
	.set _ZL13mul_mat_vec_qIL9ggml_type12ELi2ELb0ELb0EEvPKvS2_PKi31ggml_cuda_mm_fusion_args_devicePfj15HIP_vector_typeIjLj3EEjjjS8_jjjS8_jjjj.num_agpr, 0
	.set _ZL13mul_mat_vec_qIL9ggml_type12ELi2ELb0ELb0EEvPKvS2_PKi31ggml_cuda_mm_fusion_args_devicePfj15HIP_vector_typeIjLj3EEjjjS8_jjjS8_jjjj.numbered_sgpr, 28
	.set _ZL13mul_mat_vec_qIL9ggml_type12ELi2ELb0ELb0EEvPKvS2_PKi31ggml_cuda_mm_fusion_args_devicePfj15HIP_vector_typeIjLj3EEjjjS8_jjjS8_jjjj.num_named_barrier, 0
	.set _ZL13mul_mat_vec_qIL9ggml_type12ELi2ELb0ELb0EEvPKvS2_PKi31ggml_cuda_mm_fusion_args_devicePfj15HIP_vector_typeIjLj3EEjjjS8_jjjS8_jjjj.private_seg_size, 0
	.set _ZL13mul_mat_vec_qIL9ggml_type12ELi2ELb0ELb0EEvPKvS2_PKi31ggml_cuda_mm_fusion_args_devicePfj15HIP_vector_typeIjLj3EEjjjS8_jjjS8_jjjj.uses_vcc, 1
	.set _ZL13mul_mat_vec_qIL9ggml_type12ELi2ELb0ELb0EEvPKvS2_PKi31ggml_cuda_mm_fusion_args_devicePfj15HIP_vector_typeIjLj3EEjjjS8_jjjS8_jjjj.uses_flat_scratch, 0
	.set _ZL13mul_mat_vec_qIL9ggml_type12ELi2ELb0ELb0EEvPKvS2_PKi31ggml_cuda_mm_fusion_args_devicePfj15HIP_vector_typeIjLj3EEjjjS8_jjjS8_jjjj.has_dyn_sized_stack, 0
	.set _ZL13mul_mat_vec_qIL9ggml_type12ELi2ELb0ELb0EEvPKvS2_PKi31ggml_cuda_mm_fusion_args_devicePfj15HIP_vector_typeIjLj3EEjjjS8_jjjS8_jjjj.has_recursion, 0
	.set _ZL13mul_mat_vec_qIL9ggml_type12ELi2ELb0ELb0EEvPKvS2_PKi31ggml_cuda_mm_fusion_args_devicePfj15HIP_vector_typeIjLj3EEjjjS8_jjjS8_jjjj.has_indirect_call, 0
	.section	.AMDGPU.csdata,"",@progbits
; Kernel info:
; codeLenInByte = 2100
; TotalNumSgprs: 30
; NumVgprs: 40
; ScratchSize: 0
; MemoryBound: 0
; FloatMode: 240
; IeeeMode: 1
; LDSByteSize: 0 bytes/workgroup (compile time only)
; SGPRBlocks: 0
; VGPRBlocks: 4
; NumSGPRsForWavesPerEU: 30
; NumVGPRsForWavesPerEU: 40
; Occupancy: 16
; WaveLimiterHint : 0
; COMPUTE_PGM_RSRC2:SCRATCH_EN: 0
; COMPUTE_PGM_RSRC2:USER_SGPR: 2
; COMPUTE_PGM_RSRC2:TRAP_HANDLER: 0
; COMPUTE_PGM_RSRC2:TGID_X_EN: 1
; COMPUTE_PGM_RSRC2:TGID_Y_EN: 1
; COMPUTE_PGM_RSRC2:TGID_Z_EN: 1
; COMPUTE_PGM_RSRC2:TIDIG_COMP_CNT: 1
	.section	.text._ZL13mul_mat_vec_qIL9ggml_type12ELi3ELb0ELb0EEvPKvS2_PKi31ggml_cuda_mm_fusion_args_devicePfj15HIP_vector_typeIjLj3EEjjjS8_jjjS8_jjjj,"axG",@progbits,_ZL13mul_mat_vec_qIL9ggml_type12ELi3ELb0ELb0EEvPKvS2_PKi31ggml_cuda_mm_fusion_args_devicePfj15HIP_vector_typeIjLj3EEjjjS8_jjjS8_jjjj,comdat
	.globl	_ZL13mul_mat_vec_qIL9ggml_type12ELi3ELb0ELb0EEvPKvS2_PKi31ggml_cuda_mm_fusion_args_devicePfj15HIP_vector_typeIjLj3EEjjjS8_jjjS8_jjjj ; -- Begin function _ZL13mul_mat_vec_qIL9ggml_type12ELi3ELb0ELb0EEvPKvS2_PKi31ggml_cuda_mm_fusion_args_devicePfj15HIP_vector_typeIjLj3EEjjjS8_jjjS8_jjjj
	.p2align	8
	.type	_ZL13mul_mat_vec_qIL9ggml_type12ELi3ELb0ELb0EEvPKvS2_PKi31ggml_cuda_mm_fusion_args_devicePfj15HIP_vector_typeIjLj3EEjjjS8_jjjS8_jjjj,@function
_ZL13mul_mat_vec_qIL9ggml_type12ELi3ELb0ELb0EEvPKvS2_PKi31ggml_cuda_mm_fusion_args_devicePfj15HIP_vector_typeIjLj3EEjjjS8_jjjS8_jjjj: ; @_ZL13mul_mat_vec_qIL9ggml_type12ELi3ELb0ELb0EEvPKvS2_PKi31ggml_cuda_mm_fusion_args_devicePfj15HIP_vector_typeIjLj3EEjjjS8_jjjS8_jjjj
; %bb.0:
	s_clause 0x5
	s_load_b96 s[16:18], s[0:1], 0x80
	s_load_b32 s12, s[0:1], 0x40
	s_load_b128 s[4:7], s[0:1], 0x50
	s_load_b32 s2, s[0:1], 0x60
	s_load_b128 s[8:11], s[0:1], 0x68
	s_load_b32 s3, s[0:1], 0x78
	v_bfe_u32 v8, v0, 10, 10
	v_dual_mov_b32 v7, 0 :: v_dual_and_b32 v6, 0x3ff, v0
	v_mov_b32_e32 v9, 0
	v_mov_b32_e32 v11, 0
	s_and_b32 s19, ttmp7, 0xffff
	s_delay_alu instid0(VALU_DEP_3) | instskip(SKIP_2) | instid1(VALU_DEP_1)
	v_lshl_or_b32 v0, v8, 5, v6
	s_lshr_b32 s22, ttmp7, 16
	s_mov_b32 s23, exec_lo
	v_lshrrev_b32_e32 v10, 4, v0
	s_wait_kmcnt 0x0
	s_lshr_b32 s24, s12, 8
	s_delay_alu instid0(VALU_DEP_1) | instid1(SALU_CYCLE_1)
	v_cmpx_gt_u32_e64 s24, v10
	s_cbranch_execz .LBB126_16
; %bb.1:
	s_load_b128 s[12:15], s[0:1], 0x0
	v_lshl_add_u32 v0, v8, 5, v6
	v_bfe_u32 v3, v6, 2, 2
	v_dual_mov_b32 v7, 0 :: v_dual_lshlrev_b32 v2, 1, v6
	s_mul_hi_u32 s7, s7, s19
	s_delay_alu instid0(VALU_DEP_3) | instskip(NEXT) | instid1(VALU_DEP_3)
	v_lshrrev_b32_e32 v5, 4, v0
	v_mul_hi_u32_u24_e32 v1, 0x48, v3
	v_mul_u32_u24_e32 v0, 0x48, v3
	v_bfe_u32 v4, v2, 3, 2
	s_mul_hi_u32 s11, s11, s22
	s_mul_i32 s20, s17, s22
	s_mov_b32 s21, 0
	s_add_co_i32 s7, s19, s7
	v_and_b32_e32 v9, 30, v2
	v_mad_co_u64_u32 v[2:3], null, 0x120, v5, v[0:1]
	s_add_co_i32 s11, s22, s11
	s_mul_u64 s[26:27], s[20:21], 36
	s_mul_i32 s20, s9, s19
	s_lshr_b32 s7, s7, s2
	v_and_b32_e32 v11, 3, v6
	v_lshlrev_b32_e32 v0, 1, v4
	s_lshr_b32 s11, s11, s3
	s_mul_u64 s[2:3], s[20:21], 36
	s_mul_i32 s7, s7, s8
	s_wait_kmcnt 0x0
	s_add_nc_u64 s[8:9], s[14:15], s[26:27]
	v_lshlrev_b32_e32 v13, 2, v11
	s_add_nc_u64 s[2:3], s[8:9], s[2:3]
	v_lshlrev_b32_e32 v17, 2, v11
	v_mov_b32_e32 v11, 0
	v_mad_co_u64_u32 v[0:1], null, v0, 36, s[2:3]
	v_add_co_u32 v2, s2, s2, v2
	s_wait_alu 0xf1ff
	v_add_co_ci_u32_e64 v3, null, s3, v3, s2
	v_lshlrev_b32_e32 v5, 3, v10
	s_delay_alu instid0(VALU_DEP_3)
	v_add_co_u32 v2, s2, v2, 36
	s_mul_i32 s4, s4, ttmp9
	v_lshlrev_b32_e32 v12, 5, v4
	v_cmp_lt_u32_e32 vcc_lo, 15, v9
	s_wait_alu 0xf1ff
	v_add_co_ci_u32_e64 v3, null, 0, v3, s2
	v_lshl_add_u32 v14, s5, 1, v5
	v_add_nc_u32_e32 v15, s5, v5
	v_dual_mov_b32 v9, 0 :: v_dual_lshlrev_b32 v16, 1, v4
	s_mul_i32 s11, s11, s16
	s_add_co_i32 s7, s7, s4
	s_delay_alu instid0(SALU_CYCLE_1)
	s_add_co_i32 s4, s11, s7
	s_branch .LBB126_3
.LBB126_2:                              ;   in Loop: Header=BB126_3 Depth=1
	s_wait_alu 0xfffe
	s_or_b32 exec_lo, exec_lo, s2
	s_wait_loadcnt 0x14
	v_and_b32_e32 v4, 0xf0f0f0f, v29
	s_wait_loadcnt 0x13
	v_and_b32_e32 v5, 0xf0f0f0f, v28
	v_lshrrev_b32_e32 v29, 4, v29
	s_wait_loadcnt 0xa
	v_dot4_i32_iu8 v34, 0x1010101, v39, 0 neg_lo:[1,1,0]
	v_lshrrev_b32_e32 v28, 4, v28
	v_dot4_i32_iu8 v39, v4, v39, 0 neg_lo:[1,1,0]
	v_and_b32_e32 v44, 0xff, v38
	v_and_b32_e32 v29, 0xf0f0f0f, v29
	s_wait_loadcnt 0x9
	v_dot4_i32_iu8 v34, 0x1010101, v36, v34 neg_lo:[1,1,0]
	v_and_b32_e32 v28, 0xf0f0f0f, v28
	v_dot4_i32_iu8 v36, v5, v36, v39 neg_lo:[1,1,0]
	v_and_b32_e32 v39, 0xff, v42
	s_wait_loadcnt 0x8
	v_dot4_i32_iu8 v45, v29, v35, 0 neg_lo:[1,1,0]
	v_and_b32_e32 v44, 0xffff, v44
	v_dot4_i32_iu8 v35, 0x1010101, v35, 0 neg_lo:[1,1,0]
	v_lshrrev_b16 v42, 8, v42
	v_and_b32_e32 v39, 0xffff, v39
	v_lshrrev_b16 v38, 8, v38
	v_mul_lo_u32 v36, v36, v44
	s_wait_loadcnt 0x7
	v_dot4_i32_iu8 v44, v28, v33, v45 neg_lo:[1,1,0]
	v_dot4_i32_iu8 v33, 0x1010101, v33, v35 neg_lo:[1,1,0]
	v_mul_lo_u32 v34, v34, v39
	v_and_b32_e32 v35, 0xffff, v38
	v_and_b32_e32 v38, 0xffff, v42
	s_wait_loadcnt 0x4
	v_dot4_i32_iu8 v39, 0x1010101, v43, 0 neg_lo:[1,1,0]
	v_add_nc_u32_e32 v10, 2, v10
	v_cvt_f32_i32_e32 v36, v36
	v_mul_lo_u32 v35, v44, v35
	v_mul_lo_u32 v33, v33, v38
	v_cvt_f32_i32_e32 v34, v34
	v_lshrrev_b32_e32 v38, 16, v18
	v_fma_mix_f32 v36, v31, v36, 0 op_sel_hi:[1,0,0]
	v_cmp_le_u32_e64 s2, s24, v10
	v_add_co_u32 v2, s3, 0x240, v2
	v_fma_mix_f32 v31, v31, v34, 0 op_sel_hi:[1,0,0]
	v_cvt_f32_i32_e32 v34, v35
	v_cvt_f32_i32_e32 v33, v33
	v_cvt_f32_f16_e32 v35, v38
	v_dot4_i32_iu8 v38, v4, v43, 0 neg_lo:[1,1,0]
	v_dot4_i32_iu8 v4, v4, v25, 0 neg_lo:[1,1,0]
	v_fma_mix_f32 v34, v30, v34, v36 op_sel_hi:[1,0,0]
	v_fma_mix_f32 v30, v30, v33, v31 op_sel_hi:[1,0,0]
	s_wait_loadcnt 0x2
	v_dot4_i32_iu8 v36, v29, v41, 0 neg_lo:[1,1,0]
	v_dot4_i32_iu8 v31, v5, v40, v38 neg_lo:[1,1,0]
	;; [unrolled: 1-line block ×4, first 2 shown]
	v_bfe_u32 v25, v22, 16, 8
	v_dot4_i32_iu8 v29, v29, v23, 0 neg_lo:[1,1,0]
	s_wait_loadcnt 0x1
	v_dot4_i32_iu8 v36, v28, v37, v36 neg_lo:[1,1,0]
	v_dot4_i32_iu8 v23, 0x1010101, v23, 0 neg_lo:[1,1,0]
	;; [unrolled: 1-line block ×3, first 2 shown]
	v_mul_lo_u32 v4, v4, v25
	v_lshrrev_b16 v24, 8, v22
	v_dot4_i32_iu8 v25, v28, v21, v29 neg_lo:[1,1,0]
	v_and_b32_e32 v28, 0xff, v22
	v_and_b32_e32 v29, 0xff00ff, v32
	v_dot4_i32_iu8 v33, 0x1010101, v40, v39 neg_lo:[1,1,0]
	v_dot4_i32_iu8 v38, 0x1010101, v41, 0 neg_lo:[1,1,0]
	v_dot4_i32_iu8 v21, 0x1010101, v21, v23 neg_lo:[1,1,0]
	v_and_b32_e32 v23, 0xffff, v24
	v_mul_lo_u32 v5, v5, v28
	v_lshrrev_b32_e32 v24, 16, v29
	v_pk_lshrrev_b16 v28, 8, v32 op_sel_hi:[0,1]
	v_dot4_i32_iu8 v37, 0x1010101, v37, v38 neg_lo:[1,1,0]
	v_and_b32_e32 v29, 0xff, v29
	v_cvt_f32_i32_e32 v4, v4
	v_mul_lo_u32 v24, v33, v24
	v_lshrrev_b32_e32 v32, 16, v28
	v_lshrrev_b32_e32 v22, 24, v22
	v_cvt_f32_i32_e32 v5, v5
	v_mul_lo_u32 v21, v21, v23
	v_mul_lo_u32 v23, v31, v29
	v_and_b32_e32 v28, 0xff, v28
	v_mul_lo_u32 v29, v37, v32
	v_cvt_f32_i32_e32 v24, v24
	v_fma_mix_f32 v4, v20, v4, 0 op_sel_hi:[1,0,0]
	v_mul_lo_u32 v22, v25, v22
	v_fma_mix_f32 v5, v20, v5, 0 op_sel_hi:[1,0,0]
	v_mul_lo_u32 v20, v36, v28
	v_cvt_f32_i32_e32 v21, v21
	v_cvt_f32_i32_e32 v23, v23
	v_fma_mix_f32 v24, v26, v24, 0 op_sel_hi:[1,0,0]
	v_cvt_f32_i32_e32 v25, v29
	s_wait_alu 0xf1ff
	v_add_co_ci_u32_e64 v3, null, 0, v3, s3
	v_cvt_f32_i32_e32 v22, v22
	v_fma_mix_f32 v5, v19, v21, v5 op_sel_hi:[1,0,0]
	v_fma_mix_f32 v21, v26, v23, 0 op_sel_hi:[1,0,0]
	v_cvt_f32_i32_e32 v20, v20
	s_wait_loadcnt 0x0
	v_fma_mix_f32 v23, v27, v25, v24 op_sel_hi:[1,0,0]
	v_mul_f32_e32 v24, v30, v35
	v_fma_mix_f32 v4, v19, v22, v4 op_sel_hi:[1,0,0]
	v_mul_f32_e32 v5, v5, v35
	;; [unrolled: 2-line block ×3, first 2 shown]
	v_fma_mix_f32 v21, v34, v18, -v24 op_sel_hi:[0,1,0]
	v_add_nc_u32_e32 v14, 16, v14
	v_fma_mix_f32 v4, v4, v18, -v5 op_sel_hi:[0,1,0]
	v_add_nc_u32_e32 v15, 16, v15
	v_fma_mix_f32 v5, v19, v18, -v20 op_sel_hi:[0,1,0]
	v_add_f32_e32 v9, v9, v21
	s_or_b32 s21, s2, s21
	v_add_f32_e32 v11, v11, v4
	s_delay_alu instid0(VALU_DEP_3)
	v_add_f32_e32 v7, v7, v5
	s_and_not1_b32 exec_lo, exec_lo, s21
	s_cbranch_execz .LBB126_15
.LBB126_3:                              ; =>This Inner Loop Header: Depth=1
	s_wait_alu 0xfffe
	v_add_nc_u32_e32 v4, s4, v10
                                        ; implicit-def: $vgpr34
	s_delay_alu instid0(VALU_DEP_1) | instskip(NEXT) | instid1(VALU_DEP_1)
	v_mad_co_i64_i32 v[4:5], null, 0x90, v4, s[12:13]
	v_add_co_u32 v18, s2, v4, v12
	s_wait_alu 0xf1ff
	s_delay_alu instid0(VALU_DEP_2) | instskip(NEXT) | instid1(VALU_DEP_2)
	v_add_co_ci_u32_e64 v19, null, 0, v5, s2
	v_add_co_u32 v18, s2, v18, v13
	s_wait_alu 0xf1ff
	s_delay_alu instid0(VALU_DEP_2)
	v_add_co_ci_u32_e64 v19, null, 0, v19, s2
	v_add_co_u32 v21, s2, v2, v13
	s_wait_alu 0xf1ff
	v_add_co_ci_u32_e64 v22, null, 0, v3, s2
	s_clause 0x2
	global_load_b32 v29, v[18:19], off offset:16
	global_load_b32 v28, v[18:19], off offset:32
	global_load_b32 v18, v[4:5], off
	s_clause 0x5
	global_load_b32 v20, v[2:3], off offset:-36
	global_load_b32 v19, v[2:3], off
	global_load_b32 v25, v[21:22], off offset:-32
	global_load_b32 v24, v[21:22], off offset:-16
	global_load_b32 v23, v[21:22], off offset:4
	global_load_b32 v21, v[21:22], off offset:20
	v_add_co_u32 v4, s2, v4, v16
	s_wait_alu 0xf1ff
	v_add_co_ci_u32_e64 v5, null, 0, v5, s2
                                        ; implicit-def: $vgpr22
	s_and_saveexec_b32 s2, vcc_lo
	s_wait_alu 0xfffe
	s_xor_b32 s2, exec_lo, s2
	s_cbranch_execz .LBB126_5
; %bb.4:                                ;   in Loop: Header=BB126_3 Depth=1
	s_clause 0x1
	global_load_u16 v22, v[4:5], off offset:8
	global_load_u16 v26, v[4:5], off offset:4
	s_wait_loadcnt 0x1
	v_mov_b32_e32 v27, v22
	s_wait_loadcnt 0x0
	v_perm_b32 v34, v22, v26, 0x5040100
	s_delay_alu instid0(VALU_DEP_1) | instskip(NEXT) | instid1(VALU_DEP_1)
	v_pk_lshrrev_b16 v22, 2, v34
	v_and_b32_e32 v22, 0xf0f3030, v22
	global_load_d16_hi_b16 v27, v[4:5], off
	s_wait_loadcnt 0x0
	v_pk_lshrrev_b16 v26, 0x20004, v27
	s_delay_alu instid0(VALU_DEP_1)
	v_and_or_b32 v22, 0x30300f0f, v26, v22
.LBB126_5:                              ;   in Loop: Header=BB126_3 Depth=1
	s_wait_alu 0xfffe
	s_and_not1_saveexec_b32 s2, s2
	s_cbranch_execz .LBB126_7
; %bb.6:                                ;   in Loop: Header=BB126_3 Depth=1
	s_clause 0x1
	global_load_u16 v26, v[4:5], off offset:4
	global_load_u16 v27, v[4:5], off offset:8
	s_wait_loadcnt 0x0
	v_perm_b32 v22, v26, v27, 0x5040100
	v_perm_b32 v34, v27, v26, 0x5040100
	s_delay_alu instid0(VALU_DEP_2)
	v_and_b32_e32 v22, 0x3f3f3f3f, v22
.LBB126_7:                              ;   in Loop: Header=BB126_3 Depth=1
	s_wait_alu 0xfffe
	s_or_b32 exec_lo, exec_lo, s2
	v_mad_co_u64_u32 v[26:27], null, v15, 36, v[0:1]
                                        ; implicit-def: $vgpr38
                                        ; implicit-def: $vgpr42
	s_delay_alu instid0(VALU_DEP_1) | instskip(SKIP_1) | instid1(VALU_DEP_2)
	v_add_co_u32 v32, s2, v26, v17
	s_wait_alu 0xf1ff
	v_add_co_ci_u32_e64 v33, null, 0, v27, s2
	s_clause 0x5
	global_load_b32 v31, v[26:27], off
	global_load_b32 v39, v[32:33], off offset:4
	global_load_b32 v36, v[32:33], off offset:20
	;; [unrolled: 1-line block ×5, first 2 shown]
	v_lshrrev_b32_e32 v26, 16, v34
	s_and_saveexec_b32 s2, vcc_lo
	s_wait_alu 0xfffe
	s_xor_b32 s2, exec_lo, s2
	s_cbranch_execz .LBB126_9
; %bb.8:                                ;   in Loop: Header=BB126_3 Depth=1
	global_load_u16 v27, v[4:5], off
	v_lshrrev_b32_e32 v32, 20, v34
	v_lshrrev_b16 v37, 2, v34
	v_and_b32_e32 v26, 0xf0f, v26
	s_delay_alu instid0(VALU_DEP_3) | instskip(NEXT) | instid1(VALU_DEP_3)
	v_and_b32_e32 v32, 0xf0f, v32
	v_and_b32_e32 v37, 0x3030, v37
	s_delay_alu instid0(VALU_DEP_1) | instskip(SKIP_2) | instid1(VALU_DEP_1)
	v_or_b32_e32 v42, v37, v32
	s_wait_loadcnt 0x0
	v_lshrrev_b16 v27, 2, v27
	v_and_b32_e32 v27, 0x3030, v27
	s_delay_alu instid0(VALU_DEP_1)
	v_or_b32_e32 v38, v27, v26
                                        ; implicit-def: $vgpr26
.LBB126_9:                              ;   in Loop: Header=BB126_3 Depth=1
	s_wait_alu 0xfffe
	s_and_not1_saveexec_b32 s2, s2
; %bb.10:                               ;   in Loop: Header=BB126_3 Depth=1
	v_and_b32_e32 v38, 0x3f3f, v34
	v_and_b32_e32 v42, 0x3f3f, v26
; %bb.11:                               ;   in Loop: Header=BB126_3 Depth=1
	s_wait_alu 0xfffe
	s_or_b32 exec_lo, exec_lo, s2
	v_mad_co_u64_u32 v[44:45], null, v14, 36, v[0:1]
                                        ; implicit-def: $vgpr32
	s_delay_alu instid0(VALU_DEP_1) | instskip(SKIP_1) | instid1(VALU_DEP_2)
	v_add_co_u32 v46, s2, v44, v17
	s_wait_alu 0xf1ff
	v_add_co_ci_u32_e64 v47, null, 0, v45, s2
	s_clause 0x5
	global_load_b32 v26, v[44:45], off
	global_load_b32 v43, v[46:47], off offset:4
	global_load_b32 v40, v[46:47], off offset:20
	;; [unrolled: 1-line block ×5, first 2 shown]
	s_and_saveexec_b32 s2, vcc_lo
	s_wait_alu 0xfffe
	s_xor_b32 s2, exec_lo, s2
	s_cbranch_execz .LBB126_13
; %bb.12:                               ;   in Loop: Header=BB126_3 Depth=1
	global_load_u16 v4, v[4:5], off
	v_pk_lshrrev_b16 v5, 4, v34 op_sel:[1,1] op_sel_hi:[0,1]
	s_delay_alu instid0(VALU_DEP_1) | instskip(SKIP_2) | instid1(VALU_DEP_1)
	v_and_b32_e32 v5, 0xf0f0f0f, v5
	s_wait_loadcnt 0x0
	v_perm_b32 v4, v34, v4, 0x5040100
                                        ; implicit-def: $vgpr34
	v_pk_lshrrev_b16 v4, 2, v4 op_sel_hi:[0,1]
	s_delay_alu instid0(VALU_DEP_1)
	v_and_or_b32 v32, 0x30303030, v4, v5
.LBB126_13:                             ;   in Loop: Header=BB126_3 Depth=1
	s_wait_alu 0xfffe
	s_and_not1_saveexec_b32 s2, s2
	s_cbranch_execz .LBB126_2
; %bb.14:                               ;   in Loop: Header=BB126_3 Depth=1
	v_and_b32_e32 v32, 0x3f3f3f3f, v34
	s_branch .LBB126_2
.LBB126_15:
	s_or_b32 exec_lo, exec_lo, s21
.LBB126_16:
	s_delay_alu instid0(SALU_CYCLE_1)
	s_or_b32 exec_lo, exec_lo, s23
	s_mov_b32 s3, 0
	; wave barrier
	global_inv scope:SCOPE_SE
	s_mov_b32 s2, exec_lo
	v_cmpx_eq_u32_e32 0, v8
	s_cbranch_execz .LBB126_23
; %bb.17:
	v_mbcnt_lo_u32_b32 v4, -1, 0
	s_load_b64 s[0:1], s[0:1], 0x38
	s_mul_i32 s2, s10, s19
	s_mul_i32 s4, s18, s22
	s_wait_alu 0xfffe
	s_add_co_i32 s2, s2, ttmp9
	v_xor_b32_e32 v0, 16, v4
	v_xor_b32_e32 v1, 8, v4
	;; [unrolled: 1-line block ×3, first 2 shown]
	s_wait_alu 0xfffe
	s_add_co_i32 s2, s2, s4
	s_wait_alu 0xfffe
	s_lshl_b64 s[2:3], s[2:3], 2
	v_cmp_gt_i32_e32 vcc_lo, 32, v0
	v_cndmask_b32_e32 v0, v4, v0, vcc_lo
	v_cmp_gt_i32_e32 vcc_lo, 32, v1
	s_wait_kmcnt 0x0
	s_wait_alu 0xfffe
	s_add_nc_u64 s[0:1], s[0:1], s[2:3]
	s_wait_alu 0xfffd
	v_cndmask_b32_e32 v1, v4, v1, vcc_lo
	s_delay_alu instid0(VALU_DEP_1)
	v_lshlrev_b32_e32 v1, 2, v1
	v_lshlrev_b32_e32 v0, 2, v0
	ds_bpermute_b32 v2, v0, v11
	s_wait_dscnt 0x0
	v_add_f32_e32 v3, v11, v2
	v_xor_b32_e32 v2, 4, v4
	ds_bpermute_b32 v5, v1, v3
	v_cmp_gt_i32_e32 vcc_lo, 32, v2
	s_wait_dscnt 0x0
	s_wait_alu 0xfffd
	v_dual_cndmask_b32 v2, v4, v2 :: v_dual_add_f32 v5, v3, v5
	s_delay_alu instid0(VALU_DEP_1)
	v_lshlrev_b32_e32 v2, 2, v2
	v_xor_b32_e32 v3, 2, v4
	ds_bpermute_b32 v8, v2, v5
	v_cmp_gt_i32_e32 vcc_lo, 32, v3
	s_wait_alu 0xfffd
	v_cndmask_b32_e32 v3, v4, v3, vcc_lo
	v_cmp_gt_i32_e32 vcc_lo, 32, v10
	s_wait_alu 0xfffd
	v_cndmask_b32_e32 v4, v4, v10, vcc_lo
	v_cmp_eq_u32_e32 vcc_lo, 0, v6
	s_delay_alu instid0(VALU_DEP_2)
	v_lshlrev_b32_e32 v4, 2, v4
	v_lshlrev_b32_e32 v3, 2, v3
	s_wait_dscnt 0x0
	v_add_f32_e32 v5, v5, v8
	ds_bpermute_b32 v8, v3, v5
	s_wait_dscnt 0x0
	v_add_f32_e32 v5, v5, v8
	ds_bpermute_b32 v8, v4, v5
	s_and_saveexec_b32 s2, vcc_lo
	s_cbranch_execz .LBB126_19
; %bb.18:
	s_wait_dscnt 0x0
	v_dual_add_f32 v5, v5, v8 :: v_dual_mov_b32 v6, 0
	global_store_b32 v6, v5, s[0:1]
.LBB126_19:
	s_wait_alu 0xfffe
	s_or_b32 exec_lo, exec_lo, s2
	ds_bpermute_b32 v5, v0, v9
	s_wait_dscnt 0x0
	v_add_f32_e32 v5, v9, v5
	ds_bpermute_b32 v6, v1, v5
	s_wait_dscnt 0x0
	v_add_f32_e32 v5, v5, v6
	;; [unrolled: 3-line block ×4, first 2 shown]
	ds_bpermute_b32 v6, v4, v5
	s_and_saveexec_b32 s2, vcc_lo
	s_cbranch_execz .LBB126_21
; %bb.20:
	s_mov_b32 s7, 0
	s_wait_dscnt 0x0
	v_dual_add_f32 v5, v5, v6 :: v_dual_mov_b32 v6, 0
	s_lshl_b64 s[4:5], s[6:7], 2
	s_wait_alu 0xfffe
	s_add_nc_u64 s[4:5], s[0:1], s[4:5]
	global_store_b32 v6, v5, s[4:5]
.LBB126_21:
	s_wait_alu 0xfffe
	s_or_b32 exec_lo, exec_lo, s2
	ds_bpermute_b32 v0, v0, v7
	s_wait_dscnt 0x0
	v_add_f32_e32 v0, v7, v0
	ds_bpermute_b32 v1, v1, v0
	s_wait_dscnt 0x0
	v_add_f32_e32 v0, v0, v1
	;; [unrolled: 3-line block ×4, first 2 shown]
	ds_bpermute_b32 v1, v4, v0
	s_and_b32 exec_lo, exec_lo, vcc_lo
	s_cbranch_execz .LBB126_23
; %bb.22:
	s_lshl_b32 s2, s6, 1
	s_mov_b32 s3, 0
	s_wait_dscnt 0x0
	v_dual_add_f32 v0, v0, v1 :: v_dual_mov_b32 v1, 0
	s_wait_alu 0xfffe
	s_lshl_b64 s[2:3], s[2:3], 2
	s_wait_alu 0xfffe
	s_add_nc_u64 s[0:1], s[0:1], s[2:3]
	global_store_b32 v1, v0, s[0:1]
.LBB126_23:
	s_endpgm
	.section	.rodata,"a",@progbits
	.p2align	6, 0x0
	.amdhsa_kernel _ZL13mul_mat_vec_qIL9ggml_type12ELi3ELb0ELb0EEvPKvS2_PKi31ggml_cuda_mm_fusion_args_devicePfj15HIP_vector_typeIjLj3EEjjjS8_jjjS8_jjjj
		.amdhsa_group_segment_fixed_size 0
		.amdhsa_private_segment_fixed_size 0
		.amdhsa_kernarg_size 144
		.amdhsa_user_sgpr_count 2
		.amdhsa_user_sgpr_dispatch_ptr 0
		.amdhsa_user_sgpr_queue_ptr 0
		.amdhsa_user_sgpr_kernarg_segment_ptr 1
		.amdhsa_user_sgpr_dispatch_id 0
		.amdhsa_user_sgpr_private_segment_size 0
		.amdhsa_wavefront_size32 1
		.amdhsa_uses_dynamic_stack 0
		.amdhsa_enable_private_segment 0
		.amdhsa_system_sgpr_workgroup_id_x 1
		.amdhsa_system_sgpr_workgroup_id_y 1
		.amdhsa_system_sgpr_workgroup_id_z 1
		.amdhsa_system_sgpr_workgroup_info 0
		.amdhsa_system_vgpr_workitem_id 1
		.amdhsa_next_free_vgpr 48
		.amdhsa_next_free_sgpr 28
		.amdhsa_reserve_vcc 1
		.amdhsa_float_round_mode_32 0
		.amdhsa_float_round_mode_16_64 0
		.amdhsa_float_denorm_mode_32 3
		.amdhsa_float_denorm_mode_16_64 3
		.amdhsa_fp16_overflow 0
		.amdhsa_workgroup_processor_mode 1
		.amdhsa_memory_ordered 1
		.amdhsa_forward_progress 1
		.amdhsa_inst_pref_size 22
		.amdhsa_round_robin_scheduling 0
		.amdhsa_exception_fp_ieee_invalid_op 0
		.amdhsa_exception_fp_denorm_src 0
		.amdhsa_exception_fp_ieee_div_zero 0
		.amdhsa_exception_fp_ieee_overflow 0
		.amdhsa_exception_fp_ieee_underflow 0
		.amdhsa_exception_fp_ieee_inexact 0
		.amdhsa_exception_int_div_zero 0
	.end_amdhsa_kernel
	.section	.text._ZL13mul_mat_vec_qIL9ggml_type12ELi3ELb0ELb0EEvPKvS2_PKi31ggml_cuda_mm_fusion_args_devicePfj15HIP_vector_typeIjLj3EEjjjS8_jjjS8_jjjj,"axG",@progbits,_ZL13mul_mat_vec_qIL9ggml_type12ELi3ELb0ELb0EEvPKvS2_PKi31ggml_cuda_mm_fusion_args_devicePfj15HIP_vector_typeIjLj3EEjjjS8_jjjS8_jjjj,comdat
.Lfunc_end126:
	.size	_ZL13mul_mat_vec_qIL9ggml_type12ELi3ELb0ELb0EEvPKvS2_PKi31ggml_cuda_mm_fusion_args_devicePfj15HIP_vector_typeIjLj3EEjjjS8_jjjS8_jjjj, .Lfunc_end126-_ZL13mul_mat_vec_qIL9ggml_type12ELi3ELb0ELb0EEvPKvS2_PKi31ggml_cuda_mm_fusion_args_devicePfj15HIP_vector_typeIjLj3EEjjjS8_jjjS8_jjjj
                                        ; -- End function
	.set _ZL13mul_mat_vec_qIL9ggml_type12ELi3ELb0ELb0EEvPKvS2_PKi31ggml_cuda_mm_fusion_args_devicePfj15HIP_vector_typeIjLj3EEjjjS8_jjjS8_jjjj.num_vgpr, 48
	.set _ZL13mul_mat_vec_qIL9ggml_type12ELi3ELb0ELb0EEvPKvS2_PKi31ggml_cuda_mm_fusion_args_devicePfj15HIP_vector_typeIjLj3EEjjjS8_jjjS8_jjjj.num_agpr, 0
	.set _ZL13mul_mat_vec_qIL9ggml_type12ELi3ELb0ELb0EEvPKvS2_PKi31ggml_cuda_mm_fusion_args_devicePfj15HIP_vector_typeIjLj3EEjjjS8_jjjS8_jjjj.numbered_sgpr, 28
	.set _ZL13mul_mat_vec_qIL9ggml_type12ELi3ELb0ELb0EEvPKvS2_PKi31ggml_cuda_mm_fusion_args_devicePfj15HIP_vector_typeIjLj3EEjjjS8_jjjS8_jjjj.num_named_barrier, 0
	.set _ZL13mul_mat_vec_qIL9ggml_type12ELi3ELb0ELb0EEvPKvS2_PKi31ggml_cuda_mm_fusion_args_devicePfj15HIP_vector_typeIjLj3EEjjjS8_jjjS8_jjjj.private_seg_size, 0
	.set _ZL13mul_mat_vec_qIL9ggml_type12ELi3ELb0ELb0EEvPKvS2_PKi31ggml_cuda_mm_fusion_args_devicePfj15HIP_vector_typeIjLj3EEjjjS8_jjjS8_jjjj.uses_vcc, 1
	.set _ZL13mul_mat_vec_qIL9ggml_type12ELi3ELb0ELb0EEvPKvS2_PKi31ggml_cuda_mm_fusion_args_devicePfj15HIP_vector_typeIjLj3EEjjjS8_jjjS8_jjjj.uses_flat_scratch, 0
	.set _ZL13mul_mat_vec_qIL9ggml_type12ELi3ELb0ELb0EEvPKvS2_PKi31ggml_cuda_mm_fusion_args_devicePfj15HIP_vector_typeIjLj3EEjjjS8_jjjS8_jjjj.has_dyn_sized_stack, 0
	.set _ZL13mul_mat_vec_qIL9ggml_type12ELi3ELb0ELb0EEvPKvS2_PKi31ggml_cuda_mm_fusion_args_devicePfj15HIP_vector_typeIjLj3EEjjjS8_jjjS8_jjjj.has_recursion, 0
	.set _ZL13mul_mat_vec_qIL9ggml_type12ELi3ELb0ELb0EEvPKvS2_PKi31ggml_cuda_mm_fusion_args_devicePfj15HIP_vector_typeIjLj3EEjjjS8_jjjS8_jjjj.has_indirect_call, 0
	.section	.AMDGPU.csdata,"",@progbits
; Kernel info:
; codeLenInByte = 2728
; TotalNumSgprs: 30
; NumVgprs: 48
; ScratchSize: 0
; MemoryBound: 0
; FloatMode: 240
; IeeeMode: 1
; LDSByteSize: 0 bytes/workgroup (compile time only)
; SGPRBlocks: 0
; VGPRBlocks: 5
; NumSGPRsForWavesPerEU: 30
; NumVGPRsForWavesPerEU: 48
; Occupancy: 16
; WaveLimiterHint : 0
; COMPUTE_PGM_RSRC2:SCRATCH_EN: 0
; COMPUTE_PGM_RSRC2:USER_SGPR: 2
; COMPUTE_PGM_RSRC2:TRAP_HANDLER: 0
; COMPUTE_PGM_RSRC2:TGID_X_EN: 1
; COMPUTE_PGM_RSRC2:TGID_Y_EN: 1
; COMPUTE_PGM_RSRC2:TGID_Z_EN: 1
; COMPUTE_PGM_RSRC2:TIDIG_COMP_CNT: 1
	.section	.text._ZL13mul_mat_vec_qIL9ggml_type12ELi4ELb0ELb0EEvPKvS2_PKi31ggml_cuda_mm_fusion_args_devicePfj15HIP_vector_typeIjLj3EEjjjS8_jjjS8_jjjj,"axG",@progbits,_ZL13mul_mat_vec_qIL9ggml_type12ELi4ELb0ELb0EEvPKvS2_PKi31ggml_cuda_mm_fusion_args_devicePfj15HIP_vector_typeIjLj3EEjjjS8_jjjS8_jjjj,comdat
	.globl	_ZL13mul_mat_vec_qIL9ggml_type12ELi4ELb0ELb0EEvPKvS2_PKi31ggml_cuda_mm_fusion_args_devicePfj15HIP_vector_typeIjLj3EEjjjS8_jjjS8_jjjj ; -- Begin function _ZL13mul_mat_vec_qIL9ggml_type12ELi4ELb0ELb0EEvPKvS2_PKi31ggml_cuda_mm_fusion_args_devicePfj15HIP_vector_typeIjLj3EEjjjS8_jjjS8_jjjj
	.p2align	8
	.type	_ZL13mul_mat_vec_qIL9ggml_type12ELi4ELb0ELb0EEvPKvS2_PKi31ggml_cuda_mm_fusion_args_devicePfj15HIP_vector_typeIjLj3EEjjjS8_jjjS8_jjjj,@function
_ZL13mul_mat_vec_qIL9ggml_type12ELi4ELb0ELb0EEvPKvS2_PKi31ggml_cuda_mm_fusion_args_devicePfj15HIP_vector_typeIjLj3EEjjjS8_jjjS8_jjjj: ; @_ZL13mul_mat_vec_qIL9ggml_type12ELi4ELb0ELb0EEvPKvS2_PKi31ggml_cuda_mm_fusion_args_devicePfj15HIP_vector_typeIjLj3EEjjjS8_jjjS8_jjjj
; %bb.0:
	s_clause 0x5
	s_load_b96 s[16:18], s[0:1], 0x80
	s_load_b32 s2, s[0:1], 0x40
	s_load_b128 s[4:7], s[0:1], 0x50
	s_load_b32 s23, s[0:1], 0x60
	s_load_b128 s[8:11], s[0:1], 0x68
	s_load_b32 s24, s[0:1], 0x78
	v_bfe_u32 v10, v0, 10, 10
	v_dual_mov_b32 v8, 0 :: v_dual_and_b32 v7, 0x3ff, v0
	v_mov_b32_e32 v9, 0
	v_mov_b32_e32 v11, 0
	;; [unrolled: 1-line block ×3, first 2 shown]
	s_delay_alu instid0(VALU_DEP_4) | instskip(SKIP_3) | instid1(VALU_DEP_1)
	v_lshl_or_b32 v0, v10, 5, v7
	s_and_b32 s19, ttmp7, 0xffff
	s_lshr_b32 s20, ttmp7, 16
	s_mov_b32 s21, exec_lo
	v_lshrrev_b32_e32 v12, 4, v0
	s_wait_kmcnt 0x0
	s_lshr_b32 s22, s2, 8
	s_delay_alu instid0(VALU_DEP_1) | instid1(SALU_CYCLE_1)
	v_cmpx_gt_u32_e64 s22, v12
	s_cbranch_execz .LBB127_18
; %bb.1:
	s_load_b128 s[12:15], s[0:1], 0x0
	v_lshl_add_u32 v0, v10, 5, v7
	v_bfe_u32 v3, v7, 2, 2
	v_lshlrev_b32_e32 v2, 1, v7
	s_mul_hi_u32 s7, s7, s19
	s_mul_hi_u32 s11, s11, s20
	v_lshrrev_b32_e32 v4, 4, v0
	v_mul_hi_u32_u24_e32 v1, 0x48, v3
	v_mul_u32_u24_e32 v0, 0x48, v3
	s_mul_i32 s2, s17, s20
	s_mov_b32 s3, 0
	s_add_co_i32 s7, s19, s7
	v_bfe_u32 v9, v2, 3, 2
	v_dual_mov_b32 v8, 0 :: v_dual_and_b32 v5, 30, v2
	v_mad_co_u64_u32 v[2:3], null, 0x120, v4, v[0:1]
	s_add_co_i32 s11, s20, s11
	s_mul_u64 s[26:27], s[2:3], 36
	s_mul_i32 s2, s9, s19
	s_lshr_b32 s7, s7, s23
	s_lshr_b32 s11, s11, s24
	s_mul_u64 s[24:25], s[2:3], 36
	s_mul_i32 s7, s7, s8
	s_wait_kmcnt 0x0
	s_add_nc_u64 s[8:9], s[14:15], s[26:27]
	v_dual_mov_b32 v13, 0 :: v_dual_lshlrev_b32 v0, 1, v9
	s_add_nc_u64 s[8:9], s[8:9], s[24:25]
	v_lshlrev_b32_e32 v6, 3, v12
	v_add_co_u32 v2, s2, s8, v2
	v_and_b32_e32 v11, 3, v7
	v_add_co_ci_u32_e64 v3, null, s9, v3, s2
	v_cmp_lt_u32_e32 vcc_lo, 15, v5
	v_mad_co_u64_u32 v[0:1], null, v0, 36, s[8:9]
	v_mad_co_u64_u32 v[4:5], null, s5, 3, v[6:7]
	v_add_co_u32 v2, s2, v2, 36
	s_mul_i32 s4, s4, ttmp9
	v_lshlrev_b32_e32 v14, 5, v9
	v_lshlrev_b32_e32 v15, 2, v11
	v_add_co_ci_u32_e64 v3, null, 0, v3, s2
	v_lshl_add_u32 v16, s5, 1, v6
	v_add_nc_u32_e32 v17, s5, v6
	v_lshlrev_b32_e32 v18, 1, v9
	v_lshlrev_b32_e32 v19, 2, v11
	v_mov_b32_e32 v9, 0
	v_mov_b32_e32 v11, 0
	s_mul_i32 s11, s11, s16
	s_wait_alu 0xfffe
	s_add_co_i32 s7, s7, s4
	s_delay_alu instid0(SALU_CYCLE_1)
	s_add_co_i32 s4, s11, s7
	s_branch .LBB127_3
.LBB127_2:                              ;   in Loop: Header=BB127_3 Depth=1
	s_wait_alu 0xfffe
	s_or_b32 exec_lo, exec_lo, s2
	s_wait_loadcnt 0x1a
	v_lshrrev_b32_e32 v5, 4, v39
	v_and_b32_e32 v6, 0xf0f0f0f, v39
	s_wait_loadcnt 0x19
	v_and_b32_e32 v39, 0xf0f0f0f, v38
	v_lshrrev_b32_e32 v38, 4, v38
	s_wait_loadcnt 0xa
	v_dot4_i32_iu8 v41, 0x1010101, v50, 0 neg_lo:[1,1,0]
	v_and_b32_e32 v5, 0xf0f0f0f, v5
	v_and_b32_e32 v55, 0xff, v46
	s_wait_loadcnt 0x8
	v_dot4_i32_iu8 v54, 0x1010101, v51, 0 neg_lo:[1,1,0]
	v_and_b32_e32 v38, 0xf0f0f0f, v38
	v_dot4_i32_iu8 v50, v6, v50, 0 neg_lo:[1,1,0]
	v_dot4_i32_iu8 v51, v5, v51, 0 neg_lo:[1,1,0]
	v_and_b32_e32 v56, 0xff, v44
	v_dot4_i32_iu8 v41, 0x1010101, v49, v41 neg_lo:[1,1,0]
	v_and_b32_e32 v55, 0xffff, v55
	v_lshrrev_b16 v46, 8, v46
	v_dot4_i32_iu8 v49, v39, v49, v50 neg_lo:[1,1,0]
	s_wait_loadcnt 0x7
	v_dot4_i32_iu8 v50, v38, v48, v51 neg_lo:[1,1,0]
	v_and_b32_e32 v51, 0xffff, v56
	v_mul_lo_u32 v41, v41, v55
	v_dot4_i32_iu8 v48, 0x1010101, v48, v54 neg_lo:[1,1,0]
	v_and_b32_e32 v46, 0xffff, v46
	v_lshrrev_b16 v44, 8, v44
	v_mul_lo_u32 v49, v49, v51
	v_add_nc_u32_e32 v12, 2, v12
	v_add_co_u32 v2, s2, 0x240, v2
	v_mul_lo_u32 v46, v48, v46
	v_cvt_f32_i32_e32 v41, v41
	v_and_b32_e32 v44, 0xffff, v44
	s_wait_alu 0xf1ff
	v_add_co_ci_u32_e64 v3, null, 0, v3, s2
	v_cvt_f32_i32_e32 v48, v49
	v_lshrrev_b32_e32 v49, 16, v20
	v_fma_mix_f32 v41, v43, v41, 0 op_sel_hi:[1,0,0]
	v_cvt_f32_i32_e32 v46, v46
	v_mul_lo_u32 v44, v50, v44
	v_fma_mix_f32 v43, v43, v48, 0 op_sel_hi:[1,0,0]
	v_cvt_f32_f16_e32 v48, v49
	v_and_b32_e32 v49, 0xff, v35
	s_wait_loadcnt 0x6
	v_fma_mix_f32 v41, v45, v46, v41 op_sel_hi:[1,0,0]
	v_dot4_i32_iu8 v50, v5, v31, 0 neg_lo:[1,1,0]
	v_dot4_i32_iu8 v31, 0x1010101, v31, 0 neg_lo:[1,1,0]
	v_lshrrev_b16 v35, 8, v35
	v_and_b32_e32 v49, 0xffff, v49
	v_mul_f32_e32 v41, v41, v48
	v_dot4_i32_iu8 v46, v6, v37, 0 neg_lo:[1,1,0]
	v_dot4_i32_iu8 v37, 0x1010101, v37, 0 neg_lo:[1,1,0]
	v_cvt_f32_i32_e32 v44, v44
	v_cmp_le_u32_e64 s2, s22, v12
	v_add_nc_u32_e32 v16, 16, v16
	v_dot4_i32_iu8 v46, v39, v34, v46 neg_lo:[1,1,0]
	v_dot4_i32_iu8 v34, 0x1010101, v34, v37 neg_lo:[1,1,0]
	v_and_b32_e32 v37, 0xff, v36
	v_lshrrev_b16 v36, 8, v36
	v_fma_mix_f32 v43, v45, v44, v43 op_sel_hi:[1,0,0]
	v_mul_lo_u32 v46, v46, v49
	v_dot4_i32_iu8 v49, v38, v30, v50 neg_lo:[1,1,0]
	v_and_b32_e32 v37, 0xffff, v37
	v_dot4_i32_iu8 v30, 0x1010101, v30, v31 neg_lo:[1,1,0]
	s_wait_loadcnt 0x4
	v_dot4_i32_iu8 v44, v6, v53, 0 neg_lo:[1,1,0]
	v_dot4_i32_iu8 v6, v6, v27, 0 neg_lo:[1,1,0]
	;; [unrolled: 1-line block ×3, first 2 shown]
	v_mul_lo_u32 v31, v34, v37
	v_and_b32_e32 v34, 0xffff, v35
	v_and_b32_e32 v35, 0xffff, v36
	s_wait_loadcnt 0x2
	v_dot4_i32_iu8 v36, v5, v47, 0 neg_lo:[1,1,0]
	v_dot4_i32_iu8 v37, 0x1010101, v47, 0 neg_lo:[1,1,0]
	v_cvt_f32_i32_e32 v46, v46
	v_mul_lo_u32 v34, v49, v34
	v_mul_lo_u32 v30, v30, v35
	v_cvt_f32_i32_e32 v31, v31
	s_wait_loadcnt 0x1
	v_dot4_i32_iu8 v35, v38, v42, v36 neg_lo:[1,1,0]
	v_dot4_i32_iu8 v36, 0x1010101, v42, v37 neg_lo:[1,1,0]
	v_fma_mix_f32 v37, v29, v46, 0 op_sel_hi:[1,0,0]
	v_dot4_i32_iu8 v45, 0x1010101, v53, 0 neg_lo:[1,1,0]
	v_fma_mix_f32 v29, v29, v31, 0 op_sel_hi:[1,0,0]
	v_cvt_f32_i32_e32 v31, v34
	v_cvt_f32_i32_e32 v30, v30
	v_dot4_i32_iu8 v6, v39, v26, v6 neg_lo:[1,1,0]
	v_dot4_i32_iu8 v5, v5, v25, 0 neg_lo:[1,1,0]
	;; [unrolled: 1-line block ×3, first 2 shown]
	v_fma_mix_f32 v31, v28, v31, v37 op_sel_hi:[1,0,0]
	v_fma_mix_f32 v28, v28, v30, v29 op_sel_hi:[1,0,0]
	v_dot4_i32_iu8 v25, 0x1010101, v25, 0 neg_lo:[1,1,0]
	v_lshrrev_b16 v27, 8, v24
	v_and_b32_e32 v29, 0xff, v24
	v_and_b32_e32 v30, 0xff00ff, v40
	v_bfe_u32 v34, v24, 16, 8
	v_dot4_i32_iu8 v45, 0x1010101, v52, v45 neg_lo:[1,1,0]
	v_dot4_i32_iu8 v5, v38, v23, v5 neg_lo:[1,1,0]
	;; [unrolled: 1-line block ×3, first 2 shown]
	v_and_b32_e32 v25, 0xffff, v27
	v_mul_lo_u32 v26, v26, v29
	v_lshrrev_b32_e32 v27, 16, v30
	v_pk_lshrrev_b16 v29, 8, v40 op_sel_hi:[0,1]
	v_mul_lo_u32 v6, v6, v34
	v_dot4_i32_iu8 v44, v39, v52, v44 neg_lo:[1,1,0]
	v_and_b32_e32 v30, 0xff, v30
	v_mul_lo_u32 v27, v45, v27
	v_lshrrev_b32_e32 v34, 16, v29
	v_lshrrev_b32_e32 v24, 24, v24
	v_cvt_f32_i32_e32 v26, v26
	v_mul_lo_u32 v23, v23, v25
	v_cvt_f32_i32_e32 v6, v6
	v_mul_lo_u32 v25, v44, v30
	v_and_b32_e32 v29, 0xff, v29
	v_mul_lo_u32 v30, v36, v34
	v_mul_lo_u32 v5, v5, v24
	v_cvt_f32_i32_e32 v24, v27
	v_fma_mix_f32 v6, v22, v6, 0 op_sel_hi:[1,0,0]
	v_fma_mix_f32 v22, v22, v26, 0 op_sel_hi:[1,0,0]
	v_mul_lo_u32 v26, v35, v29
	v_cvt_f32_i32_e32 v23, v23
	v_cvt_f32_i32_e32 v25, v25
	v_fma_mix_f32 v24, v32, v24, 0 op_sel_hi:[1,0,0]
	v_cvt_f32_i32_e32 v27, v30
	v_cvt_f32_i32_e32 v5, v5
	v_fma_mix_f32 v22, v21, v23, v22 op_sel_hi:[1,0,0]
	v_fma_mix_f32 v23, v32, v25, 0 op_sel_hi:[1,0,0]
	v_cvt_f32_i32_e32 v25, v26
	s_wait_loadcnt 0x0
	v_fma_mix_f32 v24, v33, v27, v24 op_sel_hi:[1,0,0]
	v_mul_f32_e32 v26, v28, v48
	v_fma_mix_f32 v5, v21, v5, v6 op_sel_hi:[1,0,0]
	v_mul_f32_e32 v6, v22, v48
	;; [unrolled: 2-line block ×3, first 2 shown]
	v_fma_mix_f32 v23, v43, v20, -v41 op_sel_hi:[0,1,0]
	v_fma_mix_f32 v24, v31, v20, -v26 op_sel_hi:[0,1,0]
	;; [unrolled: 1-line block ×3, first 2 shown]
	v_add_nc_u32_e32 v4, 16, v4
	v_fma_mix_f32 v6, v21, v20, -v22 op_sel_hi:[0,1,0]
	v_add_f32_e32 v9, v9, v23
	v_add_f32_e32 v11, v11, v24
	;; [unrolled: 1-line block ×3, first 2 shown]
	s_delay_alu instid0(VALU_DEP_4)
	v_dual_add_f32 v8, v8, v6 :: v_dual_add_nc_u32 v17, 16, v17
	s_or_b32 s3, s2, s3
	s_wait_alu 0xfffe
	s_and_not1_b32 exec_lo, exec_lo, s3
	s_cbranch_execz .LBB127_17
.LBB127_3:                              ; =>This Inner Loop Header: Depth=1
	s_wait_alu 0xfffe
	v_add_nc_u32_e32 v5, s4, v12
                                        ; implicit-def: $vgpr41
	s_delay_alu instid0(VALU_DEP_1) | instskip(NEXT) | instid1(VALU_DEP_1)
	v_mad_co_i64_i32 v[5:6], null, 0x90, v5, s[12:13]
	v_add_co_u32 v20, s2, v5, v14
	s_wait_alu 0xf1ff
	s_delay_alu instid0(VALU_DEP_2) | instskip(NEXT) | instid1(VALU_DEP_2)
	v_add_co_ci_u32_e64 v21, null, 0, v6, s2
	v_add_co_u32 v20, s2, v20, v15
	s_wait_alu 0xf1ff
	s_delay_alu instid0(VALU_DEP_2)
	v_add_co_ci_u32_e64 v21, null, 0, v21, s2
	v_add_co_u32 v23, s2, v2, v15
	s_wait_alu 0xf1ff
	v_add_co_ci_u32_e64 v24, null, 0, v3, s2
	s_clause 0x2
	global_load_b32 v39, v[20:21], off offset:16
	global_load_b32 v38, v[20:21], off offset:32
	global_load_b32 v20, v[5:6], off
	s_clause 0x5
	global_load_b32 v22, v[2:3], off offset:-36
	global_load_b32 v21, v[2:3], off
	global_load_b32 v27, v[23:24], off offset:-32
	global_load_b32 v26, v[23:24], off offset:-16
	global_load_b32 v25, v[23:24], off offset:4
	global_load_b32 v23, v[23:24], off offset:20
	v_add_co_u32 v5, s2, v5, v18
	s_wait_alu 0xf1ff
	v_add_co_ci_u32_e64 v6, null, 0, v6, s2
                                        ; implicit-def: $vgpr24
	s_and_saveexec_b32 s2, vcc_lo
	s_wait_alu 0xfffe
	s_xor_b32 s2, exec_lo, s2
	s_cbranch_execz .LBB127_5
; %bb.4:                                ;   in Loop: Header=BB127_3 Depth=1
	s_clause 0x1
	global_load_u16 v24, v[5:6], off offset:8
	global_load_u16 v28, v[5:6], off offset:4
	s_wait_loadcnt 0x1
	v_mov_b32_e32 v29, v24
	s_wait_loadcnt 0x0
	v_perm_b32 v41, v24, v28, 0x5040100
	s_delay_alu instid0(VALU_DEP_1) | instskip(NEXT) | instid1(VALU_DEP_1)
	v_pk_lshrrev_b16 v24, 2, v41
	v_and_b32_e32 v24, 0xf0f3030, v24
	global_load_d16_hi_b16 v29, v[5:6], off
	s_wait_loadcnt 0x0
	v_pk_lshrrev_b16 v28, 0x20004, v29
	s_delay_alu instid0(VALU_DEP_1)
	v_and_or_b32 v24, 0x30300f0f, v28, v24
.LBB127_5:                              ;   in Loop: Header=BB127_3 Depth=1
	s_wait_alu 0xfffe
	s_and_not1_saveexec_b32 s2, s2
	s_cbranch_execz .LBB127_7
; %bb.6:                                ;   in Loop: Header=BB127_3 Depth=1
	s_clause 0x1
	global_load_u16 v28, v[5:6], off offset:4
	global_load_u16 v29, v[5:6], off offset:8
	s_wait_loadcnt 0x0
	v_perm_b32 v24, v28, v29, 0x5040100
	v_perm_b32 v41, v29, v28, 0x5040100
	s_delay_alu instid0(VALU_DEP_2)
	v_and_b32_e32 v24, 0x3f3f3f3f, v24
.LBB127_7:                              ;   in Loop: Header=BB127_3 Depth=1
	s_wait_alu 0xfffe
	s_or_b32 exec_lo, exec_lo, s2
	v_mad_co_u64_u32 v[32:33], null, v17, 36, v[0:1]
	v_lshrrev_b32_e32 v42, 16, v41
	v_lshrrev_b16 v40, 2, v41
	s_delay_alu instid0(VALU_DEP_3) | instskip(SKIP_1) | instid1(VALU_DEP_4)
	v_add_co_u32 v35, s2, v32, v19
	s_wait_alu 0xf1ff
	v_add_co_ci_u32_e64 v36, null, 0, v33, s2
	s_clause 0x5
	global_load_b32 v29, v[32:33], off
	global_load_b32 v37, v[35:36], off offset:4
	global_load_b32 v34, v[35:36], off offset:20
	;; [unrolled: 1-line block ×5, first 2 shown]
	v_lshrrev_b32_e32 v33, 20, v41
	v_and_b32_e32 v32, 0xf0f, v42
                                        ; implicit-def: $vgpr35
                                        ; implicit-def: $vgpr36
	s_delay_alu instid0(VALU_DEP_2)
	v_and_b32_e32 v33, 0xf0f, v33
	s_and_saveexec_b32 s2, vcc_lo
	s_wait_alu 0xfffe
	s_xor_b32 s2, exec_lo, s2
	s_cbranch_execz .LBB127_9
; %bb.8:                                ;   in Loop: Header=BB127_3 Depth=1
	global_load_u16 v35, v[5:6], off
	v_and_b32_e32 v36, 0x3030, v40
	s_delay_alu instid0(VALU_DEP_1) | instskip(SKIP_2) | instid1(VALU_DEP_1)
	v_or_b32_e32 v36, v36, v33
	s_wait_loadcnt 0x0
	v_lshrrev_b16 v35, 2, v35
	v_and_b32_e32 v35, 0x3030, v35
	s_delay_alu instid0(VALU_DEP_1)
	v_or_b32_e32 v35, v35, v32
.LBB127_9:                              ;   in Loop: Header=BB127_3 Depth=1
	s_wait_alu 0xfffe
	s_or_saveexec_b32 s2, s2
	v_and_b32_e32 v44, 0x3f3f, v41
	v_and_b32_e32 v46, 0x3f3f, v42
	s_wait_alu 0xfffe
	s_xor_b32 exec_lo, exec_lo, s2
; %bb.10:                               ;   in Loop: Header=BB127_3 Depth=1
	v_and_b32_e32 v35, 0x3f3f, v41
	v_and_b32_e32 v36, 0x3f3f, v42
; %bb.11:                               ;   in Loop: Header=BB127_3 Depth=1
	s_or_b32 exec_lo, exec_lo, s2
	v_mad_co_u64_u32 v[52:53], null, v16, 36, v[0:1]
	s_delay_alu instid0(VALU_DEP_1) | instskip(SKIP_1) | instid1(VALU_DEP_2)
	v_add_co_u32 v47, s2, v52, v19
	s_wait_alu 0xf1ff
	v_add_co_ci_u32_e64 v48, null, 0, v53, s2
	s_clause 0x5
	global_load_b32 v43, v[52:53], off
	global_load_b32 v50, v[47:48], off offset:4
	global_load_b32 v49, v[47:48], off offset:20
	;; [unrolled: 1-line block ×5, first 2 shown]
	s_and_saveexec_b32 s2, vcc_lo
	s_wait_alu 0xfffe
	s_xor_b32 s2, exec_lo, s2
	s_cbranch_execz .LBB127_13
; %bb.12:                               ;   in Loop: Header=BB127_3 Depth=1
	global_load_u16 v42, v[5:6], off
	v_and_b32_e32 v40, 0x3030, v40
	s_delay_alu instid0(VALU_DEP_1) | instskip(SKIP_2) | instid1(VALU_DEP_1)
	v_or_b32_e32 v46, v40, v33
	s_wait_loadcnt 0x0
	v_lshrrev_b16 v42, 2, v42
	v_and_b32_e32 v42, 0x3030, v42
	s_delay_alu instid0(VALU_DEP_1)
	v_or_b32_e32 v44, v42, v32
.LBB127_13:                             ;   in Loop: Header=BB127_3 Depth=1
	s_wait_alu 0xfffe
	s_and_not1_saveexec_b32 s2, s2
	s_wait_alu 0xfffe
	s_or_b32 exec_lo, exec_lo, s2
	v_mad_co_u64_u32 v[54:55], null, v4, 36, v[0:1]
                                        ; implicit-def: $vgpr40
	s_delay_alu instid0(VALU_DEP_1) | instskip(SKIP_1) | instid1(VALU_DEP_2)
	v_add_co_u32 v56, s2, v54, v19
	s_wait_alu 0xf1ff
	v_add_co_ci_u32_e64 v57, null, 0, v55, s2
	s_clause 0x5
	global_load_b32 v32, v[54:55], off
	global_load_b32 v53, v[56:57], off offset:4
	global_load_b32 v52, v[56:57], off offset:20
	;; [unrolled: 1-line block ×5, first 2 shown]
	s_and_saveexec_b32 s2, vcc_lo
	s_wait_alu 0xfffe
	s_xor_b32 s2, exec_lo, s2
	s_cbranch_execz .LBB127_15
; %bb.14:                               ;   in Loop: Header=BB127_3 Depth=1
	global_load_u16 v5, v[5:6], off
	v_pk_lshrrev_b16 v6, 4, v41 op_sel:[1,1] op_sel_hi:[0,1]
	s_delay_alu instid0(VALU_DEP_1) | instskip(SKIP_2) | instid1(VALU_DEP_1)
	v_and_b32_e32 v6, 0xf0f0f0f, v6
	s_wait_loadcnt 0x0
	v_perm_b32 v5, v41, v5, 0x5040100
                                        ; implicit-def: $vgpr41
	v_pk_lshrrev_b16 v5, 2, v5 op_sel_hi:[0,1]
	s_delay_alu instid0(VALU_DEP_1)
	v_and_or_b32 v40, 0x30303030, v5, v6
.LBB127_15:                             ;   in Loop: Header=BB127_3 Depth=1
	s_wait_alu 0xfffe
	s_and_not1_saveexec_b32 s2, s2
	s_cbranch_execz .LBB127_2
; %bb.16:                               ;   in Loop: Header=BB127_3 Depth=1
	v_and_b32_e32 v40, 0x3f3f3f3f, v41
	s_branch .LBB127_2
.LBB127_17:
	s_or_b32 exec_lo, exec_lo, s3
.LBB127_18:
	s_delay_alu instid0(SALU_CYCLE_1)
	s_or_b32 exec_lo, exec_lo, s21
	s_mov_b32 s3, 0
	; wave barrier
	global_inv scope:SCOPE_SE
	s_mov_b32 s2, exec_lo
	v_cmpx_eq_u32_e32 0, v10
	s_cbranch_execz .LBB127_27
; %bb.19:
	v_mbcnt_lo_u32_b32 v4, -1, 0
	s_load_b64 s[0:1], s[0:1], 0x38
	s_mul_i32 s2, s10, s19
	s_mul_i32 s4, s18, s20
	s_wait_alu 0xfffe
	s_add_co_i32 s2, s2, ttmp9
	v_xor_b32_e32 v0, 16, v4
	v_xor_b32_e32 v1, 8, v4
	;; [unrolled: 1-line block ×3, first 2 shown]
	s_wait_alu 0xfffe
	s_add_co_i32 s2, s2, s4
	s_wait_alu 0xfffe
	s_lshl_b64 s[2:3], s[2:3], 2
	v_cmp_gt_i32_e32 vcc_lo, 32, v0
	v_cndmask_b32_e32 v0, v4, v0, vcc_lo
	v_cmp_gt_i32_e32 vcc_lo, 32, v1
	s_wait_kmcnt 0x0
	s_wait_alu 0xfffe
	s_add_nc_u64 s[0:1], s[0:1], s[2:3]
	s_wait_alu 0xfffd
	v_cndmask_b32_e32 v1, v4, v1, vcc_lo
	s_delay_alu instid0(VALU_DEP_1)
	v_lshlrev_b32_e32 v1, 2, v1
	v_lshlrev_b32_e32 v0, 2, v0
	ds_bpermute_b32 v2, v0, v13
	s_wait_dscnt 0x0
	v_add_f32_e32 v3, v13, v2
	v_xor_b32_e32 v2, 4, v4
	ds_bpermute_b32 v5, v1, v3
	v_cmp_gt_i32_e32 vcc_lo, 32, v2
	s_wait_dscnt 0x0
	s_wait_alu 0xfffd
	v_dual_cndmask_b32 v2, v4, v2 :: v_dual_add_f32 v5, v3, v5
	s_delay_alu instid0(VALU_DEP_1)
	v_lshlrev_b32_e32 v2, 2, v2
	v_xor_b32_e32 v3, 2, v4
	ds_bpermute_b32 v6, v2, v5
	v_cmp_gt_i32_e32 vcc_lo, 32, v3
	s_wait_alu 0xfffd
	v_cndmask_b32_e32 v3, v4, v3, vcc_lo
	v_cmp_gt_i32_e32 vcc_lo, 32, v10
	s_wait_alu 0xfffd
	v_cndmask_b32_e32 v4, v4, v10, vcc_lo
	v_cmp_eq_u32_e32 vcc_lo, 0, v7
	s_delay_alu instid0(VALU_DEP_2)
	v_lshlrev_b32_e32 v4, 2, v4
	v_lshlrev_b32_e32 v3, 2, v3
	s_wait_dscnt 0x0
	v_add_f32_e32 v5, v5, v6
	ds_bpermute_b32 v6, v3, v5
	s_wait_dscnt 0x0
	v_add_f32_e32 v5, v5, v6
	ds_bpermute_b32 v6, v4, v5
	s_and_saveexec_b32 s2, vcc_lo
	s_cbranch_execz .LBB127_21
; %bb.20:
	s_wait_dscnt 0x0
	v_dual_add_f32 v5, v5, v6 :: v_dual_mov_b32 v6, 0
	global_store_b32 v6, v5, s[0:1]
.LBB127_21:
	s_wait_alu 0xfffe
	s_or_b32 exec_lo, exec_lo, s2
	ds_bpermute_b32 v5, v0, v11
	s_wait_dscnt 0x0
	v_add_f32_e32 v5, v11, v5
	ds_bpermute_b32 v6, v1, v5
	s_wait_dscnt 0x0
	v_add_f32_e32 v5, v5, v6
	;; [unrolled: 3-line block ×4, first 2 shown]
	ds_bpermute_b32 v6, v4, v5
	s_and_saveexec_b32 s2, vcc_lo
	s_cbranch_execz .LBB127_23
; %bb.22:
	s_mov_b32 s7, 0
	s_wait_dscnt 0x0
	v_dual_add_f32 v5, v5, v6 :: v_dual_mov_b32 v6, 0
	s_lshl_b64 s[4:5], s[6:7], 2
	s_wait_alu 0xfffe
	s_add_nc_u64 s[4:5], s[0:1], s[4:5]
	global_store_b32 v6, v5, s[4:5]
.LBB127_23:
	s_wait_alu 0xfffe
	s_or_b32 exec_lo, exec_lo, s2
	ds_bpermute_b32 v5, v0, v9
	s_wait_dscnt 0x0
	v_add_f32_e32 v5, v9, v5
	ds_bpermute_b32 v6, v1, v5
	s_wait_dscnt 0x0
	v_add_f32_e32 v5, v5, v6
	;; [unrolled: 3-line block ×4, first 2 shown]
	ds_bpermute_b32 v6, v4, v5
	s_and_saveexec_b32 s2, vcc_lo
	s_cbranch_execz .LBB127_25
; %bb.24:
	s_lshl_b32 s4, s6, 1
	s_mov_b32 s5, 0
	s_wait_dscnt 0x0
	v_dual_add_f32 v5, v5, v6 :: v_dual_mov_b32 v6, 0
	s_wait_alu 0xfffe
	s_lshl_b64 s[4:5], s[4:5], 2
	s_wait_alu 0xfffe
	s_add_nc_u64 s[4:5], s[0:1], s[4:5]
	global_store_b32 v6, v5, s[4:5]
.LBB127_25:
	s_wait_alu 0xfffe
	s_or_b32 exec_lo, exec_lo, s2
	ds_bpermute_b32 v0, v0, v8
	s_wait_dscnt 0x0
	v_add_f32_e32 v0, v8, v0
	ds_bpermute_b32 v1, v1, v0
	s_wait_dscnt 0x0
	v_add_f32_e32 v0, v0, v1
	;; [unrolled: 3-line block ×4, first 2 shown]
	ds_bpermute_b32 v1, v4, v0
	s_and_b32 exec_lo, exec_lo, vcc_lo
	s_cbranch_execz .LBB127_27
; %bb.26:
	s_mul_i32 s2, s6, 3
	s_mov_b32 s3, 0
	s_wait_dscnt 0x0
	v_dual_add_f32 v0, v0, v1 :: v_dual_mov_b32 v1, 0
	s_wait_alu 0xfffe
	s_lshl_b64 s[2:3], s[2:3], 2
	s_wait_alu 0xfffe
	s_add_nc_u64 s[0:1], s[0:1], s[2:3]
	global_store_b32 v1, v0, s[0:1]
.LBB127_27:
	s_endpgm
	.section	.rodata,"a",@progbits
	.p2align	6, 0x0
	.amdhsa_kernel _ZL13mul_mat_vec_qIL9ggml_type12ELi4ELb0ELb0EEvPKvS2_PKi31ggml_cuda_mm_fusion_args_devicePfj15HIP_vector_typeIjLj3EEjjjS8_jjjS8_jjjj
		.amdhsa_group_segment_fixed_size 0
		.amdhsa_private_segment_fixed_size 0
		.amdhsa_kernarg_size 144
		.amdhsa_user_sgpr_count 2
		.amdhsa_user_sgpr_dispatch_ptr 0
		.amdhsa_user_sgpr_queue_ptr 0
		.amdhsa_user_sgpr_kernarg_segment_ptr 1
		.amdhsa_user_sgpr_dispatch_id 0
		.amdhsa_user_sgpr_private_segment_size 0
		.amdhsa_wavefront_size32 1
		.amdhsa_uses_dynamic_stack 0
		.amdhsa_enable_private_segment 0
		.amdhsa_system_sgpr_workgroup_id_x 1
		.amdhsa_system_sgpr_workgroup_id_y 1
		.amdhsa_system_sgpr_workgroup_id_z 1
		.amdhsa_system_sgpr_workgroup_info 0
		.amdhsa_system_vgpr_workitem_id 1
		.amdhsa_next_free_vgpr 58
		.amdhsa_next_free_sgpr 28
		.amdhsa_reserve_vcc 1
		.amdhsa_float_round_mode_32 0
		.amdhsa_float_round_mode_16_64 0
		.amdhsa_float_denorm_mode_32 3
		.amdhsa_float_denorm_mode_16_64 3
		.amdhsa_fp16_overflow 0
		.amdhsa_workgroup_processor_mode 1
		.amdhsa_memory_ordered 1
		.amdhsa_forward_progress 1
		.amdhsa_inst_pref_size 27
		.amdhsa_round_robin_scheduling 0
		.amdhsa_exception_fp_ieee_invalid_op 0
		.amdhsa_exception_fp_denorm_src 0
		.amdhsa_exception_fp_ieee_div_zero 0
		.amdhsa_exception_fp_ieee_overflow 0
		.amdhsa_exception_fp_ieee_underflow 0
		.amdhsa_exception_fp_ieee_inexact 0
		.amdhsa_exception_int_div_zero 0
	.end_amdhsa_kernel
	.section	.text._ZL13mul_mat_vec_qIL9ggml_type12ELi4ELb0ELb0EEvPKvS2_PKi31ggml_cuda_mm_fusion_args_devicePfj15HIP_vector_typeIjLj3EEjjjS8_jjjS8_jjjj,"axG",@progbits,_ZL13mul_mat_vec_qIL9ggml_type12ELi4ELb0ELb0EEvPKvS2_PKi31ggml_cuda_mm_fusion_args_devicePfj15HIP_vector_typeIjLj3EEjjjS8_jjjS8_jjjj,comdat
.Lfunc_end127:
	.size	_ZL13mul_mat_vec_qIL9ggml_type12ELi4ELb0ELb0EEvPKvS2_PKi31ggml_cuda_mm_fusion_args_devicePfj15HIP_vector_typeIjLj3EEjjjS8_jjjS8_jjjj, .Lfunc_end127-_ZL13mul_mat_vec_qIL9ggml_type12ELi4ELb0ELb0EEvPKvS2_PKi31ggml_cuda_mm_fusion_args_devicePfj15HIP_vector_typeIjLj3EEjjjS8_jjjS8_jjjj
                                        ; -- End function
	.set _ZL13mul_mat_vec_qIL9ggml_type12ELi4ELb0ELb0EEvPKvS2_PKi31ggml_cuda_mm_fusion_args_devicePfj15HIP_vector_typeIjLj3EEjjjS8_jjjS8_jjjj.num_vgpr, 58
	.set _ZL13mul_mat_vec_qIL9ggml_type12ELi4ELb0ELb0EEvPKvS2_PKi31ggml_cuda_mm_fusion_args_devicePfj15HIP_vector_typeIjLj3EEjjjS8_jjjS8_jjjj.num_agpr, 0
	.set _ZL13mul_mat_vec_qIL9ggml_type12ELi4ELb0ELb0EEvPKvS2_PKi31ggml_cuda_mm_fusion_args_devicePfj15HIP_vector_typeIjLj3EEjjjS8_jjjS8_jjjj.numbered_sgpr, 28
	.set _ZL13mul_mat_vec_qIL9ggml_type12ELi4ELb0ELb0EEvPKvS2_PKi31ggml_cuda_mm_fusion_args_devicePfj15HIP_vector_typeIjLj3EEjjjS8_jjjS8_jjjj.num_named_barrier, 0
	.set _ZL13mul_mat_vec_qIL9ggml_type12ELi4ELb0ELb0EEvPKvS2_PKi31ggml_cuda_mm_fusion_args_devicePfj15HIP_vector_typeIjLj3EEjjjS8_jjjS8_jjjj.private_seg_size, 0
	.set _ZL13mul_mat_vec_qIL9ggml_type12ELi4ELb0ELb0EEvPKvS2_PKi31ggml_cuda_mm_fusion_args_devicePfj15HIP_vector_typeIjLj3EEjjjS8_jjjS8_jjjj.uses_vcc, 1
	.set _ZL13mul_mat_vec_qIL9ggml_type12ELi4ELb0ELb0EEvPKvS2_PKi31ggml_cuda_mm_fusion_args_devicePfj15HIP_vector_typeIjLj3EEjjjS8_jjjS8_jjjj.uses_flat_scratch, 0
	.set _ZL13mul_mat_vec_qIL9ggml_type12ELi4ELb0ELb0EEvPKvS2_PKi31ggml_cuda_mm_fusion_args_devicePfj15HIP_vector_typeIjLj3EEjjjS8_jjjS8_jjjj.has_dyn_sized_stack, 0
	.set _ZL13mul_mat_vec_qIL9ggml_type12ELi4ELb0ELb0EEvPKvS2_PKi31ggml_cuda_mm_fusion_args_devicePfj15HIP_vector_typeIjLj3EEjjjS8_jjjS8_jjjj.has_recursion, 0
	.set _ZL13mul_mat_vec_qIL9ggml_type12ELi4ELb0ELb0EEvPKvS2_PKi31ggml_cuda_mm_fusion_args_devicePfj15HIP_vector_typeIjLj3EEjjjS8_jjjS8_jjjj.has_indirect_call, 0
	.section	.AMDGPU.csdata,"",@progbits
; Kernel info:
; codeLenInByte = 3332
; TotalNumSgprs: 30
; NumVgprs: 58
; ScratchSize: 0
; MemoryBound: 0
; FloatMode: 240
; IeeeMode: 1
; LDSByteSize: 0 bytes/workgroup (compile time only)
; SGPRBlocks: 0
; VGPRBlocks: 7
; NumSGPRsForWavesPerEU: 30
; NumVGPRsForWavesPerEU: 58
; Occupancy: 16
; WaveLimiterHint : 0
; COMPUTE_PGM_RSRC2:SCRATCH_EN: 0
; COMPUTE_PGM_RSRC2:USER_SGPR: 2
; COMPUTE_PGM_RSRC2:TRAP_HANDLER: 0
; COMPUTE_PGM_RSRC2:TGID_X_EN: 1
; COMPUTE_PGM_RSRC2:TGID_Y_EN: 1
; COMPUTE_PGM_RSRC2:TGID_Z_EN: 1
; COMPUTE_PGM_RSRC2:TIDIG_COMP_CNT: 1
	.section	.text._ZL13mul_mat_vec_qIL9ggml_type12ELi5ELb0ELb0EEvPKvS2_PKi31ggml_cuda_mm_fusion_args_devicePfj15HIP_vector_typeIjLj3EEjjjS8_jjjS8_jjjj,"axG",@progbits,_ZL13mul_mat_vec_qIL9ggml_type12ELi5ELb0ELb0EEvPKvS2_PKi31ggml_cuda_mm_fusion_args_devicePfj15HIP_vector_typeIjLj3EEjjjS8_jjjS8_jjjj,comdat
	.globl	_ZL13mul_mat_vec_qIL9ggml_type12ELi5ELb0ELb0EEvPKvS2_PKi31ggml_cuda_mm_fusion_args_devicePfj15HIP_vector_typeIjLj3EEjjjS8_jjjS8_jjjj ; -- Begin function _ZL13mul_mat_vec_qIL9ggml_type12ELi5ELb0ELb0EEvPKvS2_PKi31ggml_cuda_mm_fusion_args_devicePfj15HIP_vector_typeIjLj3EEjjjS8_jjjS8_jjjj
	.p2align	8
	.type	_ZL13mul_mat_vec_qIL9ggml_type12ELi5ELb0ELb0EEvPKvS2_PKi31ggml_cuda_mm_fusion_args_devicePfj15HIP_vector_typeIjLj3EEjjjS8_jjjS8_jjjj,@function
_ZL13mul_mat_vec_qIL9ggml_type12ELi5ELb0ELb0EEvPKvS2_PKi31ggml_cuda_mm_fusion_args_devicePfj15HIP_vector_typeIjLj3EEjjjS8_jjjS8_jjjj: ; @_ZL13mul_mat_vec_qIL9ggml_type12ELi5ELb0ELb0EEvPKvS2_PKi31ggml_cuda_mm_fusion_args_devicePfj15HIP_vector_typeIjLj3EEjjjS8_jjjS8_jjjj
; %bb.0:
	s_clause 0x5
	s_load_b96 s[16:18], s[0:1], 0x80
	s_load_b32 s2, s[0:1], 0x40
	s_load_b128 s[4:7], s[0:1], 0x50
	s_load_b32 s23, s[0:1], 0x60
	s_load_b128 s[8:11], s[0:1], 0x68
	s_load_b32 s24, s[0:1], 0x78
	v_bfe_u32 v11, v0, 10, 10
	v_dual_mov_b32 v7, 0 :: v_dual_and_b32 v8, 0x3ff, v0
	v_dual_mov_b32 v9, 0 :: v_dual_mov_b32 v10, 0
	v_mov_b32_e32 v12, 0
	s_delay_alu instid0(VALU_DEP_3)
	v_lshl_or_b32 v0, v11, 5, v8
	v_mov_b32_e32 v14, 0
	s_and_b32 s19, ttmp7, 0xffff
	s_lshr_b32 s20, ttmp7, 16
	s_mov_b32 s21, exec_lo
	v_lshrrev_b32_e32 v13, 4, v0
	s_wait_kmcnt 0x0
	s_lshr_b32 s22, s2, 8
	s_delay_alu instid0(VALU_DEP_1) | instid1(SALU_CYCLE_1)
	v_cmpx_gt_u32_e64 s22, v13
	s_cbranch_execz .LBB128_22
; %bb.1:
	s_load_b128 s[12:15], s[0:1], 0x0
	v_lshl_add_u32 v0, v11, 5, v8
	v_bfe_u32 v3, v8, 2, 2
	v_dual_mov_b32 v7, 0 :: v_dual_lshlrev_b32 v2, 1, v8
	s_mul_hi_u32 s7, s7, s19
	s_delay_alu instid0(VALU_DEP_3) | instskip(NEXT) | instid1(VALU_DEP_3)
	v_lshrrev_b32_e32 v4, 4, v0
	v_mul_hi_u32_u24_e32 v1, 0x48, v3
	v_mul_u32_u24_e32 v0, 0x48, v3
	s_mul_hi_u32 s11, s11, s20
	s_mul_i32 s2, s17, s20
	s_mov_b32 s3, 0
	s_add_co_i32 s7, s19, s7
	v_bfe_u32 v9, v2, 3, 2
	v_and_b32_e32 v5, 30, v2
	v_mad_co_u64_u32 v[2:3], null, 0x120, v4, v[0:1]
	s_add_co_i32 s11, s20, s11
	s_mul_u64 s[26:27], s[2:3], 36
	s_mul_i32 s2, s9, s19
	s_lshr_b32 s7, s7, s23
	s_lshr_b32 s11, s11, s24
	s_mul_u64 s[24:25], s[2:3], 36
	s_mul_i32 s7, s7, s8
	s_wait_kmcnt 0x0
	s_add_nc_u64 s[8:9], s[14:15], s[26:27]
	v_and_b32_e32 v10, 3, v8
	s_add_nc_u64 s[8:9], s[8:9], s[24:25]
	v_lshlrev_b32_e32 v0, 1, v9
	v_lshlrev_b32_e32 v6, 3, v13
	v_add_co_u32 v2, s2, s8, v2
	s_delay_alu instid0(VALU_DEP_1)
	v_add_co_ci_u32_e64 v3, null, s9, v3, s2
	v_dual_mov_b32 v12, 0 :: v_dual_lshlrev_b32 v15, 5, v9
	v_mad_co_u64_u32 v[0:1], null, v0, 36, s[8:9]
	v_dual_mov_b32 v9, 0 :: v_dual_lshlrev_b32 v20, 1, v9
	v_lshlrev_b32_e32 v16, 2, v10
	v_dual_mov_b32 v10, 0 :: v_dual_lshlrev_b32 v21, 2, v10
	v_cmp_lt_u32_e32 vcc_lo, 15, v5
	v_mad_co_u64_u32 v[4:5], null, s5, 3, v[6:7]
	v_add_co_u32 v2, s2, v2, 36
	s_mul_i32 s4, s4, ttmp9
	v_add_co_ci_u32_e64 v3, null, 0, v3, s2
	v_lshl_add_u32 v17, s5, 1, v6
	v_lshl_add_u32 v18, s5, 2, v6
	v_dual_mov_b32 v14, 0 :: v_dual_add_nc_u32 v19, s5, v6
	s_mul_i32 s11, s11, s16
	s_wait_alu 0xfffe
	s_add_co_i32 s7, s7, s4
	s_delay_alu instid0(SALU_CYCLE_1)
	s_add_co_i32 s4, s11, s7
	s_branch .LBB128_3
.LBB128_2:                              ;   in Loop: Header=BB128_3 Depth=1
	s_wait_alu 0xfffe
	s_or_b32 exec_lo, exec_lo, s2
	s_wait_loadcnt 0x20
	v_and_b32_e32 v5, 0xf0f0f0f, v42
	v_lshrrev_b32_e32 v42, 4, v42
	s_wait_loadcnt 0x1f
	v_and_b32_e32 v6, 0xf0f0f0f, v41
	v_lshrrev_b32_e32 v41, 4, v41
	s_wait_loadcnt 0xa
	v_dot4_i32_iu8 v49, 0x1010101, v62, 0 neg_lo:[1,1,0]
	v_dot4_i32_iu8 v62, v5, v62, 0 neg_lo:[1,1,0]
	v_and_b32_e32 v42, 0xf0f0f0f, v42
	v_and_b32_e32 v65, 0xff, v52
	;; [unrolled: 1-line block ×3, first 2 shown]
	s_wait_loadcnt 0x9
	v_dot4_i32_iu8 v49, 0x1010101, v59, v49 neg_lo:[1,1,0]
	v_dot4_i32_iu8 v59, v6, v59, v62 neg_lo:[1,1,0]
	s_wait_loadcnt 0x8
	v_dot4_i32_iu8 v62, 0x1010101, v60, 0 neg_lo:[1,1,0]
	v_dot4_i32_iu8 v60, v42, v60, 0 neg_lo:[1,1,0]
	v_lshrrev_b16 v52, 8, v52
	v_and_b32_e32 v64, 0xff, v53
	v_lshrrev_b16 v53, 8, v53
	s_wait_loadcnt 0x7
	v_dot4_i32_iu8 v62, 0x1010101, v58, v62 neg_lo:[1,1,0]
	v_dot4_i32_iu8 v58, v41, v58, v60 neg_lo:[1,1,0]
	v_and_b32_e32 v52, 0xffff, v52
	v_and_b32_e32 v64, 0xffff, v64
	;; [unrolled: 1-line block ×3, first 2 shown]
	v_lshrrev_b16 v50, 8, v50
	v_add_nc_u32_e32 v13, 2, v13
	v_mul_lo_u32 v52, v58, v52
	v_lshrrev_b32_e32 v58, 16, v22
	v_mul_lo_u32 v49, v49, v64
	v_and_b32_e32 v50, 0xffff, v50
	v_add_co_u32 v2, s2, 0x240, v2
	s_delay_alu instid0(VALU_DEP_4)
	v_cvt_f32_f16_e32 v58, v58
	v_and_b32_e32 v65, 0xffff, v65
	v_and_b32_e32 v53, 0xffff, v53
	v_cvt_f32_i32_e32 v52, v52
	v_cvt_f32_i32_e32 v49, v49
	s_wait_alu 0xf1ff
	v_add_co_ci_u32_e64 v3, null, 0, v3, s2
	v_mul_lo_u32 v59, v59, v65
	v_mul_lo_u32 v53, v62, v53
	v_fma_mix_f32 v49, v55, v49, 0 op_sel_hi:[1,0,0]
	v_cmp_le_u32_e64 s2, s22, v13
	v_add_nc_u32_e32 v17, 16, v17
	v_add_nc_u32_e32 v4, 16, v4
	;; [unrolled: 1-line block ×4, first 2 shown]
	v_cvt_f32_i32_e32 v59, v59
	v_cvt_f32_i32_e32 v53, v53
	s_or_b32 s3, s2, s3
	s_delay_alu instid0(VALU_DEP_2)
	v_fma_mix_f32 v55, v55, v59, 0 op_sel_hi:[1,0,0]
	s_wait_loadcnt 0x4
	v_dot4_i32_iu8 v59, 0x1010101, v63, 0 neg_lo:[1,1,0]
	v_fma_mix_f32 v49, v54, v53, v49 op_sel_hi:[1,0,0]
	v_dot4_i32_iu8 v53, v5, v63, 0 neg_lo:[1,1,0]
	v_fma_mix_f32 v52, v54, v52, v55 op_sel_hi:[1,0,0]
	s_wait_loadcnt 0x3
	v_dot4_i32_iu8 v54, 0x1010101, v61, v59 neg_lo:[1,1,0]
	v_dot4_i32_iu8 v55, v5, v51, 0 neg_lo:[1,1,0]
	;; [unrolled: 1-line block ×3, first 2 shown]
	v_and_b32_e32 v59, 0xff, v47
	v_mul_f32_e32 v49, v49, v58
	v_dot4_i32_iu8 v53, v6, v61, v53 neg_lo:[1,1,0]
	v_dot4_i32_iu8 v55, v6, v48, v55 neg_lo:[1,1,0]
	;; [unrolled: 1-line block ×3, first 2 shown]
	v_and_b32_e32 v51, 0xffff, v59
	v_and_b32_e32 v59, 0xffff, v60
	s_wait_loadcnt 0x2
	v_dot4_i32_iu8 v61, v42, v57, 0 neg_lo:[1,1,0]
	v_dot4_i32_iu8 v57, 0x1010101, v57, 0 neg_lo:[1,1,0]
	;; [unrolled: 1-line block ×3, first 2 shown]
	v_mul_lo_u32 v51, v55, v51
	v_mul_lo_u32 v48, v48, v59
	s_wait_loadcnt 0x1
	v_dot4_i32_iu8 v55, v41, v56, v61 neg_lo:[1,1,0]
	v_dot4_i32_iu8 v56, 0x1010101, v56, v57 neg_lo:[1,1,0]
	;; [unrolled: 1-line block ×4, first 2 shown]
	v_lshrrev_b16 v47, 8, v47
	v_cvt_f32_i32_e32 v51, v51
	v_cvt_f32_i32_e32 v48, v48
	v_mul_lo_u32 v50, v57, v50
	v_dot4_i32_iu8 v44, v41, v44, v45 neg_lo:[1,1,0]
	v_and_b32_e32 v45, 0xffff, v47
	v_fma_mix_f32 v47, v43, v51, 0 op_sel_hi:[1,0,0]
	v_fma_mix_f32 v43, v43, v48, 0 op_sel_hi:[1,0,0]
	v_dot4_i32_iu8 v48, v5, v37, 0 neg_lo:[1,1,0]
	v_dot4_i32_iu8 v37, 0x1010101, v37, 0 neg_lo:[1,1,0]
	v_mul_lo_u32 v44, v44, v45
	v_cvt_f32_i32_e32 v45, v50
	v_and_b32_e32 v50, 0xff, v35
	v_dot4_i32_iu8 v48, v6, v34, v48 neg_lo:[1,1,0]
	v_dot4_i32_iu8 v34, 0x1010101, v34, v37 neg_lo:[1,1,0]
	v_and_b32_e32 v37, 0xff, v36
	v_dot4_i32_iu8 v51, v42, v33, 0 neg_lo:[1,1,0]
	v_and_b32_e32 v50, 0xffff, v50
	v_dot4_i32_iu8 v33, 0x1010101, v33, 0 neg_lo:[1,1,0]
	v_lshrrev_b16 v36, 8, v36
	v_and_b32_e32 v37, 0xffff, v37
	v_lshrrev_b16 v35, 8, v35
	v_mul_lo_u32 v48, v48, v50
	v_dot4_i32_iu8 v50, v41, v32, v51 neg_lo:[1,1,0]
	v_dot4_i32_iu8 v32, 0x1010101, v32, v33 neg_lo:[1,1,0]
	v_mul_lo_u32 v33, v34, v37
	v_and_b32_e32 v34, 0xffff, v35
	v_and_b32_e32 v35, 0xffff, v36
	v_cvt_f32_i32_e32 v36, v44
	v_fma_mix_f32 v37, v38, v45, v43 op_sel_hi:[1,0,0]
	v_cvt_f32_i32_e32 v43, v48
	v_mul_lo_u32 v34, v50, v34
	v_mul_lo_u32 v32, v32, v35
	v_cvt_f32_i32_e32 v33, v33
	v_fma_mix_f32 v35, v38, v36, v47 op_sel_hi:[1,0,0]
	v_mul_f32_e32 v36, v37, v58
	v_dot4_i32_iu8 v5, v5, v29, 0 neg_lo:[1,1,0]
	v_fma_mix_f32 v37, v31, v43, 0 op_sel_hi:[1,0,0]
	v_fma_mix_f32 v31, v31, v33, 0 op_sel_hi:[1,0,0]
	v_cvt_f32_i32_e32 v33, v34
	v_cvt_f32_i32_e32 v32, v32
	v_dot4_i32_iu8 v5, v6, v28, v5 neg_lo:[1,1,0]
	v_dot4_i32_iu8 v6, 0x1010101, v29, 0 neg_lo:[1,1,0]
	v_bfe_u32 v29, v26, 16, 8
	v_fma_mix_f32 v33, v30, v33, v37 op_sel_hi:[1,0,0]
	v_fma_mix_f32 v30, v30, v32, v31 op_sel_hi:[1,0,0]
	v_dot4_i32_iu8 v31, v42, v27, 0 neg_lo:[1,1,0]
	v_dot4_i32_iu8 v6, 0x1010101, v28, v6 neg_lo:[1,1,0]
	v_mul_lo_u32 v5, v5, v29
	v_dot4_i32_iu8 v27, 0x1010101, v27, 0 neg_lo:[1,1,0]
	v_lshrrev_b16 v28, 8, v26
	v_dot4_i32_iu8 v29, v41, v25, v31 neg_lo:[1,1,0]
	v_and_b32_e32 v31, 0xff, v26
	v_and_b32_e32 v32, 0xff00ff, v46
	v_dot4_i32_iu8 v25, 0x1010101, v25, v27 neg_lo:[1,1,0]
	v_and_b32_e32 v27, 0xffff, v28
	v_cvt_f32_i32_e32 v5, v5
	v_mul_lo_u32 v6, v6, v31
	v_lshrrev_b32_e32 v28, 16, v32
	v_pk_lshrrev_b16 v31, 8, v46 op_sel_hi:[0,1]
	v_and_b32_e32 v32, 0xff, v32
	v_lshrrev_b32_e32 v26, 24, v26
	v_mul_lo_u32 v25, v25, v27
	v_mul_lo_u32 v28, v54, v28
	v_lshrrev_b32_e32 v34, 16, v31
	v_cvt_f32_i32_e32 v6, v6
	v_mul_lo_u32 v27, v53, v32
	v_and_b32_e32 v31, 0xff, v31
	v_fma_mix_f32 v5, v24, v5, 0 op_sel_hi:[1,0,0]
	v_mul_lo_u32 v32, v56, v34
	v_mul_lo_u32 v26, v29, v26
	v_cvt_f32_i32_e32 v28, v28
	v_fma_mix_f32 v6, v24, v6, 0 op_sel_hi:[1,0,0]
	v_mul_lo_u32 v24, v55, v31
	v_cvt_f32_i32_e32 v25, v25
	v_cvt_f32_i32_e32 v27, v27
	v_fma_mix_f32 v28, v39, v28, 0 op_sel_hi:[1,0,0]
	v_cvt_f32_i32_e32 v29, v32
	v_cvt_f32_i32_e32 v26, v26
	v_fma_mix_f32 v6, v23, v25, v6 op_sel_hi:[1,0,0]
	v_fma_mix_f32 v25, v39, v27, 0 op_sel_hi:[1,0,0]
	v_cvt_f32_i32_e32 v24, v24
	s_wait_loadcnt 0x0
	v_fma_mix_f32 v27, v40, v29, v28 op_sel_hi:[1,0,0]
	v_mul_f32_e32 v28, v30, v58
	v_fma_mix_f32 v5, v23, v26, v5 op_sel_hi:[1,0,0]
	v_mul_f32_e32 v6, v6, v58
	;; [unrolled: 2-line block ×3, first 2 shown]
	v_fma_mix_f32 v25, v52, v22, -v49 op_sel_hi:[0,1,0]
	v_fma_mix_f32 v26, v35, v22, -v36 op_sel_hi:[0,1,0]
	;; [unrolled: 1-line block ×5, first 2 shown]
	s_delay_alu instid0(VALU_DEP_4) | instskip(NEXT) | instid1(VALU_DEP_4)
	v_dual_add_f32 v9, v9, v25 :: v_dual_add_f32 v10, v10, v26
	v_add_f32_e32 v12, v12, v27
	s_delay_alu instid0(VALU_DEP_3)
	v_dual_add_f32 v14, v14, v5 :: v_dual_add_f32 v7, v7, v6
	s_wait_alu 0xfffe
	s_and_not1_b32 exec_lo, exec_lo, s3
	s_cbranch_execz .LBB128_21
.LBB128_3:                              ; =>This Inner Loop Header: Depth=1
	s_wait_alu 0xfffe
	v_add_nc_u32_e32 v5, s4, v13
                                        ; implicit-def: $vgpr49
	s_delay_alu instid0(VALU_DEP_1) | instskip(NEXT) | instid1(VALU_DEP_1)
	v_mad_co_i64_i32 v[5:6], null, 0x90, v5, s[12:13]
	v_add_co_u32 v22, s2, v5, v15
	s_wait_alu 0xf1ff
	s_delay_alu instid0(VALU_DEP_2) | instskip(NEXT) | instid1(VALU_DEP_2)
	v_add_co_ci_u32_e64 v23, null, 0, v6, s2
	v_add_co_u32 v22, s2, v22, v16
	s_wait_alu 0xf1ff
	s_delay_alu instid0(VALU_DEP_2)
	v_add_co_ci_u32_e64 v23, null, 0, v23, s2
	v_add_co_u32 v25, s2, v2, v16
	s_wait_alu 0xf1ff
	v_add_co_ci_u32_e64 v26, null, 0, v3, s2
	s_clause 0x2
	global_load_b32 v42, v[22:23], off offset:16
	global_load_b32 v41, v[22:23], off offset:32
	global_load_b32 v22, v[5:6], off
	s_clause 0x5
	global_load_b32 v24, v[2:3], off offset:-36
	global_load_b32 v23, v[2:3], off
	global_load_b32 v29, v[25:26], off offset:-32
	global_load_b32 v28, v[25:26], off offset:-16
	global_load_b32 v27, v[25:26], off offset:4
	global_load_b32 v25, v[25:26], off offset:20
	v_add_co_u32 v5, s2, v5, v20
	s_wait_alu 0xf1ff
	v_add_co_ci_u32_e64 v6, null, 0, v6, s2
                                        ; implicit-def: $vgpr26
	s_and_saveexec_b32 s2, vcc_lo
	s_wait_alu 0xfffe
	s_xor_b32 s2, exec_lo, s2
	s_cbranch_execz .LBB128_5
; %bb.4:                                ;   in Loop: Header=BB128_3 Depth=1
	s_clause 0x1
	global_load_u16 v26, v[5:6], off offset:8
	global_load_u16 v30, v[5:6], off offset:4
	s_wait_loadcnt 0x1
	v_mov_b32_e32 v31, v26
	s_wait_loadcnt 0x0
	v_perm_b32 v49, v26, v30, 0x5040100
	s_delay_alu instid0(VALU_DEP_1) | instskip(NEXT) | instid1(VALU_DEP_1)
	v_pk_lshrrev_b16 v26, 2, v49
	v_and_b32_e32 v26, 0xf0f3030, v26
	global_load_d16_hi_b16 v31, v[5:6], off
	s_wait_loadcnt 0x0
	v_pk_lshrrev_b16 v30, 0x20004, v31
	s_delay_alu instid0(VALU_DEP_1)
	v_and_or_b32 v26, 0x30300f0f, v30, v26
.LBB128_5:                              ;   in Loop: Header=BB128_3 Depth=1
	s_wait_alu 0xfffe
	s_and_not1_saveexec_b32 s2, s2
	s_cbranch_execz .LBB128_7
; %bb.6:                                ;   in Loop: Header=BB128_3 Depth=1
	s_clause 0x1
	global_load_u16 v30, v[5:6], off offset:4
	global_load_u16 v31, v[5:6], off offset:8
	s_wait_loadcnt 0x0
	v_perm_b32 v26, v30, v31, 0x5040100
	v_perm_b32 v49, v31, v30, 0x5040100
	s_delay_alu instid0(VALU_DEP_2)
	v_and_b32_e32 v26, 0x3f3f3f3f, v26
.LBB128_7:                              ;   in Loop: Header=BB128_3 Depth=1
	s_wait_alu 0xfffe
	s_or_b32 exec_lo, exec_lo, s2
	v_mad_co_u64_u32 v[35:36], null, v19, 36, v[0:1]
	v_lshrrev_b32_e32 v54, 16, v49
	v_lshrrev_b16 v46, 2, v49
	s_delay_alu instid0(VALU_DEP_3) | instskip(SKIP_1) | instid1(VALU_DEP_4)
	v_add_co_u32 v38, s2, v35, v21
	s_wait_alu 0xf1ff
	v_add_co_ci_u32_e64 v39, null, 0, v36, s2
	s_clause 0x5
	global_load_b32 v31, v[35:36], off
	global_load_b32 v37, v[38:39], off offset:4
	global_load_b32 v34, v[38:39], off offset:20
	;; [unrolled: 1-line block ×5, first 2 shown]
	v_lshrrev_b32_e32 v35, 20, v49
	v_and_b32_e32 v39, 0xf0f, v54
                                        ; implicit-def: $vgpr36
	s_delay_alu instid0(VALU_DEP_2)
	v_and_b32_e32 v40, 0xf0f, v35
                                        ; implicit-def: $vgpr35
	s_and_saveexec_b32 s2, vcc_lo
	s_wait_alu 0xfffe
	s_xor_b32 s2, exec_lo, s2
	s_cbranch_execz .LBB128_9
; %bb.8:                                ;   in Loop: Header=BB128_3 Depth=1
	global_load_u16 v35, v[5:6], off
	v_and_b32_e32 v36, 0x3030, v46
	s_delay_alu instid0(VALU_DEP_1) | instskip(SKIP_2) | instid1(VALU_DEP_1)
	v_or_b32_e32 v36, v36, v40
	s_wait_loadcnt 0x0
	v_lshrrev_b16 v35, 2, v35
	v_and_b32_e32 v35, 0x3030, v35
	s_delay_alu instid0(VALU_DEP_1)
	v_or_b32_e32 v35, v35, v39
.LBB128_9:                              ;   in Loop: Header=BB128_3 Depth=1
	s_wait_alu 0xfffe
	s_or_saveexec_b32 s2, s2
	v_and_b32_e32 v52, 0x3f3f, v49
	v_and_b32_e32 v53, 0x3f3f, v54
	s_wait_alu 0xfffe
	s_xor_b32 exec_lo, exec_lo, s2
; %bb.10:                               ;   in Loop: Header=BB128_3 Depth=1
	v_and_b32_e32 v35, 0x3f3f, v49
	v_and_b32_e32 v36, 0x3f3f, v54
; %bb.11:                               ;   in Loop: Header=BB128_3 Depth=1
	s_or_b32 exec_lo, exec_lo, s2
	v_mad_co_u64_u32 v[55:56], null, v17, 36, v[0:1]
                                        ; implicit-def: $vgpr47
                                        ; implicit-def: $vgpr50
	s_delay_alu instid0(VALU_DEP_1) | instskip(SKIP_1) | instid1(VALU_DEP_2)
	v_add_co_u32 v57, s2, v55, v21
	s_wait_alu 0xf1ff
	v_add_co_ci_u32_e64 v58, null, 0, v56, s2
	s_clause 0x5
	global_load_b32 v43, v[55:56], off
	global_load_b32 v51, v[57:58], off offset:4
	global_load_b32 v48, v[57:58], off offset:20
	;; [unrolled: 1-line block ×5, first 2 shown]
	s_and_saveexec_b32 s2, vcc_lo
	s_wait_alu 0xfffe
	s_xor_b32 s2, exec_lo, s2
	s_cbranch_execz .LBB128_13
; %bb.12:                               ;   in Loop: Header=BB128_3 Depth=1
	global_load_u16 v47, v[5:6], off
	v_and_b32_e32 v50, 0x3030, v46
                                        ; implicit-def: $vgpr54
	s_delay_alu instid0(VALU_DEP_1) | instskip(SKIP_2) | instid1(VALU_DEP_1)
	v_or_b32_e32 v50, v50, v40
	s_wait_loadcnt 0x0
	v_lshrrev_b16 v47, 2, v47
	v_and_b32_e32 v47, 0x3030, v47
	s_delay_alu instid0(VALU_DEP_1)
	v_or_b32_e32 v47, v47, v39
.LBB128_13:                             ;   in Loop: Header=BB128_3 Depth=1
	s_wait_alu 0xfffe
	s_and_not1_saveexec_b32 s2, s2
; %bb.14:                               ;   in Loop: Header=BB128_3 Depth=1
	v_and_b32_e32 v47, 0x3f3f, v49
	v_and_b32_e32 v50, 0x3f3f, v54
; %bb.15:                               ;   in Loop: Header=BB128_3 Depth=1
	s_wait_alu 0xfffe
	s_or_b32 exec_lo, exec_lo, s2
	v_mad_co_u64_u32 v[56:57], null, v4, 36, v[0:1]
	s_delay_alu instid0(VALU_DEP_1) | instskip(SKIP_1) | instid1(VALU_DEP_2)
	v_add_co_u32 v63, s2, v56, v21
	s_wait_alu 0xf1ff
	v_add_co_ci_u32_e64 v64, null, 0, v57, s2
	s_clause 0x5
	global_load_b32 v55, v[56:57], off
	global_load_b32 v62, v[63:64], off offset:4
	global_load_b32 v59, v[63:64], off offset:20
	;; [unrolled: 1-line block ×5, first 2 shown]
	s_and_saveexec_b32 s2, vcc_lo
	s_wait_alu 0xfffe
	s_xor_b32 s2, exec_lo, s2
	s_cbranch_execz .LBB128_17
; %bb.16:                               ;   in Loop: Header=BB128_3 Depth=1
	global_load_u16 v52, v[5:6], off
	v_and_b32_e32 v46, 0x3030, v46
	s_delay_alu instid0(VALU_DEP_1) | instskip(SKIP_2) | instid1(VALU_DEP_1)
	v_or_b32_e32 v53, v46, v40
	s_wait_loadcnt 0x0
	v_lshrrev_b16 v52, 2, v52
	v_and_b32_e32 v52, 0x3030, v52
	s_delay_alu instid0(VALU_DEP_1)
	v_or_b32_e32 v52, v52, v39
.LBB128_17:                             ;   in Loop: Header=BB128_3 Depth=1
	s_wait_alu 0xfffe
	s_and_not1_saveexec_b32 s2, s2
	s_wait_alu 0xfffe
	s_or_b32 exec_lo, exec_lo, s2
	v_mad_co_u64_u32 v[64:65], null, v18, 36, v[0:1]
                                        ; implicit-def: $vgpr46
	s_delay_alu instid0(VALU_DEP_1) | instskip(SKIP_1) | instid1(VALU_DEP_2)
	v_add_co_u32 v66, s2, v64, v21
	s_wait_alu 0xf1ff
	v_add_co_ci_u32_e64 v67, null, 0, v65, s2
	s_clause 0x5
	global_load_b32 v39, v[64:65], off
	global_load_b32 v63, v[66:67], off offset:4
	global_load_b32 v61, v[66:67], off offset:20
	;; [unrolled: 1-line block ×5, first 2 shown]
	s_and_saveexec_b32 s2, vcc_lo
	s_wait_alu 0xfffe
	s_xor_b32 s2, exec_lo, s2
	s_cbranch_execz .LBB128_19
; %bb.18:                               ;   in Loop: Header=BB128_3 Depth=1
	global_load_u16 v5, v[5:6], off
	v_pk_lshrrev_b16 v6, 4, v49 op_sel:[1,1] op_sel_hi:[0,1]
	s_delay_alu instid0(VALU_DEP_1) | instskip(SKIP_2) | instid1(VALU_DEP_1)
	v_and_b32_e32 v6, 0xf0f0f0f, v6
	s_wait_loadcnt 0x0
	v_perm_b32 v5, v49, v5, 0x5040100
                                        ; implicit-def: $vgpr49
	v_pk_lshrrev_b16 v5, 2, v5 op_sel_hi:[0,1]
	s_delay_alu instid0(VALU_DEP_1)
	v_and_or_b32 v46, 0x30303030, v5, v6
.LBB128_19:                             ;   in Loop: Header=BB128_3 Depth=1
	s_wait_alu 0xfffe
	s_and_not1_saveexec_b32 s2, s2
	s_cbranch_execz .LBB128_2
; %bb.20:                               ;   in Loop: Header=BB128_3 Depth=1
	v_and_b32_e32 v46, 0x3f3f3f3f, v49
	s_branch .LBB128_2
.LBB128_21:
	s_or_b32 exec_lo, exec_lo, s3
.LBB128_22:
	s_delay_alu instid0(SALU_CYCLE_1)
	s_or_b32 exec_lo, exec_lo, s21
	s_mov_b32 s3, 0
	; wave barrier
	global_inv scope:SCOPE_SE
	s_mov_b32 s2, exec_lo
	v_cmpx_eq_u32_e32 0, v11
	s_cbranch_execz .LBB128_33
; %bb.23:
	v_mbcnt_lo_u32_b32 v4, -1, 0
	s_load_b64 s[0:1], s[0:1], 0x38
	s_mul_i32 s2, s10, s19
	s_mul_i32 s4, s18, s20
	s_wait_alu 0xfffe
	s_add_co_i32 s2, s2, ttmp9
	v_xor_b32_e32 v0, 16, v4
	v_xor_b32_e32 v1, 8, v4
	;; [unrolled: 1-line block ×3, first 2 shown]
	s_wait_alu 0xfffe
	s_add_co_i32 s2, s2, s4
	s_wait_alu 0xfffe
	s_lshl_b64 s[2:3], s[2:3], 2
	v_cmp_gt_i32_e32 vcc_lo, 32, v0
	v_cndmask_b32_e32 v0, v4, v0, vcc_lo
	v_cmp_gt_i32_e32 vcc_lo, 32, v1
	s_wait_kmcnt 0x0
	s_wait_alu 0xfffe
	s_add_nc_u64 s[0:1], s[0:1], s[2:3]
	s_wait_alu 0xfffd
	v_cndmask_b32_e32 v1, v4, v1, vcc_lo
	s_delay_alu instid0(VALU_DEP_1)
	v_lshlrev_b32_e32 v1, 2, v1
	v_lshlrev_b32_e32 v0, 2, v0
	ds_bpermute_b32 v2, v0, v14
	s_wait_dscnt 0x0
	v_add_f32_e32 v3, v14, v2
	v_xor_b32_e32 v2, 4, v4
	ds_bpermute_b32 v5, v1, v3
	v_cmp_gt_i32_e32 vcc_lo, 32, v2
	s_wait_dscnt 0x0
	s_wait_alu 0xfffd
	v_dual_cndmask_b32 v2, v4, v2 :: v_dual_add_f32 v5, v3, v5
	s_delay_alu instid0(VALU_DEP_1)
	v_lshlrev_b32_e32 v2, 2, v2
	v_xor_b32_e32 v3, 2, v4
	ds_bpermute_b32 v6, v2, v5
	v_cmp_gt_i32_e32 vcc_lo, 32, v3
	s_wait_alu 0xfffd
	v_cndmask_b32_e32 v3, v4, v3, vcc_lo
	v_cmp_gt_i32_e32 vcc_lo, 32, v11
	s_wait_alu 0xfffd
	v_cndmask_b32_e32 v4, v4, v11, vcc_lo
	v_cmp_eq_u32_e32 vcc_lo, 0, v8
	s_delay_alu instid0(VALU_DEP_2)
	v_lshlrev_b32_e32 v4, 2, v4
	v_lshlrev_b32_e32 v3, 2, v3
	s_wait_dscnt 0x0
	v_add_f32_e32 v5, v5, v6
	ds_bpermute_b32 v6, v3, v5
	s_wait_dscnt 0x0
	v_add_f32_e32 v5, v5, v6
	ds_bpermute_b32 v6, v4, v5
	s_and_saveexec_b32 s2, vcc_lo
	s_cbranch_execz .LBB128_25
; %bb.24:
	s_wait_dscnt 0x0
	v_dual_add_f32 v5, v5, v6 :: v_dual_mov_b32 v6, 0
	global_store_b32 v6, v5, s[0:1]
.LBB128_25:
	s_wait_alu 0xfffe
	s_or_b32 exec_lo, exec_lo, s2
	ds_bpermute_b32 v5, v0, v12
	s_wait_dscnt 0x0
	v_add_f32_e32 v5, v12, v5
	ds_bpermute_b32 v6, v1, v5
	s_wait_dscnt 0x0
	v_add_f32_e32 v5, v5, v6
	ds_bpermute_b32 v6, v2, v5
	s_wait_dscnt 0x0
	v_add_f32_e32 v5, v5, v6
	ds_bpermute_b32 v6, v3, v5
	s_wait_dscnt 0x0
	v_add_f32_e32 v5, v5, v6
	ds_bpermute_b32 v6, v4, v5
	s_and_saveexec_b32 s2, vcc_lo
	s_cbranch_execz .LBB128_27
; %bb.26:
	s_mov_b32 s7, 0
	s_wait_dscnt 0x0
	v_dual_add_f32 v5, v5, v6 :: v_dual_mov_b32 v6, 0
	s_lshl_b64 s[4:5], s[6:7], 2
	s_wait_alu 0xfffe
	s_add_nc_u64 s[4:5], s[0:1], s[4:5]
	global_store_b32 v6, v5, s[4:5]
.LBB128_27:
	s_wait_alu 0xfffe
	s_or_b32 exec_lo, exec_lo, s2
	ds_bpermute_b32 v5, v0, v10
	s_wait_dscnt 0x0
	v_add_f32_e32 v5, v10, v5
	ds_bpermute_b32 v6, v1, v5
	s_wait_dscnt 0x0
	v_add_f32_e32 v5, v5, v6
	;; [unrolled: 3-line block ×4, first 2 shown]
	ds_bpermute_b32 v6, v4, v5
	s_and_saveexec_b32 s2, vcc_lo
	s_cbranch_execz .LBB128_29
; %bb.28:
	s_lshl_b32 s4, s6, 1
	s_mov_b32 s5, 0
	s_wait_dscnt 0x0
	v_dual_add_f32 v5, v5, v6 :: v_dual_mov_b32 v6, 0
	s_wait_alu 0xfffe
	s_lshl_b64 s[4:5], s[4:5], 2
	s_wait_alu 0xfffe
	s_add_nc_u64 s[4:5], s[0:1], s[4:5]
	global_store_b32 v6, v5, s[4:5]
.LBB128_29:
	s_wait_alu 0xfffe
	s_or_b32 exec_lo, exec_lo, s2
	ds_bpermute_b32 v5, v0, v9
	s_wait_dscnt 0x0
	v_add_f32_e32 v5, v9, v5
	ds_bpermute_b32 v6, v1, v5
	s_wait_dscnt 0x0
	v_add_f32_e32 v5, v5, v6
	;; [unrolled: 3-line block ×4, first 2 shown]
	ds_bpermute_b32 v6, v4, v5
	s_and_saveexec_b32 s2, vcc_lo
	s_cbranch_execz .LBB128_31
; %bb.30:
	s_mul_i32 s4, s6, 3
	s_mov_b32 s5, 0
	s_wait_dscnt 0x0
	v_dual_add_f32 v5, v5, v6 :: v_dual_mov_b32 v6, 0
	s_wait_alu 0xfffe
	s_lshl_b64 s[4:5], s[4:5], 2
	s_wait_alu 0xfffe
	s_add_nc_u64 s[4:5], s[0:1], s[4:5]
	global_store_b32 v6, v5, s[4:5]
.LBB128_31:
	s_wait_alu 0xfffe
	s_or_b32 exec_lo, exec_lo, s2
	ds_bpermute_b32 v0, v0, v7
	s_wait_dscnt 0x0
	v_add_f32_e32 v0, v7, v0
	ds_bpermute_b32 v1, v1, v0
	s_wait_dscnt 0x0
	v_add_f32_e32 v0, v0, v1
	ds_bpermute_b32 v1, v2, v0
	s_wait_dscnt 0x0
	v_add_f32_e32 v0, v0, v1
	ds_bpermute_b32 v1, v3, v0
	s_wait_dscnt 0x0
	v_add_f32_e32 v0, v0, v1
	ds_bpermute_b32 v1, v4, v0
	s_and_b32 exec_lo, exec_lo, vcc_lo
	s_cbranch_execz .LBB128_33
; %bb.32:
	s_lshl_b32 s2, s6, 2
	s_mov_b32 s3, 0
	s_wait_dscnt 0x0
	v_dual_add_f32 v0, v0, v1 :: v_dual_mov_b32 v1, 0
	s_wait_alu 0xfffe
	s_lshl_b64 s[2:3], s[2:3], 2
	s_wait_alu 0xfffe
	s_add_nc_u64 s[0:1], s[0:1], s[2:3]
	global_store_b32 v1, v0, s[0:1]
.LBB128_33:
	s_endpgm
	.section	.rodata,"a",@progbits
	.p2align	6, 0x0
	.amdhsa_kernel _ZL13mul_mat_vec_qIL9ggml_type12ELi5ELb0ELb0EEvPKvS2_PKi31ggml_cuda_mm_fusion_args_devicePfj15HIP_vector_typeIjLj3EEjjjS8_jjjS8_jjjj
		.amdhsa_group_segment_fixed_size 0
		.amdhsa_private_segment_fixed_size 0
		.amdhsa_kernarg_size 144
		.amdhsa_user_sgpr_count 2
		.amdhsa_user_sgpr_dispatch_ptr 0
		.amdhsa_user_sgpr_queue_ptr 0
		.amdhsa_user_sgpr_kernarg_segment_ptr 1
		.amdhsa_user_sgpr_dispatch_id 0
		.amdhsa_user_sgpr_private_segment_size 0
		.amdhsa_wavefront_size32 1
		.amdhsa_uses_dynamic_stack 0
		.amdhsa_enable_private_segment 0
		.amdhsa_system_sgpr_workgroup_id_x 1
		.amdhsa_system_sgpr_workgroup_id_y 1
		.amdhsa_system_sgpr_workgroup_id_z 1
		.amdhsa_system_sgpr_workgroup_info 0
		.amdhsa_system_vgpr_workitem_id 1
		.amdhsa_next_free_vgpr 68
		.amdhsa_next_free_sgpr 28
		.amdhsa_reserve_vcc 1
		.amdhsa_float_round_mode_32 0
		.amdhsa_float_round_mode_16_64 0
		.amdhsa_float_denorm_mode_32 3
		.amdhsa_float_denorm_mode_16_64 3
		.amdhsa_fp16_overflow 0
		.amdhsa_workgroup_processor_mode 1
		.amdhsa_memory_ordered 1
		.amdhsa_forward_progress 1
		.amdhsa_inst_pref_size 31
		.amdhsa_round_robin_scheduling 0
		.amdhsa_exception_fp_ieee_invalid_op 0
		.amdhsa_exception_fp_denorm_src 0
		.amdhsa_exception_fp_ieee_div_zero 0
		.amdhsa_exception_fp_ieee_overflow 0
		.amdhsa_exception_fp_ieee_underflow 0
		.amdhsa_exception_fp_ieee_inexact 0
		.amdhsa_exception_int_div_zero 0
	.end_amdhsa_kernel
	.section	.text._ZL13mul_mat_vec_qIL9ggml_type12ELi5ELb0ELb0EEvPKvS2_PKi31ggml_cuda_mm_fusion_args_devicePfj15HIP_vector_typeIjLj3EEjjjS8_jjjS8_jjjj,"axG",@progbits,_ZL13mul_mat_vec_qIL9ggml_type12ELi5ELb0ELb0EEvPKvS2_PKi31ggml_cuda_mm_fusion_args_devicePfj15HIP_vector_typeIjLj3EEjjjS8_jjjS8_jjjj,comdat
.Lfunc_end128:
	.size	_ZL13mul_mat_vec_qIL9ggml_type12ELi5ELb0ELb0EEvPKvS2_PKi31ggml_cuda_mm_fusion_args_devicePfj15HIP_vector_typeIjLj3EEjjjS8_jjjS8_jjjj, .Lfunc_end128-_ZL13mul_mat_vec_qIL9ggml_type12ELi5ELb0ELb0EEvPKvS2_PKi31ggml_cuda_mm_fusion_args_devicePfj15HIP_vector_typeIjLj3EEjjjS8_jjjS8_jjjj
                                        ; -- End function
	.set _ZL13mul_mat_vec_qIL9ggml_type12ELi5ELb0ELb0EEvPKvS2_PKi31ggml_cuda_mm_fusion_args_devicePfj15HIP_vector_typeIjLj3EEjjjS8_jjjS8_jjjj.num_vgpr, 68
	.set _ZL13mul_mat_vec_qIL9ggml_type12ELi5ELb0ELb0EEvPKvS2_PKi31ggml_cuda_mm_fusion_args_devicePfj15HIP_vector_typeIjLj3EEjjjS8_jjjS8_jjjj.num_agpr, 0
	.set _ZL13mul_mat_vec_qIL9ggml_type12ELi5ELb0ELb0EEvPKvS2_PKi31ggml_cuda_mm_fusion_args_devicePfj15HIP_vector_typeIjLj3EEjjjS8_jjjS8_jjjj.numbered_sgpr, 28
	.set _ZL13mul_mat_vec_qIL9ggml_type12ELi5ELb0ELb0EEvPKvS2_PKi31ggml_cuda_mm_fusion_args_devicePfj15HIP_vector_typeIjLj3EEjjjS8_jjjS8_jjjj.num_named_barrier, 0
	.set _ZL13mul_mat_vec_qIL9ggml_type12ELi5ELb0ELb0EEvPKvS2_PKi31ggml_cuda_mm_fusion_args_devicePfj15HIP_vector_typeIjLj3EEjjjS8_jjjS8_jjjj.private_seg_size, 0
	.set _ZL13mul_mat_vec_qIL9ggml_type12ELi5ELb0ELb0EEvPKvS2_PKi31ggml_cuda_mm_fusion_args_devicePfj15HIP_vector_typeIjLj3EEjjjS8_jjjS8_jjjj.uses_vcc, 1
	.set _ZL13mul_mat_vec_qIL9ggml_type12ELi5ELb0ELb0EEvPKvS2_PKi31ggml_cuda_mm_fusion_args_devicePfj15HIP_vector_typeIjLj3EEjjjS8_jjjS8_jjjj.uses_flat_scratch, 0
	.set _ZL13mul_mat_vec_qIL9ggml_type12ELi5ELb0ELb0EEvPKvS2_PKi31ggml_cuda_mm_fusion_args_devicePfj15HIP_vector_typeIjLj3EEjjjS8_jjjS8_jjjj.has_dyn_sized_stack, 0
	.set _ZL13mul_mat_vec_qIL9ggml_type12ELi5ELb0ELb0EEvPKvS2_PKi31ggml_cuda_mm_fusion_args_devicePfj15HIP_vector_typeIjLj3EEjjjS8_jjjS8_jjjj.has_recursion, 0
	.set _ZL13mul_mat_vec_qIL9ggml_type12ELi5ELb0ELb0EEvPKvS2_PKi31ggml_cuda_mm_fusion_args_devicePfj15HIP_vector_typeIjLj3EEjjjS8_jjjS8_jjjj.has_indirect_call, 0
	.section	.AMDGPU.csdata,"",@progbits
; Kernel info:
; codeLenInByte = 3964
; TotalNumSgprs: 30
; NumVgprs: 68
; ScratchSize: 0
; MemoryBound: 0
; FloatMode: 240
; IeeeMode: 1
; LDSByteSize: 0 bytes/workgroup (compile time only)
; SGPRBlocks: 0
; VGPRBlocks: 8
; NumSGPRsForWavesPerEU: 30
; NumVGPRsForWavesPerEU: 68
; Occupancy: 16
; WaveLimiterHint : 0
; COMPUTE_PGM_RSRC2:SCRATCH_EN: 0
; COMPUTE_PGM_RSRC2:USER_SGPR: 2
; COMPUTE_PGM_RSRC2:TRAP_HANDLER: 0
; COMPUTE_PGM_RSRC2:TGID_X_EN: 1
; COMPUTE_PGM_RSRC2:TGID_Y_EN: 1
; COMPUTE_PGM_RSRC2:TGID_Z_EN: 1
; COMPUTE_PGM_RSRC2:TIDIG_COMP_CNT: 1
	.section	.text._ZL13mul_mat_vec_qIL9ggml_type12ELi6ELb0ELb0EEvPKvS2_PKi31ggml_cuda_mm_fusion_args_devicePfj15HIP_vector_typeIjLj3EEjjjS8_jjjS8_jjjj,"axG",@progbits,_ZL13mul_mat_vec_qIL9ggml_type12ELi6ELb0ELb0EEvPKvS2_PKi31ggml_cuda_mm_fusion_args_devicePfj15HIP_vector_typeIjLj3EEjjjS8_jjjS8_jjjj,comdat
	.globl	_ZL13mul_mat_vec_qIL9ggml_type12ELi6ELb0ELb0EEvPKvS2_PKi31ggml_cuda_mm_fusion_args_devicePfj15HIP_vector_typeIjLj3EEjjjS8_jjjS8_jjjj ; -- Begin function _ZL13mul_mat_vec_qIL9ggml_type12ELi6ELb0ELb0EEvPKvS2_PKi31ggml_cuda_mm_fusion_args_devicePfj15HIP_vector_typeIjLj3EEjjjS8_jjjS8_jjjj
	.p2align	8
	.type	_ZL13mul_mat_vec_qIL9ggml_type12ELi6ELb0ELb0EEvPKvS2_PKi31ggml_cuda_mm_fusion_args_devicePfj15HIP_vector_typeIjLj3EEjjjS8_jjjS8_jjjj,@function
_ZL13mul_mat_vec_qIL9ggml_type12ELi6ELb0ELb0EEvPKvS2_PKi31ggml_cuda_mm_fusion_args_devicePfj15HIP_vector_typeIjLj3EEjjjS8_jjjS8_jjjj: ; @_ZL13mul_mat_vec_qIL9ggml_type12ELi6ELb0ELb0EEvPKvS2_PKi31ggml_cuda_mm_fusion_args_devicePfj15HIP_vector_typeIjLj3EEjjjS8_jjjS8_jjjj
; %bb.0:
	s_clause 0x5
	s_load_b96 s[16:18], s[0:1], 0x80
	s_load_b32 s2, s[0:1], 0x40
	s_load_b128 s[4:7], s[0:1], 0x50
	s_load_b32 s23, s[0:1], 0x60
	s_load_b128 s[8:11], s[0:1], 0x68
	s_load_b32 s24, s[0:1], 0x78
	v_bfe_u32 v13, v0, 10, 10
	v_dual_mov_b32 v8, 0 :: v_dual_and_b32 v9, 0x3ff, v0
	v_dual_mov_b32 v10, 0 :: v_dual_mov_b32 v11, 0
	v_mov_b32_e32 v12, 0
	s_delay_alu instid0(VALU_DEP_3)
	v_lshl_or_b32 v0, v13, 5, v9
	v_mov_b32_e32 v14, 0
	v_mov_b32_e32 v16, 0
	s_and_b32 s19, ttmp7, 0xffff
	s_lshr_b32 s20, ttmp7, 16
	v_lshrrev_b32_e32 v15, 4, v0
	s_mov_b32 s21, exec_lo
	s_wait_kmcnt 0x0
	s_lshr_b32 s22, s2, 8
	s_delay_alu instid0(VALU_DEP_1) | instid1(SALU_CYCLE_1)
	v_cmpx_gt_u32_e64 s22, v15
	s_cbranch_execz .LBB129_26
; %bb.1:
	s_load_b128 s[12:15], s[0:1], 0x0
	v_lshl_add_u32 v0, v13, 5, v9
	v_bfe_u32 v3, v9, 2, 2
	v_lshlrev_b32_e32 v2, 1, v9
	v_dual_mov_b32 v12, 0 :: v_dual_and_b32 v11, 3, v9
	s_delay_alu instid0(VALU_DEP_4) | instskip(NEXT) | instid1(VALU_DEP_4)
	v_lshrrev_b32_e32 v4, 4, v0
	v_mul_hi_u32_u24_e32 v1, 0x48, v3
	v_mul_u32_u24_e32 v0, 0x48, v3
	s_mul_hi_u32 s7, s7, s19
	s_mul_hi_u32 s11, s11, s20
	s_mul_i32 s2, s17, s20
	s_mov_b32 s3, 0
	s_add_co_i32 s7, s19, s7
	v_lshlrev_b32_e32 v18, 2, v11
	v_lshlrev_b32_e32 v23, 2, v11
	v_mov_b32_e32 v11, 0
	v_bfe_u32 v10, v2, 3, 2
	v_dual_mov_b32 v8, 0 :: v_dual_and_b32 v5, 30, v2
	v_mad_co_u64_u32 v[2:3], null, 0x120, v4, v[0:1]
	s_add_co_i32 s11, s20, s11
	s_mul_u64 s[26:27], s[2:3], 36
	s_mul_i32 s2, s9, s19
	s_lshr_b32 s7, s7, s23
	s_lshr_b32 s11, s11, s24
	s_mul_u64 s[24:25], s[2:3], 36
	s_mul_i32 s7, s7, s8
	s_wait_kmcnt 0x0
	s_add_nc_u64 s[8:9], s[14:15], s[26:27]
	v_dual_mov_b32 v14, 0 :: v_dual_lshlrev_b32 v7, 3, v15
	s_add_nc_u64 s[8:9], s[8:9], s[24:25]
	v_lshlrev_b32_e32 v0, 1, v10
	v_add_co_u32 v2, s2, s8, v2
	s_delay_alu instid0(VALU_DEP_1)
	v_add_co_ci_u32_e64 v3, null, s9, v3, s2
	v_cmp_lt_u32_e32 vcc_lo, 15, v5
	v_mad_co_u64_u32 v[4:5], null, s5, 3, v[7:8]
	v_mad_co_u64_u32 v[0:1], null, v0, 36, s[8:9]
	;; [unrolled: 1-line block ×3, first 2 shown]
	v_add_co_u32 v2, s2, v2, 36
	s_mul_i32 s4, s4, ttmp9
	v_lshlrev_b32_e32 v17, 5, v10
	v_add_co_ci_u32_e64 v3, null, 0, v3, s2
	v_lshl_add_u32 v19, s5, 1, v7
	v_lshl_add_u32 v20, s5, 2, v7
	v_dual_mov_b32 v16, 0 :: v_dual_add_nc_u32 v21, s5, v7
	v_lshlrev_b32_e32 v22, 1, v10
	v_mov_b32_e32 v10, 0
	s_mul_i32 s11, s11, s16
	s_wait_alu 0xfffe
	s_add_co_i32 s7, s7, s4
	s_delay_alu instid0(SALU_CYCLE_1)
	s_add_co_i32 s4, s11, s7
	s_branch .LBB129_3
.LBB129_2:                              ;   in Loop: Header=BB129_3 Depth=1
	s_wait_alu 0xfffe
	s_or_b32 exec_lo, exec_lo, s2
	s_wait_loadcnt 0x26
	v_and_b32_e32 v6, 0xf0f0f0f, v51
	v_lshrrev_b32_e32 v51, 4, v51
	s_wait_loadcnt 0x25
	v_and_b32_e32 v7, 0xf0f0f0f, v49
	v_lshrrev_b32_e32 v49, 4, v49
	s_wait_loadcnt 0xa
	v_dot4_i32_iu8 v54, 0x1010101, v73, 0 neg_lo:[1,1,0]
	v_dot4_i32_iu8 v73, v6, v73, 0 neg_lo:[1,1,0]
	v_and_b32_e32 v51, 0xf0f0f0f, v51
	v_and_b32_e32 v75, 0xff, v56
	;; [unrolled: 1-line block ×3, first 2 shown]
	s_wait_loadcnt 0x9
	v_dot4_i32_iu8 v54, 0x1010101, v69, v54 neg_lo:[1,1,0]
	v_dot4_i32_iu8 v69, v7, v69, v73 neg_lo:[1,1,0]
	s_wait_loadcnt 0x8
	v_dot4_i32_iu8 v73, 0x1010101, v70, 0 neg_lo:[1,1,0]
	v_dot4_i32_iu8 v70, v51, v70, 0 neg_lo:[1,1,0]
	v_lshrrev_b16 v56, 8, v56
	v_and_b32_e32 v74, 0xff, v58
	v_lshrrev_b16 v58, 8, v58
	s_wait_loadcnt 0x7
	v_dot4_i32_iu8 v73, 0x1010101, v68, v73 neg_lo:[1,1,0]
	v_dot4_i32_iu8 v68, v49, v68, v70 neg_lo:[1,1,0]
	v_and_b32_e32 v56, 0xffff, v56
	v_and_b32_e32 v74, 0xffff, v74
	;; [unrolled: 1-line block ×3, first 2 shown]
	v_add_nc_u32_e32 v15, 2, v15
	v_add_co_u32 v2, s2, 0x240, v2
	v_mul_lo_u32 v56, v68, v56
	v_lshrrev_b32_e32 v68, 16, v24
	v_mul_lo_u32 v54, v54, v74
	v_mul_lo_u32 v58, v73, v58
	s_wait_alu 0xf1ff
	v_add_co_ci_u32_e64 v3, null, 0, v3, s2
	v_cvt_f32_f16_e32 v68, v68
	v_and_b32_e32 v75, 0xffff, v75
	v_cvt_f32_i32_e32 v56, v56
	v_cmp_le_u32_e64 s2, s22, v15
	v_cvt_f32_i32_e32 v54, v54
	v_cvt_f32_i32_e32 v58, v58
	v_mul_lo_u32 v69, v69, v75
	v_add_nc_u32_e32 v19, 16, v19
	v_add_nc_u32_e32 v4, 16, v4
	v_fma_mix_f32 v54, v64, v54, 0 op_sel_hi:[1,0,0]
	v_add_nc_u32_e32 v20, 16, v20
	v_add_nc_u32_e32 v5, 16, v5
	;; [unrolled: 1-line block ×3, first 2 shown]
	s_or_b32 s3, s2, s3
	v_cvt_f32_i32_e32 v69, v69
	s_wait_loadcnt 0x6
	v_fma_mix_f32 v54, v66, v58, v54 op_sel_hi:[1,0,0]
	s_wait_loadcnt 0x4
	v_dot4_i32_iu8 v58, 0x1010101, v72, 0 neg_lo:[1,1,0]
	v_fma_mix_f32 v64, v64, v69, 0 op_sel_hi:[1,0,0]
	s_delay_alu instid0(VALU_DEP_3) | instskip(SKIP_1) | instid1(VALU_DEP_3)
	v_dual_mul_f32 v54, v54, v68 :: v_dual_and_b32 v69, 0xff, v62
	v_lshrrev_b16 v62, 8, v62
	v_fma_mix_f32 v56, v66, v56, v64 op_sel_hi:[1,0,0]
	v_and_b32_e32 v66, 0xff, v61
	v_lshrrev_b16 v61, 8, v61
	v_dot4_i32_iu8 v64, v6, v72, 0 neg_lo:[1,1,0]
	s_delay_alu instid0(VALU_DEP_4)
	v_fma_mix_f32 v54, v56, v24, -v54 op_sel_hi:[0,1,0]
	s_wait_loadcnt 0x3
	v_dot4_i32_iu8 v56, 0x1010101, v71, v58 neg_lo:[1,1,0]
	v_dot4_i32_iu8 v58, v6, v63, 0 neg_lo:[1,1,0]
	v_and_b32_e32 v61, 0xffff, v61
	v_dot4_i32_iu8 v64, v7, v71, v64 neg_lo:[1,1,0]
	v_add_f32_e32 v10, v10, v54
	v_dot4_i32_iu8 v54, 0x1010101, v63, 0 neg_lo:[1,1,0]
	v_dot4_i32_iu8 v63, v51, v59, 0 neg_lo:[1,1,0]
	;; [unrolled: 1-line block ×4, first 2 shown]
	s_delay_alu instid0(VALU_DEP_4) | instskip(NEXT) | instid1(VALU_DEP_4)
	v_dot4_i32_iu8 v54, 0x1010101, v60, v54 neg_lo:[1,1,0]
	v_dot4_i32_iu8 v60, v49, v57, v63 neg_lo:[1,1,0]
	v_and_b32_e32 v63, 0xffff, v66
	v_and_b32_e32 v66, 0xffff, v69
	v_dot4_i32_iu8 v57, 0x1010101, v57, v59 neg_lo:[1,1,0]
	v_and_b32_e32 v59, 0xffff, v62
	v_mul_lo_u32 v60, v60, v61
	v_mul_lo_u32 v58, v58, v63
	;; [unrolled: 1-line block ×3, first 2 shown]
	s_wait_loadcnt 0x2
	v_dot4_i32_iu8 v63, v51, v67, 0 neg_lo:[1,1,0]
	v_mul_lo_u32 v57, v57, v59
	v_dot4_i32_iu8 v59, v6, v50, 0 neg_lo:[1,1,0]
	v_dot4_i32_iu8 v50, 0x1010101, v50, 0 neg_lo:[1,1,0]
	;; [unrolled: 1-line block ×3, first 2 shown]
	v_cvt_f32_i32_e32 v58, v58
	v_cvt_f32_i32_e32 v54, v54
	v_dot4_i32_iu8 v59, v7, v47, v59 neg_lo:[1,1,0]
	v_cvt_f32_i32_e32 v57, v57
	v_dot4_i32_iu8 v47, 0x1010101, v47, v50 neg_lo:[1,1,0]
	v_fma_mix_f32 v58, v55, v58, 0 op_sel_hi:[1,0,0]
	v_fma_mix_f32 v54, v55, v54, 0 op_sel_hi:[1,0,0]
	v_cvt_f32_i32_e32 v55, v60
	v_and_b32_e32 v60, 0xff, v46
	v_lshrrev_b16 v46, 8, v46
	s_wait_loadcnt 0x1
	v_dot4_i32_iu8 v62, 0x1010101, v65, v66 neg_lo:[1,1,0]
	v_fma_mix_f32 v54, v53, v57, v54 op_sel_hi:[1,0,0]
	v_dot4_i32_iu8 v57, 0x1010101, v43, 0 neg_lo:[1,1,0]
	v_and_b32_e32 v50, 0xffff, v60
	v_fma_mix_f32 v53, v53, v55, v58 op_sel_hi:[1,0,0]
	v_dot4_i32_iu8 v43, v51, v43, 0 neg_lo:[1,1,0]
	v_mul_f32_e32 v54, v54, v68
	v_dot4_i32_iu8 v61, v49, v65, v63 neg_lo:[1,1,0]
	v_and_b32_e32 v63, 0xff, v48
	v_lshrrev_b16 v48, 8, v48
	v_mul_lo_u32 v50, v59, v50
	v_dot4_i32_iu8 v55, 0x1010101, v42, v57 neg_lo:[1,1,0]
	v_dot4_i32_iu8 v42, v49, v42, v43 neg_lo:[1,1,0]
	v_and_b32_e32 v60, 0xffff, v63
	v_and_b32_e32 v48, 0xffff, v48
	;; [unrolled: 1-line block ×3, first 2 shown]
	s_delay_alu instid0(VALU_DEP_3) | instskip(SKIP_1) | instid1(VALU_DEP_4)
	v_mul_lo_u32 v47, v47, v60
	v_cvt_f32_i32_e32 v50, v50
	v_mul_lo_u32 v48, v55, v48
	s_delay_alu instid0(VALU_DEP_4) | instskip(NEXT) | instid1(VALU_DEP_3)
	v_mul_lo_u32 v42, v42, v43
	v_fma_mix_f32 v46, v41, v50, 0 op_sel_hi:[1,0,0]
	v_dot4_i32_iu8 v50, v51, v35, 0 neg_lo:[1,1,0]
	v_cvt_f32_i32_e32 v47, v47
	v_dot4_i32_iu8 v35, 0x1010101, v35, 0 neg_lo:[1,1,0]
	v_cvt_f32_i32_e32 v43, v48
	v_and_b32_e32 v48, 0xff, v37
	v_lshrrev_b16 v37, 8, v37
	v_fma_mix_f32 v41, v41, v47, 0 op_sel_hi:[1,0,0]
	v_dot4_i32_iu8 v47, v6, v39, 0 neg_lo:[1,1,0]
	v_dot4_i32_iu8 v39, 0x1010101, v39, 0 neg_lo:[1,1,0]
	v_and_b32_e32 v48, 0xffff, v48
	v_dot4_i32_iu8 v6, v6, v31, 0 neg_lo:[1,1,0]
	s_delay_alu instid0(VALU_DEP_4) | instskip(NEXT) | instid1(VALU_DEP_4)
	v_dot4_i32_iu8 v47, v7, v36, v47 neg_lo:[1,1,0]
	v_dot4_i32_iu8 v36, 0x1010101, v36, v39 neg_lo:[1,1,0]
	v_and_b32_e32 v39, 0xff, v38
	v_lshrrev_b16 v38, 8, v38
	v_dot4_i32_iu8 v6, v7, v30, v6 neg_lo:[1,1,0]
	v_mul_lo_u32 v47, v47, v48
	v_dot4_i32_iu8 v48, v49, v34, v50 neg_lo:[1,1,0]
	v_and_b32_e32 v39, 0xffff, v39
	v_dot4_i32_iu8 v34, 0x1010101, v34, v35 neg_lo:[1,1,0]
	v_dot4_i32_iu8 v7, 0x1010101, v31, 0 neg_lo:[1,1,0]
	v_bfe_u32 v31, v28, 16, 8
	s_delay_alu instid0(VALU_DEP_4)
	v_mul_lo_u32 v35, v36, v39
	v_and_b32_e32 v36, 0xffff, v37
	v_and_b32_e32 v37, 0xffff, v38
	v_cvt_f32_i32_e32 v38, v42
	v_fma_mix_f32 v39, v40, v43, v41 op_sel_hi:[1,0,0]
	v_cvt_f32_i32_e32 v41, v47
	v_mul_lo_u32 v36, v48, v36
	v_mul_lo_u32 v34, v34, v37
	v_cvt_f32_i32_e32 v35, v35
	v_fma_mix_f32 v37, v40, v38, v46 op_sel_hi:[1,0,0]
	v_mul_f32_e32 v38, v39, v68
	v_fma_mix_f32 v39, v33, v41, 0 op_sel_hi:[1,0,0]
	v_dot4_i32_iu8 v7, 0x1010101, v30, v7 neg_lo:[1,1,0]
	v_fma_mix_f32 v33, v33, v35, 0 op_sel_hi:[1,0,0]
	v_cvt_f32_i32_e32 v35, v36
	v_cvt_f32_i32_e32 v34, v34
	v_mul_lo_u32 v6, v6, v31
	v_lshrrev_b16 v30, 8, v28
	s_delay_alu instid0(VALU_DEP_4) | instskip(NEXT) | instid1(VALU_DEP_4)
	v_fma_mix_f32 v35, v32, v35, v39 op_sel_hi:[1,0,0]
	v_fma_mix_f32 v32, v32, v34, v33 op_sel_hi:[1,0,0]
	v_dot4_i32_iu8 v33, v51, v29, 0 neg_lo:[1,1,0]
	v_dot4_i32_iu8 v29, 0x1010101, v29, 0 neg_lo:[1,1,0]
	v_and_b32_e32 v34, 0xff00ff, v52
	v_cvt_f32_i32_e32 v6, v6
	s_delay_alu instid0(VALU_DEP_4)
	v_dot4_i32_iu8 v31, v49, v27, v33 neg_lo:[1,1,0]
	v_and_b32_e32 v33, 0xff, v28
	v_dot4_i32_iu8 v27, 0x1010101, v27, v29 neg_lo:[1,1,0]
	v_and_b32_e32 v29, 0xffff, v30
	v_lshrrev_b32_e32 v30, 16, v34
	v_and_b32_e32 v34, 0xff, v34
	v_mul_lo_u32 v7, v7, v33
	v_pk_lshrrev_b16 v33, 8, v52 op_sel_hi:[0,1]
	v_lshrrev_b32_e32 v28, 24, v28
	v_mul_lo_u32 v30, v56, v30
	v_mul_lo_u32 v27, v27, v29
	;; [unrolled: 1-line block ×3, first 2 shown]
	v_lshrrev_b32_e32 v36, 16, v33
	v_and_b32_e32 v33, 0xff, v33
	v_cvt_f32_i32_e32 v7, v7
	v_fma_mix_f32 v6, v26, v6, 0 op_sel_hi:[1,0,0]
	v_mul_lo_u32 v28, v31, v28
	v_mul_lo_u32 v34, v62, v36
	v_cvt_f32_i32_e32 v30, v30
	v_fma_mix_f32 v7, v26, v7, 0 op_sel_hi:[1,0,0]
	v_mul_lo_u32 v26, v61, v33
	v_cvt_f32_i32_e32 v27, v27
	v_cvt_f32_i32_e32 v29, v29
	v_fma_mix_f32 v30, v44, v30, 0 op_sel_hi:[1,0,0]
	v_cvt_f32_i32_e32 v28, v28
	v_cvt_f32_i32_e32 v31, v34
	v_fma_mix_f32 v7, v25, v27, v7 op_sel_hi:[1,0,0]
	v_fma_mix_f32 v27, v44, v29, 0 op_sel_hi:[1,0,0]
	v_cvt_f32_i32_e32 v26, v26
	v_fma_mix_f32 v6, v25, v28, v6 op_sel_hi:[1,0,0]
	s_wait_loadcnt 0x0
	v_fma_mix_f32 v29, v45, v31, v30 op_sel_hi:[1,0,0]
	v_mul_f32_e32 v30, v32, v68
	v_mul_f32_e32 v7, v7, v68
	v_fma_mix_f32 v25, v45, v26, v27 op_sel_hi:[1,0,0]
	v_fma_mix_f32 v27, v53, v24, -v54 op_sel_hi:[0,1,0]
	v_mul_f32_e32 v26, v29, v68
	v_fma_mix_f32 v28, v37, v24, -v38 op_sel_hi:[0,1,0]
	v_fma_mix_f32 v29, v35, v24, -v30 op_sel_hi:[0,1,0]
	;; [unrolled: 1-line block ×3, first 2 shown]
	v_add_f32_e32 v11, v11, v27
	v_fma_mix_f32 v7, v25, v24, -v26 op_sel_hi:[0,1,0]
	v_add_f32_e32 v12, v12, v28
	v_add_f32_e32 v14, v14, v29
	;; [unrolled: 1-line block ×3, first 2 shown]
	s_delay_alu instid0(VALU_DEP_4)
	v_add_f32_e32 v8, v8, v7
	s_wait_alu 0xfffe
	s_and_not1_b32 exec_lo, exec_lo, s3
	s_cbranch_execz .LBB129_25
.LBB129_3:                              ; =>This Inner Loop Header: Depth=1
	s_wait_alu 0xfffe
	v_add_nc_u32_e32 v6, s4, v15
                                        ; implicit-def: $vgpr54
	s_delay_alu instid0(VALU_DEP_1) | instskip(NEXT) | instid1(VALU_DEP_1)
	v_mad_co_i64_i32 v[6:7], null, 0x90, v6, s[12:13]
	v_add_co_u32 v24, s2, v6, v17
	s_wait_alu 0xf1ff
	s_delay_alu instid0(VALU_DEP_2) | instskip(NEXT) | instid1(VALU_DEP_2)
	v_add_co_ci_u32_e64 v25, null, 0, v7, s2
	v_add_co_u32 v24, s2, v24, v18
	s_wait_alu 0xf1ff
	s_delay_alu instid0(VALU_DEP_2)
	v_add_co_ci_u32_e64 v25, null, 0, v25, s2
	v_add_co_u32 v27, s2, v2, v18
	s_wait_alu 0xf1ff
	v_add_co_ci_u32_e64 v28, null, 0, v3, s2
	s_clause 0x2
	global_load_b32 v51, v[24:25], off offset:16
	global_load_b32 v49, v[24:25], off offset:32
	global_load_b32 v24, v[6:7], off
	s_clause 0x5
	global_load_b32 v26, v[2:3], off offset:-36
	global_load_b32 v25, v[2:3], off
	global_load_b32 v31, v[27:28], off offset:-32
	global_load_b32 v30, v[27:28], off offset:-16
	global_load_b32 v29, v[27:28], off offset:4
	global_load_b32 v27, v[27:28], off offset:20
	v_add_co_u32 v6, s2, v6, v22
	s_wait_alu 0xf1ff
	v_add_co_ci_u32_e64 v7, null, 0, v7, s2
                                        ; implicit-def: $vgpr28
	s_and_saveexec_b32 s2, vcc_lo
	s_wait_alu 0xfffe
	s_xor_b32 s2, exec_lo, s2
	s_cbranch_execz .LBB129_5
; %bb.4:                                ;   in Loop: Header=BB129_3 Depth=1
	s_clause 0x1
	global_load_u16 v28, v[6:7], off offset:8
	global_load_u16 v32, v[6:7], off offset:4
	s_wait_loadcnt 0x1
	v_mov_b32_e32 v33, v28
	s_wait_loadcnt 0x0
	v_perm_b32 v54, v28, v32, 0x5040100
	s_delay_alu instid0(VALU_DEP_1) | instskip(NEXT) | instid1(VALU_DEP_1)
	v_pk_lshrrev_b16 v28, 2, v54
	v_and_b32_e32 v28, 0xf0f3030, v28
	global_load_d16_hi_b16 v33, v[6:7], off
	s_wait_loadcnt 0x0
	v_pk_lshrrev_b16 v32, 0x20004, v33
	s_delay_alu instid0(VALU_DEP_1)
	v_and_or_b32 v28, 0x30300f0f, v32, v28
.LBB129_5:                              ;   in Loop: Header=BB129_3 Depth=1
	s_wait_alu 0xfffe
	s_and_not1_saveexec_b32 s2, s2
	s_cbranch_execz .LBB129_7
; %bb.6:                                ;   in Loop: Header=BB129_3 Depth=1
	s_clause 0x1
	global_load_u16 v32, v[6:7], off offset:4
	global_load_u16 v33, v[6:7], off offset:8
	s_wait_loadcnt 0x0
	v_perm_b32 v28, v32, v33, 0x5040100
	v_perm_b32 v54, v33, v32, 0x5040100
	s_delay_alu instid0(VALU_DEP_2)
	v_and_b32_e32 v28, 0x3f3f3f3f, v28
.LBB129_7:                              ;   in Loop: Header=BB129_3 Depth=1
	s_wait_alu 0xfffe
	s_or_b32 exec_lo, exec_lo, s2
	v_mad_co_u64_u32 v[37:38], null, v21, 36, v[0:1]
	v_lshrrev_b32_e32 v64, 16, v54
	v_lshrrev_b16 v52, 2, v54
	s_delay_alu instid0(VALU_DEP_2) | instskip(NEXT) | instid1(VALU_DEP_4)
	v_and_b32_e32 v44, 0xf0f, v64
	v_add_co_u32 v40, s2, v37, v23
	s_wait_alu 0xf1ff
	v_add_co_ci_u32_e64 v41, null, 0, v38, s2
	s_clause 0x5
	global_load_b32 v33, v[37:38], off
	global_load_b32 v39, v[40:41], off offset:4
	global_load_b32 v36, v[40:41], off offset:20
	;; [unrolled: 1-line block ×5, first 2 shown]
	v_lshrrev_b32_e32 v37, 20, v54
                                        ; implicit-def: $vgpr38
	s_delay_alu instid0(VALU_DEP_1)
	v_and_b32_e32 v45, 0xf0f, v37
                                        ; implicit-def: $vgpr37
	s_and_saveexec_b32 s2, vcc_lo
	s_wait_alu 0xfffe
	s_xor_b32 s2, exec_lo, s2
	s_cbranch_execz .LBB129_9
; %bb.8:                                ;   in Loop: Header=BB129_3 Depth=1
	global_load_u16 v37, v[6:7], off
	v_and_b32_e32 v38, 0x3030, v52
	s_delay_alu instid0(VALU_DEP_1) | instskip(SKIP_2) | instid1(VALU_DEP_1)
	v_or_b32_e32 v38, v38, v45
	s_wait_loadcnt 0x0
	v_lshrrev_b16 v37, 2, v37
	v_and_b32_e32 v37, 0x3030, v37
	s_delay_alu instid0(VALU_DEP_1)
	v_or_b32_e32 v37, v37, v44
.LBB129_9:                              ;   in Loop: Header=BB129_3 Depth=1
	s_wait_alu 0xfffe
	s_or_saveexec_b32 s2, s2
	v_and_b32_e32 v56, 0x3f3f, v54
	v_and_b32_e32 v58, 0x3f3f, v64
	s_wait_alu 0xfffe
	s_xor_b32 exec_lo, exec_lo, s2
; %bb.10:                               ;   in Loop: Header=BB129_3 Depth=1
	v_and_b32_e32 v37, 0x3f3f, v54
	v_and_b32_e32 v38, 0x3f3f, v64
; %bb.11:                               ;   in Loop: Header=BB129_3 Depth=1
	s_or_b32 exec_lo, exec_lo, s2
	v_mad_co_u64_u32 v[59:60], null, v19, 36, v[0:1]
                                        ; implicit-def: $vgpr46
                                        ; implicit-def: $vgpr48
	s_delay_alu instid0(VALU_DEP_1) | instskip(SKIP_1) | instid1(VALU_DEP_2)
	v_add_co_u32 v61, s2, v59, v23
	s_wait_alu 0xf1ff
	v_add_co_ci_u32_e64 v62, null, 0, v60, s2
	s_clause 0x5
	global_load_b32 v41, v[59:60], off
	global_load_b32 v50, v[61:62], off offset:4
	global_load_b32 v47, v[61:62], off offset:20
	;; [unrolled: 1-line block ×5, first 2 shown]
	s_and_saveexec_b32 s2, vcc_lo
	s_wait_alu 0xfffe
	s_xor_b32 s2, exec_lo, s2
	s_cbranch_execz .LBB129_13
; %bb.12:                               ;   in Loop: Header=BB129_3 Depth=1
	global_load_u16 v46, v[6:7], off
	v_and_b32_e32 v48, 0x3030, v52
	s_delay_alu instid0(VALU_DEP_1) | instskip(SKIP_2) | instid1(VALU_DEP_1)
	v_or_b32_e32 v48, v48, v45
	s_wait_loadcnt 0x0
	v_lshrrev_b16 v46, 2, v46
	v_and_b32_e32 v46, 0x3030, v46
	s_delay_alu instid0(VALU_DEP_1)
	v_or_b32_e32 v46, v46, v44
.LBB129_13:                             ;   in Loop: Header=BB129_3 Depth=1
	s_wait_alu 0xfffe
	s_and_not1_saveexec_b32 s2, s2
; %bb.14:                               ;   in Loop: Header=BB129_3 Depth=1
	v_and_b32_e32 v46, 0x3f3f, v54
	v_and_b32_e32 v48, 0x3f3f, v64
; %bb.15:                               ;   in Loop: Header=BB129_3 Depth=1
	s_wait_alu 0xfffe
	s_or_b32 exec_lo, exec_lo, s2
	v_mad_co_u64_u32 v[61:62], null, v4, 36, v[0:1]
	s_delay_alu instid0(VALU_DEP_1) | instskip(SKIP_1) | instid1(VALU_DEP_2)
	v_add_co_u32 v65, s2, v61, v23
	s_wait_alu 0xf1ff
	v_add_co_ci_u32_e64 v66, null, 0, v62, s2
	s_clause 0x5
	global_load_b32 v55, v[61:62], off
	global_load_b32 v63, v[65:66], off offset:4
	global_load_b32 v60, v[65:66], off offset:20
	;; [unrolled: 1-line block ×5, first 2 shown]
                                        ; implicit-def: $vgpr61
                                        ; implicit-def: $vgpr62
	s_and_saveexec_b32 s2, vcc_lo
	s_wait_alu 0xfffe
	s_xor_b32 s2, exec_lo, s2
	s_cbranch_execz .LBB129_17
; %bb.16:                               ;   in Loop: Header=BB129_3 Depth=1
	global_load_u16 v61, v[6:7], off
	v_and_b32_e32 v62, 0x3030, v52
                                        ; implicit-def: $vgpr64
	s_delay_alu instid0(VALU_DEP_1) | instskip(SKIP_2) | instid1(VALU_DEP_1)
	v_or_b32_e32 v62, v62, v45
	s_wait_loadcnt 0x0
	v_lshrrev_b16 v61, 2, v61
	v_and_b32_e32 v61, 0x3030, v61
	s_delay_alu instid0(VALU_DEP_1)
	v_or_b32_e32 v61, v61, v44
.LBB129_17:                             ;   in Loop: Header=BB129_3 Depth=1
	s_wait_alu 0xfffe
	s_and_not1_saveexec_b32 s2, s2
; %bb.18:                               ;   in Loop: Header=BB129_3 Depth=1
	v_and_b32_e32 v61, 0x3f3f, v54
	v_and_b32_e32 v62, 0x3f3f, v64
; %bb.19:                               ;   in Loop: Header=BB129_3 Depth=1
	s_wait_alu 0xfffe
	s_or_b32 exec_lo, exec_lo, s2
	v_mad_co_u64_u32 v[65:66], null, v20, 36, v[0:1]
	s_delay_alu instid0(VALU_DEP_1) | instskip(SKIP_1) | instid1(VALU_DEP_2)
	v_add_co_u32 v67, s2, v65, v23
	s_wait_alu 0xf1ff
	v_add_co_ci_u32_e64 v68, null, 0, v66, s2
	s_clause 0x5
	global_load_b32 v64, v[65:66], off
	global_load_b32 v73, v[67:68], off offset:4
	global_load_b32 v69, v[67:68], off offset:20
	global_load_b32 v70, v[67:68], off offset:40
	global_load_b32 v68, v[67:68], off offset:56
	global_load_b32 v66, v[65:66], off offset:36
	s_and_saveexec_b32 s2, vcc_lo
	s_wait_alu 0xfffe
	s_xor_b32 s2, exec_lo, s2
	s_cbranch_execz .LBB129_21
; %bb.20:                               ;   in Loop: Header=BB129_3 Depth=1
	global_load_u16 v56, v[6:7], off
	v_and_b32_e32 v52, 0x3030, v52
	s_delay_alu instid0(VALU_DEP_1) | instskip(SKIP_2) | instid1(VALU_DEP_1)
	v_or_b32_e32 v58, v52, v45
	s_wait_loadcnt 0x0
	v_lshrrev_b16 v56, 2, v56
	v_and_b32_e32 v56, 0x3030, v56
	s_delay_alu instid0(VALU_DEP_1)
	v_or_b32_e32 v56, v56, v44
.LBB129_21:                             ;   in Loop: Header=BB129_3 Depth=1
	s_wait_alu 0xfffe
	s_and_not1_saveexec_b32 s2, s2
	s_wait_alu 0xfffe
	s_or_b32 exec_lo, exec_lo, s2
	v_mad_co_u64_u32 v[74:75], null, v5, 36, v[0:1]
                                        ; implicit-def: $vgpr52
	s_delay_alu instid0(VALU_DEP_1) | instskip(SKIP_1) | instid1(VALU_DEP_2)
	v_add_co_u32 v76, s2, v74, v23
	s_wait_alu 0xf1ff
	v_add_co_ci_u32_e64 v77, null, 0, v75, s2
	s_clause 0x5
	global_load_b32 v44, v[74:75], off
	global_load_b32 v72, v[76:77], off offset:4
	global_load_b32 v71, v[76:77], off offset:20
	;; [unrolled: 1-line block ×5, first 2 shown]
	s_and_saveexec_b32 s2, vcc_lo
	s_wait_alu 0xfffe
	s_xor_b32 s2, exec_lo, s2
	s_cbranch_execz .LBB129_23
; %bb.22:                               ;   in Loop: Header=BB129_3 Depth=1
	global_load_u16 v6, v[6:7], off
	v_pk_lshrrev_b16 v7, 4, v54 op_sel:[1,1] op_sel_hi:[0,1]
	s_delay_alu instid0(VALU_DEP_1) | instskip(SKIP_2) | instid1(VALU_DEP_1)
	v_and_b32_e32 v7, 0xf0f0f0f, v7
	s_wait_loadcnt 0x0
	v_perm_b32 v6, v54, v6, 0x5040100
                                        ; implicit-def: $vgpr54
	v_pk_lshrrev_b16 v6, 2, v6 op_sel_hi:[0,1]
	s_delay_alu instid0(VALU_DEP_1)
	v_and_or_b32 v52, 0x30303030, v6, v7
.LBB129_23:                             ;   in Loop: Header=BB129_3 Depth=1
	s_wait_alu 0xfffe
	s_and_not1_saveexec_b32 s2, s2
	s_cbranch_execz .LBB129_2
; %bb.24:                               ;   in Loop: Header=BB129_3 Depth=1
	v_and_b32_e32 v52, 0x3f3f3f3f, v54
	s_branch .LBB129_2
.LBB129_25:
	s_or_b32 exec_lo, exec_lo, s3
.LBB129_26:
	s_delay_alu instid0(SALU_CYCLE_1)
	s_or_b32 exec_lo, exec_lo, s21
	s_mov_b32 s3, 0
	; wave barrier
	global_inv scope:SCOPE_SE
	s_mov_b32 s2, exec_lo
	v_cmpx_eq_u32_e32 0, v13
	s_cbranch_execz .LBB129_39
; %bb.27:
	v_mbcnt_lo_u32_b32 v4, -1, 0
	s_load_b64 s[0:1], s[0:1], 0x38
	s_mul_i32 s2, s10, s19
	s_mul_i32 s4, s18, s20
	s_wait_alu 0xfffe
	s_add_co_i32 s2, s2, ttmp9
	v_xor_b32_e32 v0, 16, v4
	v_xor_b32_e32 v1, 8, v4
	;; [unrolled: 1-line block ×3, first 2 shown]
	s_wait_alu 0xfffe
	s_add_co_i32 s2, s2, s4
	s_wait_alu 0xfffe
	s_lshl_b64 s[2:3], s[2:3], 2
	v_cmp_gt_i32_e32 vcc_lo, 32, v0
	v_cndmask_b32_e32 v0, v4, v0, vcc_lo
	v_cmp_gt_i32_e32 vcc_lo, 32, v1
	s_wait_kmcnt 0x0
	s_wait_alu 0xfffe
	s_add_nc_u64 s[0:1], s[0:1], s[2:3]
	s_wait_alu 0xfffd
	v_cndmask_b32_e32 v1, v4, v1, vcc_lo
	s_delay_alu instid0(VALU_DEP_1)
	v_lshlrev_b32_e32 v1, 2, v1
	v_lshlrev_b32_e32 v0, 2, v0
	ds_bpermute_b32 v2, v0, v16
	s_wait_dscnt 0x0
	v_add_f32_e32 v3, v16, v2
	v_xor_b32_e32 v2, 4, v4
	ds_bpermute_b32 v5, v1, v3
	v_cmp_gt_i32_e32 vcc_lo, 32, v2
	s_wait_dscnt 0x0
	s_wait_alu 0xfffd
	v_dual_cndmask_b32 v2, v4, v2 :: v_dual_add_f32 v5, v3, v5
	s_delay_alu instid0(VALU_DEP_1)
	v_lshlrev_b32_e32 v2, 2, v2
	v_xor_b32_e32 v3, 2, v4
	ds_bpermute_b32 v6, v2, v5
	v_cmp_gt_i32_e32 vcc_lo, 32, v3
	s_wait_alu 0xfffd
	v_cndmask_b32_e32 v3, v4, v3, vcc_lo
	v_cmp_gt_i32_e32 vcc_lo, 32, v7
	s_wait_alu 0xfffd
	v_cndmask_b32_e32 v4, v4, v7, vcc_lo
	v_cmp_eq_u32_e32 vcc_lo, 0, v9
	s_delay_alu instid0(VALU_DEP_2)
	v_lshlrev_b32_e32 v4, 2, v4
	v_lshlrev_b32_e32 v3, 2, v3
	s_wait_dscnt 0x0
	v_add_f32_e32 v5, v5, v6
	ds_bpermute_b32 v6, v3, v5
	s_wait_dscnt 0x0
	v_add_f32_e32 v5, v5, v6
	ds_bpermute_b32 v6, v4, v5
	s_and_saveexec_b32 s2, vcc_lo
	s_cbranch_execz .LBB129_29
; %bb.28:
	s_wait_dscnt 0x0
	v_dual_add_f32 v5, v5, v6 :: v_dual_mov_b32 v6, 0
	global_store_b32 v6, v5, s[0:1]
.LBB129_29:
	s_wait_alu 0xfffe
	s_or_b32 exec_lo, exec_lo, s2
	ds_bpermute_b32 v5, v0, v14
	s_wait_dscnt 0x0
	v_add_f32_e32 v5, v14, v5
	ds_bpermute_b32 v6, v1, v5
	s_wait_dscnt 0x0
	v_add_f32_e32 v5, v5, v6
	ds_bpermute_b32 v6, v2, v5
	s_wait_dscnt 0x0
	v_add_f32_e32 v5, v5, v6
	ds_bpermute_b32 v6, v3, v5
	s_wait_dscnt 0x0
	v_add_f32_e32 v5, v5, v6
	ds_bpermute_b32 v6, v4, v5
	s_and_saveexec_b32 s2, vcc_lo
	s_cbranch_execz .LBB129_31
; %bb.30:
	s_mov_b32 s7, 0
	s_wait_dscnt 0x0
	v_dual_add_f32 v5, v5, v6 :: v_dual_mov_b32 v6, 0
	s_lshl_b64 s[4:5], s[6:7], 2
	s_wait_alu 0xfffe
	s_add_nc_u64 s[4:5], s[0:1], s[4:5]
	global_store_b32 v6, v5, s[4:5]
.LBB129_31:
	s_wait_alu 0xfffe
	s_or_b32 exec_lo, exec_lo, s2
	ds_bpermute_b32 v5, v0, v12
	s_wait_dscnt 0x0
	v_add_f32_e32 v5, v12, v5
	ds_bpermute_b32 v6, v1, v5
	s_wait_dscnt 0x0
	v_add_f32_e32 v5, v5, v6
	;; [unrolled: 3-line block ×4, first 2 shown]
	ds_bpermute_b32 v6, v4, v5
	s_and_saveexec_b32 s2, vcc_lo
	s_cbranch_execz .LBB129_33
; %bb.32:
	s_lshl_b32 s4, s6, 1
	s_mov_b32 s5, 0
	s_wait_dscnt 0x0
	v_dual_add_f32 v5, v5, v6 :: v_dual_mov_b32 v6, 0
	s_wait_alu 0xfffe
	s_lshl_b64 s[4:5], s[4:5], 2
	s_wait_alu 0xfffe
	s_add_nc_u64 s[4:5], s[0:1], s[4:5]
	global_store_b32 v6, v5, s[4:5]
.LBB129_33:
	s_wait_alu 0xfffe
	s_or_b32 exec_lo, exec_lo, s2
	ds_bpermute_b32 v5, v0, v11
	s_wait_dscnt 0x0
	v_add_f32_e32 v5, v11, v5
	ds_bpermute_b32 v6, v1, v5
	s_wait_dscnt 0x0
	v_add_f32_e32 v5, v5, v6
	;; [unrolled: 3-line block ×4, first 2 shown]
	ds_bpermute_b32 v6, v4, v5
	s_and_saveexec_b32 s2, vcc_lo
	s_cbranch_execz .LBB129_35
; %bb.34:
	s_mul_i32 s4, s6, 3
	s_mov_b32 s5, 0
	s_wait_dscnt 0x0
	v_dual_add_f32 v5, v5, v6 :: v_dual_mov_b32 v6, 0
	s_wait_alu 0xfffe
	s_lshl_b64 s[4:5], s[4:5], 2
	s_wait_alu 0xfffe
	s_add_nc_u64 s[4:5], s[0:1], s[4:5]
	global_store_b32 v6, v5, s[4:5]
.LBB129_35:
	s_wait_alu 0xfffe
	s_or_b32 exec_lo, exec_lo, s2
	ds_bpermute_b32 v5, v0, v10
	s_wait_dscnt 0x0
	v_add_f32_e32 v5, v10, v5
	ds_bpermute_b32 v6, v1, v5
	s_wait_dscnt 0x0
	v_add_f32_e32 v5, v5, v6
	;; [unrolled: 3-line block ×4, first 2 shown]
	ds_bpermute_b32 v6, v4, v5
	s_and_saveexec_b32 s2, vcc_lo
	s_cbranch_execz .LBB129_37
; %bb.36:
	s_lshl_b32 s4, s6, 2
	s_mov_b32 s5, 0
	s_wait_dscnt 0x0
	v_dual_add_f32 v5, v5, v6 :: v_dual_mov_b32 v6, 0
	s_wait_alu 0xfffe
	s_lshl_b64 s[4:5], s[4:5], 2
	s_wait_alu 0xfffe
	s_add_nc_u64 s[4:5], s[0:1], s[4:5]
	global_store_b32 v6, v5, s[4:5]
.LBB129_37:
	s_wait_alu 0xfffe
	s_or_b32 exec_lo, exec_lo, s2
	ds_bpermute_b32 v0, v0, v8
	s_wait_dscnt 0x0
	v_add_f32_e32 v0, v8, v0
	ds_bpermute_b32 v1, v1, v0
	s_wait_dscnt 0x0
	v_add_f32_e32 v0, v0, v1
	;; [unrolled: 3-line block ×4, first 2 shown]
	ds_bpermute_b32 v1, v4, v0
	s_and_b32 exec_lo, exec_lo, vcc_lo
	s_cbranch_execz .LBB129_39
; %bb.38:
	s_mul_i32 s2, s6, 5
	s_mov_b32 s3, 0
	s_wait_dscnt 0x0
	v_dual_add_f32 v0, v0, v1 :: v_dual_mov_b32 v1, 0
	s_wait_alu 0xfffe
	s_lshl_b64 s[2:3], s[2:3], 2
	s_wait_alu 0xfffe
	s_add_nc_u64 s[0:1], s[0:1], s[2:3]
	global_store_b32 v1, v0, s[0:1]
.LBB129_39:
	s_endpgm
	.section	.rodata,"a",@progbits
	.p2align	6, 0x0
	.amdhsa_kernel _ZL13mul_mat_vec_qIL9ggml_type12ELi6ELb0ELb0EEvPKvS2_PKi31ggml_cuda_mm_fusion_args_devicePfj15HIP_vector_typeIjLj3EEjjjS8_jjjS8_jjjj
		.amdhsa_group_segment_fixed_size 0
		.amdhsa_private_segment_fixed_size 0
		.amdhsa_kernarg_size 144
		.amdhsa_user_sgpr_count 2
		.amdhsa_user_sgpr_dispatch_ptr 0
		.amdhsa_user_sgpr_queue_ptr 0
		.amdhsa_user_sgpr_kernarg_segment_ptr 1
		.amdhsa_user_sgpr_dispatch_id 0
		.amdhsa_user_sgpr_private_segment_size 0
		.amdhsa_wavefront_size32 1
		.amdhsa_uses_dynamic_stack 0
		.amdhsa_enable_private_segment 0
		.amdhsa_system_sgpr_workgroup_id_x 1
		.amdhsa_system_sgpr_workgroup_id_y 1
		.amdhsa_system_sgpr_workgroup_id_z 1
		.amdhsa_system_sgpr_workgroup_info 0
		.amdhsa_system_vgpr_workitem_id 1
		.amdhsa_next_free_vgpr 78
		.amdhsa_next_free_sgpr 28
		.amdhsa_reserve_vcc 1
		.amdhsa_float_round_mode_32 0
		.amdhsa_float_round_mode_16_64 0
		.amdhsa_float_denorm_mode_32 3
		.amdhsa_float_denorm_mode_16_64 3
		.amdhsa_fp16_overflow 0
		.amdhsa_workgroup_processor_mode 1
		.amdhsa_memory_ordered 1
		.amdhsa_forward_progress 1
		.amdhsa_inst_pref_size 36
		.amdhsa_round_robin_scheduling 0
		.amdhsa_exception_fp_ieee_invalid_op 0
		.amdhsa_exception_fp_denorm_src 0
		.amdhsa_exception_fp_ieee_div_zero 0
		.amdhsa_exception_fp_ieee_overflow 0
		.amdhsa_exception_fp_ieee_underflow 0
		.amdhsa_exception_fp_ieee_inexact 0
		.amdhsa_exception_int_div_zero 0
	.end_amdhsa_kernel
	.section	.text._ZL13mul_mat_vec_qIL9ggml_type12ELi6ELb0ELb0EEvPKvS2_PKi31ggml_cuda_mm_fusion_args_devicePfj15HIP_vector_typeIjLj3EEjjjS8_jjjS8_jjjj,"axG",@progbits,_ZL13mul_mat_vec_qIL9ggml_type12ELi6ELb0ELb0EEvPKvS2_PKi31ggml_cuda_mm_fusion_args_devicePfj15HIP_vector_typeIjLj3EEjjjS8_jjjS8_jjjj,comdat
.Lfunc_end129:
	.size	_ZL13mul_mat_vec_qIL9ggml_type12ELi6ELb0ELb0EEvPKvS2_PKi31ggml_cuda_mm_fusion_args_devicePfj15HIP_vector_typeIjLj3EEjjjS8_jjjS8_jjjj, .Lfunc_end129-_ZL13mul_mat_vec_qIL9ggml_type12ELi6ELb0ELb0EEvPKvS2_PKi31ggml_cuda_mm_fusion_args_devicePfj15HIP_vector_typeIjLj3EEjjjS8_jjjS8_jjjj
                                        ; -- End function
	.set _ZL13mul_mat_vec_qIL9ggml_type12ELi6ELb0ELb0EEvPKvS2_PKi31ggml_cuda_mm_fusion_args_devicePfj15HIP_vector_typeIjLj3EEjjjS8_jjjS8_jjjj.num_vgpr, 78
	.set _ZL13mul_mat_vec_qIL9ggml_type12ELi6ELb0ELb0EEvPKvS2_PKi31ggml_cuda_mm_fusion_args_devicePfj15HIP_vector_typeIjLj3EEjjjS8_jjjS8_jjjj.num_agpr, 0
	.set _ZL13mul_mat_vec_qIL9ggml_type12ELi6ELb0ELb0EEvPKvS2_PKi31ggml_cuda_mm_fusion_args_devicePfj15HIP_vector_typeIjLj3EEjjjS8_jjjS8_jjjj.numbered_sgpr, 28
	.set _ZL13mul_mat_vec_qIL9ggml_type12ELi6ELb0ELb0EEvPKvS2_PKi31ggml_cuda_mm_fusion_args_devicePfj15HIP_vector_typeIjLj3EEjjjS8_jjjS8_jjjj.num_named_barrier, 0
	.set _ZL13mul_mat_vec_qIL9ggml_type12ELi6ELb0ELb0EEvPKvS2_PKi31ggml_cuda_mm_fusion_args_devicePfj15HIP_vector_typeIjLj3EEjjjS8_jjjS8_jjjj.private_seg_size, 0
	.set _ZL13mul_mat_vec_qIL9ggml_type12ELi6ELb0ELb0EEvPKvS2_PKi31ggml_cuda_mm_fusion_args_devicePfj15HIP_vector_typeIjLj3EEjjjS8_jjjS8_jjjj.uses_vcc, 1
	.set _ZL13mul_mat_vec_qIL9ggml_type12ELi6ELb0ELb0EEvPKvS2_PKi31ggml_cuda_mm_fusion_args_devicePfj15HIP_vector_typeIjLj3EEjjjS8_jjjS8_jjjj.uses_flat_scratch, 0
	.set _ZL13mul_mat_vec_qIL9ggml_type12ELi6ELb0ELb0EEvPKvS2_PKi31ggml_cuda_mm_fusion_args_devicePfj15HIP_vector_typeIjLj3EEjjjS8_jjjS8_jjjj.has_dyn_sized_stack, 0
	.set _ZL13mul_mat_vec_qIL9ggml_type12ELi6ELb0ELb0EEvPKvS2_PKi31ggml_cuda_mm_fusion_args_devicePfj15HIP_vector_typeIjLj3EEjjjS8_jjjS8_jjjj.has_recursion, 0
	.set _ZL13mul_mat_vec_qIL9ggml_type12ELi6ELb0ELb0EEvPKvS2_PKi31ggml_cuda_mm_fusion_args_devicePfj15HIP_vector_typeIjLj3EEjjjS8_jjjS8_jjjj.has_indirect_call, 0
	.section	.AMDGPU.csdata,"",@progbits
; Kernel info:
; codeLenInByte = 4600
; TotalNumSgprs: 30
; NumVgprs: 78
; ScratchSize: 0
; MemoryBound: 0
; FloatMode: 240
; IeeeMode: 1
; LDSByteSize: 0 bytes/workgroup (compile time only)
; SGPRBlocks: 0
; VGPRBlocks: 9
; NumSGPRsForWavesPerEU: 30
; NumVGPRsForWavesPerEU: 78
; Occupancy: 16
; WaveLimiterHint : 0
; COMPUTE_PGM_RSRC2:SCRATCH_EN: 0
; COMPUTE_PGM_RSRC2:USER_SGPR: 2
; COMPUTE_PGM_RSRC2:TRAP_HANDLER: 0
; COMPUTE_PGM_RSRC2:TGID_X_EN: 1
; COMPUTE_PGM_RSRC2:TGID_Y_EN: 1
; COMPUTE_PGM_RSRC2:TGID_Z_EN: 1
; COMPUTE_PGM_RSRC2:TIDIG_COMP_CNT: 1
	.section	.text._ZL13mul_mat_vec_qIL9ggml_type12ELi7ELb0ELb0EEvPKvS2_PKi31ggml_cuda_mm_fusion_args_devicePfj15HIP_vector_typeIjLj3EEjjjS8_jjjS8_jjjj,"axG",@progbits,_ZL13mul_mat_vec_qIL9ggml_type12ELi7ELb0ELb0EEvPKvS2_PKi31ggml_cuda_mm_fusion_args_devicePfj15HIP_vector_typeIjLj3EEjjjS8_jjjS8_jjjj,comdat
	.globl	_ZL13mul_mat_vec_qIL9ggml_type12ELi7ELb0ELb0EEvPKvS2_PKi31ggml_cuda_mm_fusion_args_devicePfj15HIP_vector_typeIjLj3EEjjjS8_jjjS8_jjjj ; -- Begin function _ZL13mul_mat_vec_qIL9ggml_type12ELi7ELb0ELb0EEvPKvS2_PKi31ggml_cuda_mm_fusion_args_devicePfj15HIP_vector_typeIjLj3EEjjjS8_jjjS8_jjjj
	.p2align	8
	.type	_ZL13mul_mat_vec_qIL9ggml_type12ELi7ELb0ELb0EEvPKvS2_PKi31ggml_cuda_mm_fusion_args_devicePfj15HIP_vector_typeIjLj3EEjjjS8_jjjS8_jjjj,@function
_ZL13mul_mat_vec_qIL9ggml_type12ELi7ELb0ELb0EEvPKvS2_PKi31ggml_cuda_mm_fusion_args_devicePfj15HIP_vector_typeIjLj3EEjjjS8_jjjS8_jjjj: ; @_ZL13mul_mat_vec_qIL9ggml_type12ELi7ELb0ELb0EEvPKvS2_PKi31ggml_cuda_mm_fusion_args_devicePfj15HIP_vector_typeIjLj3EEjjjS8_jjjS8_jjjj
; %bb.0:
	s_clause 0x5
	s_load_b96 s[16:18], s[0:1], 0x80
	s_load_b32 s12, s[0:1], 0x40
	s_load_b128 s[4:7], s[0:1], 0x50
	s_load_b32 s2, s[0:1], 0x60
	s_load_b128 s[8:11], s[0:1], 0x68
	s_load_b32 s3, s[0:1], 0x78
	v_bfe_u32 v12, v0, 10, 10
	v_dual_mov_b32 v7, 0 :: v_dual_and_b32 v8, 0x3ff, v0
	v_dual_mov_b32 v6, 0 :: v_dual_mov_b32 v9, 0
	v_dual_mov_b32 v10, 0 :: v_dual_mov_b32 v11, 0
	s_delay_alu instid0(VALU_DEP_3)
	v_lshl_or_b32 v0, v12, 5, v8
	v_mov_b32_e32 v13, 0
	v_mov_b32_e32 v15, 0
	s_and_b32 s19, ttmp7, 0xffff
	s_lshr_b32 s22, ttmp7, 16
	v_lshrrev_b32_e32 v14, 4, v0
	s_mov_b32 s23, exec_lo
	s_wait_kmcnt 0x0
	s_lshr_b32 s24, s12, 8
	s_delay_alu instid0(VALU_DEP_1) | instid1(SALU_CYCLE_1)
	v_cmpx_gt_u32_e64 s24, v14
	s_cbranch_execz .LBB130_30
; %bb.1:
	s_load_b128 s[12:15], s[0:1], 0x0
	v_lshl_add_u32 v0, v12, 5, v8
	v_bfe_u32 v3, v8, 2, 2
	v_lshlrev_b32_e32 v2, 1, v8
	s_mul_hi_u32 s7, s7, s19
	s_mul_hi_u32 s11, s11, s22
	v_lshrrev_b32_e32 v5, 4, v0
	v_mul_hi_u32_u24_e32 v1, 0x48, v3
	v_mul_u32_u24_e32 v0, 0x48, v3
	s_mul_i32 s20, s17, s22
	s_mov_b32 s21, 0
	s_add_co_i32 s7, s19, s7
	s_add_co_i32 s11, s22, s11
	v_mad_co_u64_u32 v[0:1], null, 0x120, v5, v[0:1]
	s_mul_u64 s[26:27], s[20:21], 36
	s_mul_i32 s20, s9, s19
	s_lshr_b32 s7, s7, s2
	v_bfe_u32 v7, v2, 3, 2
	s_lshr_b32 s11, s11, s3
	s_mul_u64 s[2:3], s[20:21], 36
	s_mul_i32 s7, s7, s8
	s_wait_kmcnt 0x0
	s_add_nc_u64 s[8:9], s[14:15], s[26:27]
	v_and_b32_e32 v4, 30, v2
	v_dual_mov_b32 v6, 0 :: v_dual_and_b32 v9, 3, v8
	s_add_nc_u64 s[8:9], s[8:9], s[2:3]
	v_dual_mov_b32 v13, 0 :: v_dual_lshlrev_b32 v2, 1, v7
	v_add_co_u32 v3, s2, s8, v0
	s_delay_alu instid0(VALU_DEP_3)
	v_dual_mov_b32 v10, 0 :: v_dual_lshlrev_b32 v17, 2, v9
	v_dual_mov_b32 v9, 0 :: v_dual_lshlrev_b32 v20, 2, v9
	v_cmp_lt_u32_e32 vcc_lo, 15, v4
	v_add_co_ci_u32_e64 v4, null, s9, v1, s2
	v_mad_co_u64_u32 v[0:1], null, v2, 36, s[8:9]
	v_add_co_u32 v2, s2, v3, 36
	s_mul_i32 s4, s4, ttmp9
	v_dual_mov_b32 v11, 0 :: v_dual_lshlrev_b32 v16, 5, v7
	s_wait_alu 0xf1ff
	v_add_co_ci_u32_e64 v3, null, 0, v4, s2
	v_dual_mov_b32 v15, 0 :: v_dual_lshlrev_b32 v18, 3, v14
	v_lshlrev_b32_e32 v19, 1, v7
	v_mov_b32_e32 v7, 0
	s_mul_i32 s11, s11, s16
	s_add_co_i32 s7, s7, s4
	s_mul_i32 s8, s5, 3
	s_add_co_i32 s4, s11, s7
	s_lshl_b32 s7, s5, 1
	s_lshl_b32 s9, s5, 2
	s_mul_i32 s11, s5, 5
	s_mul_i32 s14, s5, 6
	s_branch .LBB130_3
.LBB130_2:                              ;   in Loop: Header=BB130_3 Depth=1
	s_wait_alu 0xfffe
	s_or_b32 exec_lo, exec_lo, s2
	s_wait_loadcnt 0x2c
	v_and_b32_e32 v4, 0xf0f0f0f, v49
	v_lshrrev_b32_e32 v49, 4, v49
	s_wait_loadcnt 0x2b
	v_and_b32_e32 v5, 0xf0f0f0f, v48
	v_lshrrev_b32_e32 v48, 4, v48
	s_wait_loadcnt 0xa
	v_dot4_i32_iu8 v57, 0x1010101, v78, 0 neg_lo:[1,1,0]
	v_dot4_i32_iu8 v78, v4, v78, 0 neg_lo:[1,1,0]
	v_and_b32_e32 v49, 0xf0f0f0f, v49
	v_and_b32_e32 v80, 0xff, v60
	;; [unrolled: 1-line block ×3, first 2 shown]
	s_wait_loadcnt 0x9
	v_dot4_i32_iu8 v57, 0x1010101, v76, v57 neg_lo:[1,1,0]
	v_dot4_i32_iu8 v76, v5, v76, v78 neg_lo:[1,1,0]
	s_wait_loadcnt 0x8
	v_dot4_i32_iu8 v78, 0x1010101, v77, 0 neg_lo:[1,1,0]
	v_dot4_i32_iu8 v77, v49, v77, 0 neg_lo:[1,1,0]
	v_lshrrev_b16 v60, 8, v60
	v_and_b32_e32 v79, 0xff, v61
	v_lshrrev_b16 v61, 8, v61
	s_wait_loadcnt 0x7
	v_dot4_i32_iu8 v78, 0x1010101, v75, v78 neg_lo:[1,1,0]
	v_dot4_i32_iu8 v75, v48, v75, v77 neg_lo:[1,1,0]
	v_and_b32_e32 v60, 0xffff, v60
	v_and_b32_e32 v79, 0xffff, v79
	;; [unrolled: 1-line block ×3, first 2 shown]
	v_add_nc_u32_e32 v14, 2, v14
	v_add_co_u32 v2, s3, 0x240, v2
	v_mul_lo_u32 v60, v75, v60
	v_lshrrev_b32_e32 v75, 16, v21
	v_mul_lo_u32 v57, v57, v79
	v_mul_lo_u32 v61, v78, v61
	v_cmp_le_u32_e64 s2, s24, v14
	s_wait_alu 0xf1ff
	v_add_co_ci_u32_e64 v3, null, 0, v3, s3
	v_cvt_f32_f16_e32 v75, v75
	v_and_b32_e32 v80, 0xffff, v80
	v_cvt_f32_i32_e32 v60, v60
	v_cvt_f32_i32_e32 v57, v57
	;; [unrolled: 1-line block ×3, first 2 shown]
	v_add_nc_u32_e32 v18, 16, v18
	v_mul_lo_u32 v76, v76, v80
	s_or_b32 s21, s2, s21
	v_fma_mix_f32 v57, v72, v57, 0 op_sel_hi:[1,0,0]
	s_wait_loadcnt 0x6
	s_delay_alu instid0(VALU_DEP_1) | instskip(NEXT) | instid1(VALU_DEP_3)
	v_fma_mix_f32 v57, v73, v61, v57 op_sel_hi:[1,0,0]
	v_cvt_f32_i32_e32 v76, v76
	s_delay_alu instid0(VALU_DEP_2) | instskip(NEXT) | instid1(VALU_DEP_2)
	v_mul_f32_e32 v57, v57, v75
	v_fma_mix_f32 v72, v72, v76, 0 op_sel_hi:[1,0,0]
	v_dot4_i32_iu8 v61, v4, v68, 0 neg_lo:[1,1,0]
	s_delay_alu instid0(VALU_DEP_2) | instskip(NEXT) | instid1(VALU_DEP_2)
	v_fma_mix_f32 v60, v73, v60, v72 op_sel_hi:[1,0,0]
	v_dot4_i32_iu8 v61, v5, v64, v61 neg_lo:[1,1,0]
	s_wait_loadcnt 0x4
	v_dot4_i32_iu8 v72, v4, v74, 0 neg_lo:[1,1,0]
	s_delay_alu instid0(VALU_DEP_3) | instskip(SKIP_3) | instid1(VALU_DEP_4)
	v_fma_mix_f32 v57, v60, v21, -v57 op_sel_hi:[0,1,0]
	v_dot4_i32_iu8 v60, 0x1010101, v68, 0 neg_lo:[1,1,0]
	v_and_b32_e32 v68, 0xff, v67
	v_lshrrev_b16 v67, 8, v67
	v_add_f32_e32 v7, v7, v57
	s_delay_alu instid0(VALU_DEP_4)
	v_dot4_i32_iu8 v57, 0x1010101, v64, v60 neg_lo:[1,1,0]
	v_dot4_i32_iu8 v60, 0x1010101, v65, 0 neg_lo:[1,1,0]
	;; [unrolled: 1-line block ×3, first 2 shown]
	v_and_b32_e32 v65, 0xff, v66
	v_and_b32_e32 v68, 0xffff, v68
	v_lshrrev_b16 v66, 8, v66
	v_dot4_i32_iu8 v60, 0x1010101, v63, v60 neg_lo:[1,1,0]
	v_and_b32_e32 v67, 0xffff, v67
	v_and_b32_e32 v65, 0xffff, v65
	v_mul_lo_u32 v57, v57, v68
	v_dot4_i32_iu8 v63, v48, v63, v64 neg_lo:[1,1,0]
	v_and_b32_e32 v64, 0xffff, v66
	v_mul_lo_u32 v60, v60, v67
	v_mul_lo_u32 v61, v61, v65
	v_dot4_i32_iu8 v68, 0x1010101, v74, 0 neg_lo:[1,1,0]
	v_dot4_i32_iu8 v67, v4, v55, 0 neg_lo:[1,1,0]
	v_mul_lo_u32 v63, v63, v64
	v_cvt_f32_i32_e32 v57, v57
	v_dot4_i32_iu8 v55, 0x1010101, v55, 0 neg_lo:[1,1,0]
	s_wait_loadcnt 0x3
	v_dot4_i32_iu8 v66, 0x1010101, v71, v68 neg_lo:[1,1,0]
	v_cvt_f32_i32_e32 v60, v60
	v_cvt_f32_i32_e32 v61, v61
	v_fma_mix_f32 v57, v62, v57, 0 op_sel_hi:[1,0,0]
	v_and_b32_e32 v68, 0xff, v58
	v_lshrrev_b16 v58, 8, v58
	s_wait_loadcnt 0x2
	v_dot4_i32_iu8 v64, v49, v70, 0 neg_lo:[1,1,0]
	v_fma_mix_f32 v61, v62, v61, 0 op_sel_hi:[1,0,0]
	v_cvt_f32_i32_e32 v62, v63
	v_fma_mix_f32 v57, v59, v60, v57 op_sel_hi:[1,0,0]
	v_dot4_i32_iu8 v60, v5, v53, v67 neg_lo:[1,1,0]
	v_and_b32_e32 v63, 0xffff, v68
	v_and_b32_e32 v68, 0xff, v56
	v_dot4_i32_iu8 v67, v49, v54, 0 neg_lo:[1,1,0]
	v_dot4_i32_iu8 v53, 0x1010101, v53, v55 neg_lo:[1,1,0]
	;; [unrolled: 1-line block ×3, first 2 shown]
	v_mul_lo_u32 v60, v60, v63
	v_and_b32_e32 v63, 0xffff, v68
	v_lshrrev_b16 v56, 8, v56
	v_dot4_i32_iu8 v55, v48, v52, v67 neg_lo:[1,1,0]
	v_and_b32_e32 v58, 0xffff, v58
	v_dot4_i32_iu8 v52, 0x1010101, v52, v54 neg_lo:[1,1,0]
	v_mul_lo_u32 v53, v53, v63
	v_and_b32_e32 v56, 0xffff, v56
	v_cvt_f32_i32_e32 v54, v60
	v_mul_lo_u32 v55, v55, v58
	v_fma_mix_f32 v59, v59, v62, v61 op_sel_hi:[1,0,0]
	v_mul_f32_e32 v57, v57, v75
	v_mul_lo_u32 v52, v52, v56
	v_fma_mix_f32 v54, v50, v54, 0 op_sel_hi:[1,0,0]
	v_cvt_f32_i32_e32 v53, v53
	v_dot4_i32_iu8 v58, 0x1010101, v70, 0 neg_lo:[1,1,0]
	v_fma_mix_f32 v57, v59, v21, -v57 op_sel_hi:[0,1,0]
	v_cvt_f32_i32_e32 v55, v55
	v_and_b32_e32 v59, 0xff, v43
	v_fma_mix_f32 v50, v50, v53, 0 op_sel_hi:[1,0,0]
	v_cvt_f32_i32_e32 v52, v52
	v_lshrrev_b16 v43, 8, v43
	v_fma_mix_f32 v53, v47, v55, v54 op_sel_hi:[1,0,0]
	v_dot4_i32_iu8 v54, v4, v44, 0 neg_lo:[1,1,0]
	v_dot4_i32_iu8 v44, 0x1010101, v44, 0 neg_lo:[1,1,0]
	v_fma_mix_f32 v47, v47, v52, v50 op_sel_hi:[1,0,0]
	v_and_b32_e32 v55, 0xff, v41
	v_and_b32_e32 v52, 0xffff, v59
	;; [unrolled: 1-line block ×3, first 2 shown]
	v_lshrrev_b16 v41, 8, v41
	v_mul_f32_e32 v47, v47, v75
	s_wait_loadcnt 0x1
	v_dot4_i32_iu8 v58, 0x1010101, v69, v58 neg_lo:[1,1,0]
	v_dot4_i32_iu8 v56, v48, v69, v64 neg_lo:[1,1,0]
	v_add_f32_e32 v9, v9, v57
	v_fma_mix_f32 v47, v53, v21, -v47 op_sel_hi:[0,1,0]
	s_delay_alu instid0(VALU_DEP_1)
	v_add_f32_e32 v10, v10, v47
	v_dot4_i32_iu8 v50, v5, v42, v54 neg_lo:[1,1,0]
	v_dot4_i32_iu8 v42, 0x1010101, v42, v44 neg_lo:[1,1,0]
	v_and_b32_e32 v44, 0xffff, v55
	v_dot4_i32_iu8 v54, 0x1010101, v40, 0 neg_lo:[1,1,0]
	v_dot4_i32_iu8 v40, v49, v40, 0 neg_lo:[1,1,0]
	;; [unrolled: 1-line block ×3, first 2 shown]
	v_mul_lo_u32 v42, v42, v52
	v_mul_lo_u32 v44, v50, v44
	v_dot4_i32_iu8 v50, 0x1010101, v39, v54 neg_lo:[1,1,0]
	v_dot4_i32_iu8 v39, v48, v39, v40 neg_lo:[1,1,0]
	v_and_b32_e32 v40, 0xffff, v41
	s_delay_alu instid0(VALU_DEP_3) | instskip(SKIP_2) | instid1(VALU_DEP_4)
	v_mul_lo_u32 v43, v50, v43
	v_cvt_f32_i32_e32 v42, v42
	v_cvt_f32_i32_e32 v44, v44
	v_mul_lo_u32 v39, v39, v40
	s_delay_alu instid0(VALU_DEP_2) | instskip(NEXT) | instid1(VALU_DEP_4)
	v_fma_mix_f32 v41, v38, v44, 0 op_sel_hi:[1,0,0]
	v_fma_mix_f32 v38, v38, v42, 0 op_sel_hi:[1,0,0]
	v_dot4_i32_iu8 v42, v4, v36, 0 neg_lo:[1,1,0]
	v_dot4_i32_iu8 v36, 0x1010101, v36, 0 neg_lo:[1,1,0]
	v_cvt_f32_i32_e32 v40, v43
	v_and_b32_e32 v43, 0xff, v34
	v_dot4_i32_iu8 v44, v49, v32, 0 neg_lo:[1,1,0]
	v_dot4_i32_iu8 v42, v5, v33, v42 neg_lo:[1,1,0]
	;; [unrolled: 1-line block ×3, first 2 shown]
	v_and_b32_e32 v36, 0xff, v35
	v_and_b32_e32 v43, 0xffff, v43
	v_dot4_i32_iu8 v32, 0x1010101, v32, 0 neg_lo:[1,1,0]
	v_lshrrev_b16 v35, 8, v35
	v_lshrrev_b16 v34, 8, v34
	v_and_b32_e32 v36, 0xffff, v36
	v_mul_lo_u32 v42, v42, v43
	v_dot4_i32_iu8 v43, v48, v31, v44 neg_lo:[1,1,0]
	v_dot4_i32_iu8 v31, 0x1010101, v31, v32 neg_lo:[1,1,0]
	;; [unrolled: 1-line block ×3, first 2 shown]
	v_mul_lo_u32 v32, v33, v36
	v_and_b32_e32 v33, 0xffff, v34
	v_and_b32_e32 v34, 0xffff, v35
	v_cvt_f32_i32_e32 v35, v39
	v_fma_mix_f32 v36, v37, v40, v38 op_sel_hi:[1,0,0]
	v_cvt_f32_i32_e32 v38, v42
	v_mul_lo_u32 v33, v43, v33
	v_mul_lo_u32 v31, v31, v34
	v_cvt_f32_i32_e32 v32, v32
	v_fma_mix_f32 v34, v37, v35, v41 op_sel_hi:[1,0,0]
	v_mul_f32_e32 v35, v36, v75
	v_fma_mix_f32 v36, v30, v38, 0 op_sel_hi:[1,0,0]
	v_dot4_i32_iu8 v4, v5, v27, v4 neg_lo:[1,1,0]
	v_fma_mix_f32 v30, v30, v32, 0 op_sel_hi:[1,0,0]
	v_cvt_f32_i32_e32 v32, v33
	v_cvt_f32_i32_e32 v31, v31
	v_dot4_i32_iu8 v5, 0x1010101, v28, 0 neg_lo:[1,1,0]
	v_bfe_u32 v28, v25, 16, 8
	s_delay_alu instid0(VALU_DEP_4) | instskip(NEXT) | instid1(VALU_DEP_4)
	v_fma_mix_f32 v32, v29, v32, v36 op_sel_hi:[1,0,0]
	v_fma_mix_f32 v29, v29, v31, v30 op_sel_hi:[1,0,0]
	v_dot4_i32_iu8 v30, v49, v26, 0 neg_lo:[1,1,0]
	v_dot4_i32_iu8 v5, 0x1010101, v27, v5 neg_lo:[1,1,0]
	v_mul_lo_u32 v4, v4, v28
	v_dot4_i32_iu8 v26, 0x1010101, v26, 0 neg_lo:[1,1,0]
	v_lshrrev_b16 v27, 8, v25
	v_dot4_i32_iu8 v28, v48, v24, v30 neg_lo:[1,1,0]
	v_and_b32_e32 v30, 0xff, v25
	v_and_b32_e32 v31, 0xff00ff, v51
	v_dot4_i32_iu8 v24, 0x1010101, v24, v26 neg_lo:[1,1,0]
	v_and_b32_e32 v26, 0xffff, v27
	v_cvt_f32_i32_e32 v4, v4
	v_mul_lo_u32 v5, v5, v30
	v_lshrrev_b32_e32 v27, 16, v31
	v_pk_lshrrev_b16 v30, 8, v51 op_sel_hi:[0,1]
	v_and_b32_e32 v31, 0xff, v31
	v_lshrrev_b32_e32 v25, 24, v25
	v_mul_lo_u32 v24, v24, v26
	v_mul_lo_u32 v27, v66, v27
	v_lshrrev_b32_e32 v33, 16, v30
	v_cvt_f32_i32_e32 v5, v5
	v_mul_lo_u32 v26, v65, v31
	v_and_b32_e32 v30, 0xff, v30
	v_fma_mix_f32 v4, v23, v4, 0 op_sel_hi:[1,0,0]
	v_mul_lo_u32 v31, v58, v33
	v_mul_lo_u32 v25, v28, v25
	v_cvt_f32_i32_e32 v27, v27
	v_fma_mix_f32 v5, v23, v5, 0 op_sel_hi:[1,0,0]
	v_mul_lo_u32 v23, v56, v30
	v_cvt_f32_i32_e32 v24, v24
	v_cvt_f32_i32_e32 v26, v26
	v_fma_mix_f32 v27, v45, v27, 0 op_sel_hi:[1,0,0]
	v_cvt_f32_i32_e32 v28, v31
	v_cvt_f32_i32_e32 v25, v25
	v_fma_mix_f32 v5, v22, v24, v5 op_sel_hi:[1,0,0]
	v_fma_mix_f32 v24, v45, v26, 0 op_sel_hi:[1,0,0]
	v_cvt_f32_i32_e32 v23, v23
	s_wait_loadcnt 0x0
	v_fma_mix_f32 v26, v46, v28, v27 op_sel_hi:[1,0,0]
	v_mul_f32_e32 v27, v29, v75
	v_fma_mix_f32 v4, v22, v25, v4 op_sel_hi:[1,0,0]
	v_mul_f32_e32 v5, v5, v75
	;; [unrolled: 2-line block ×3, first 2 shown]
	v_fma_mix_f32 v24, v34, v21, -v35 op_sel_hi:[0,1,0]
	v_fma_mix_f32 v25, v32, v21, -v27 op_sel_hi:[0,1,0]
	;; [unrolled: 1-line block ×3, first 2 shown]
	s_delay_alu instid0(VALU_DEP_4) | instskip(NEXT) | instid1(VALU_DEP_4)
	v_fma_mix_f32 v5, v22, v21, -v23 op_sel_hi:[0,1,0]
	v_add_f32_e32 v11, v11, v24
	s_delay_alu instid0(VALU_DEP_4) | instskip(NEXT) | instid1(VALU_DEP_3)
	v_add_f32_e32 v13, v13, v25
	v_dual_add_f32 v15, v15, v4 :: v_dual_add_f32 v6, v6, v5
	s_and_not1_b32 exec_lo, exec_lo, s21
	s_cbranch_execz .LBB130_29
.LBB130_3:                              ; =>This Inner Loop Header: Depth=1
	v_add_nc_u32_e32 v4, s4, v14
                                        ; implicit-def: $vgpr57
	s_delay_alu instid0(VALU_DEP_1) | instskip(NEXT) | instid1(VALU_DEP_1)
	v_mad_co_i64_i32 v[4:5], null, 0x90, v4, s[12:13]
	v_add_co_u32 v21, s2, v4, v16
	s_wait_alu 0xf1ff
	s_delay_alu instid0(VALU_DEP_2) | instskip(NEXT) | instid1(VALU_DEP_2)
	v_add_co_ci_u32_e64 v22, null, 0, v5, s2
	v_add_co_u32 v21, s2, v21, v17
	s_wait_alu 0xf1ff
	s_delay_alu instid0(VALU_DEP_2)
	v_add_co_ci_u32_e64 v22, null, 0, v22, s2
	v_add_co_u32 v24, s2, v2, v17
	s_wait_alu 0xf1ff
	v_add_co_ci_u32_e64 v25, null, 0, v3, s2
	s_clause 0x2
	global_load_b32 v49, v[21:22], off offset:16
	global_load_b32 v48, v[21:22], off offset:32
	global_load_b32 v21, v[4:5], off
	s_clause 0x5
	global_load_b32 v23, v[2:3], off offset:-36
	global_load_b32 v22, v[2:3], off
	global_load_b32 v28, v[24:25], off offset:-32
	global_load_b32 v27, v[24:25], off offset:-16
	global_load_b32 v26, v[24:25], off offset:4
	global_load_b32 v24, v[24:25], off offset:20
	v_add_co_u32 v4, s2, v4, v19
	s_wait_alu 0xf1ff
	v_add_co_ci_u32_e64 v5, null, 0, v5, s2
                                        ; implicit-def: $vgpr25
	s_and_saveexec_b32 s2, vcc_lo
	s_wait_alu 0xfffe
	s_xor_b32 s2, exec_lo, s2
	s_cbranch_execz .LBB130_5
; %bb.4:                                ;   in Loop: Header=BB130_3 Depth=1
	s_clause 0x1
	global_load_u16 v25, v[4:5], off offset:8
	global_load_u16 v29, v[4:5], off offset:4
	s_wait_loadcnt 0x1
	v_mov_b32_e32 v30, v25
	s_wait_loadcnt 0x0
	v_perm_b32 v57, v25, v29, 0x5040100
	s_delay_alu instid0(VALU_DEP_1) | instskip(NEXT) | instid1(VALU_DEP_1)
	v_pk_lshrrev_b16 v25, 2, v57
	v_and_b32_e32 v25, 0xf0f3030, v25
	global_load_d16_hi_b16 v30, v[4:5], off
	s_wait_loadcnt 0x0
	v_pk_lshrrev_b16 v29, 0x20004, v30
	s_delay_alu instid0(VALU_DEP_1)
	v_and_or_b32 v25, 0x30300f0f, v29, v25
.LBB130_5:                              ;   in Loop: Header=BB130_3 Depth=1
	s_wait_alu 0xfffe
	s_and_not1_saveexec_b32 s2, s2
	s_cbranch_execz .LBB130_7
; %bb.6:                                ;   in Loop: Header=BB130_3 Depth=1
	s_clause 0x1
	global_load_u16 v29, v[4:5], off offset:4
	global_load_u16 v30, v[4:5], off offset:8
	s_wait_loadcnt 0x0
	v_perm_b32 v25, v29, v30, 0x5040100
	v_perm_b32 v57, v30, v29, 0x5040100
	s_delay_alu instid0(VALU_DEP_2)
	v_and_b32_e32 v25, 0x3f3f3f3f, v25
.LBB130_7:                              ;   in Loop: Header=BB130_3 Depth=1
	s_wait_alu 0xfffe
	s_or_b32 exec_lo, exec_lo, s2
	v_add_nc_u32_e32 v29, s5, v18
	v_lshrrev_b32_e32 v69, 16, v57
	v_lshrrev_b16 v51, 2, v57
	s_delay_alu instid0(VALU_DEP_3) | instskip(NEXT) | instid1(VALU_DEP_3)
	v_mad_co_u64_u32 v[34:35], null, v29, 36, v[0:1]
	v_and_b32_e32 v45, 0xf0f, v69
	s_delay_alu instid0(VALU_DEP_2) | instskip(SKIP_1) | instid1(VALU_DEP_3)
	v_add_co_u32 v37, s2, v34, v20
	s_wait_alu 0xf1ff
	v_add_co_ci_u32_e64 v38, null, 0, v35, s2
	s_clause 0x5
	global_load_b32 v30, v[34:35], off
	global_load_b32 v36, v[37:38], off offset:4
	global_load_b32 v33, v[37:38], off offset:20
	;; [unrolled: 1-line block ×5, first 2 shown]
	v_lshrrev_b32_e32 v34, 20, v57
                                        ; implicit-def: $vgpr35
	s_delay_alu instid0(VALU_DEP_1)
	v_and_b32_e32 v46, 0xf0f, v34
                                        ; implicit-def: $vgpr34
	s_and_saveexec_b32 s2, vcc_lo
	s_wait_alu 0xfffe
	s_xor_b32 s2, exec_lo, s2
	s_cbranch_execz .LBB130_9
; %bb.8:                                ;   in Loop: Header=BB130_3 Depth=1
	global_load_u16 v34, v[4:5], off
	v_and_b32_e32 v35, 0x3030, v51
	s_delay_alu instid0(VALU_DEP_1) | instskip(SKIP_2) | instid1(VALU_DEP_1)
	v_or_b32_e32 v35, v35, v46
	s_wait_loadcnt 0x0
	v_lshrrev_b16 v34, 2, v34
	v_and_b32_e32 v34, 0x3030, v34
	s_delay_alu instid0(VALU_DEP_1)
	v_or_b32_e32 v34, v34, v45
.LBB130_9:                              ;   in Loop: Header=BB130_3 Depth=1
	s_wait_alu 0xfffe
	s_or_saveexec_b32 s2, s2
	v_and_b32_e32 v60, 0x3f3f, v57
	v_and_b32_e32 v61, 0x3f3f, v69
	s_wait_alu 0xfffe
	s_xor_b32 exec_lo, exec_lo, s2
; %bb.10:                               ;   in Loop: Header=BB130_3 Depth=1
	v_and_b32_e32 v34, 0x3f3f, v57
	v_and_b32_e32 v35, 0x3f3f, v69
; %bb.11:                               ;   in Loop: Header=BB130_3 Depth=1
	s_or_b32 exec_lo, exec_lo, s2
	v_add_nc_u32_e32 v37, s7, v18
                                        ; implicit-def: $vgpr41
                                        ; implicit-def: $vgpr43
	s_delay_alu instid0(VALU_DEP_1) | instskip(NEXT) | instid1(VALU_DEP_1)
	v_mad_co_u64_u32 v[52:53], null, v37, 36, v[0:1]
	v_add_co_u32 v54, s2, v52, v20
	s_wait_alu 0xf1ff
	s_delay_alu instid0(VALU_DEP_2)
	v_add_co_ci_u32_e64 v55, null, 0, v53, s2
	s_clause 0x5
	global_load_b32 v38, v[52:53], off
	global_load_b32 v44, v[54:55], off offset:4
	global_load_b32 v42, v[54:55], off offset:20
	;; [unrolled: 1-line block ×5, first 2 shown]
	s_and_saveexec_b32 s2, vcc_lo
	s_wait_alu 0xfffe
	s_xor_b32 s2, exec_lo, s2
	s_cbranch_execz .LBB130_13
; %bb.12:                               ;   in Loop: Header=BB130_3 Depth=1
	global_load_u16 v41, v[4:5], off
	v_and_b32_e32 v43, 0x3030, v51
	s_delay_alu instid0(VALU_DEP_1) | instskip(SKIP_2) | instid1(VALU_DEP_1)
	v_or_b32_e32 v43, v43, v46
	s_wait_loadcnt 0x0
	v_lshrrev_b16 v41, 2, v41
	v_and_b32_e32 v41, 0x3030, v41
	s_delay_alu instid0(VALU_DEP_1)
	v_or_b32_e32 v41, v41, v45
.LBB130_13:                             ;   in Loop: Header=BB130_3 Depth=1
	s_wait_alu 0xfffe
	s_and_not1_saveexec_b32 s2, s2
; %bb.14:                               ;   in Loop: Header=BB130_3 Depth=1
	v_and_b32_e32 v41, 0x3f3f, v57
	v_and_b32_e32 v43, 0x3f3f, v69
; %bb.15:                               ;   in Loop: Header=BB130_3 Depth=1
	s_wait_alu 0xfffe
	s_or_b32 exec_lo, exec_lo, s2
	v_add_nc_u32_e32 v47, s8, v18
                                        ; implicit-def: $vgpr56
	s_delay_alu instid0(VALU_DEP_1) | instskip(NEXT) | instid1(VALU_DEP_1)
	v_mad_co_u64_u32 v[58:59], null, v47, 36, v[0:1]
	v_add_co_u32 v62, s2, v58, v20
	s_wait_alu 0xf1ff
	s_delay_alu instid0(VALU_DEP_2)
	v_add_co_ci_u32_e64 v63, null, 0, v59, s2
	s_clause 0x5
	global_load_b32 v50, v[58:59], off
	global_load_b32 v55, v[62:63], off offset:4
	global_load_b32 v53, v[62:63], off offset:20
	;; [unrolled: 1-line block ×5, first 2 shown]
                                        ; implicit-def: $vgpr58
	s_and_saveexec_b32 s2, vcc_lo
	s_wait_alu 0xfffe
	s_xor_b32 s2, exec_lo, s2
	s_cbranch_execz .LBB130_17
; %bb.16:                               ;   in Loop: Header=BB130_3 Depth=1
	global_load_u16 v56, v[4:5], off
	v_and_b32_e32 v59, 0x3030, v51
	s_wait_loadcnt 0x0
	v_lshrrev_b16 v56, 2, v56
	s_delay_alu instid0(VALU_DEP_1) | instskip(NEXT) | instid1(VALU_DEP_1)
	v_and_b32_e32 v56, 0x3030, v56
	v_or_b32_e32 v58, v56, v45
	v_or_b32_e32 v56, v59, v46
.LBB130_17:                             ;   in Loop: Header=BB130_3 Depth=1
	s_wait_alu 0xfffe
	s_and_not1_saveexec_b32 s2, s2
; %bb.18:                               ;   in Loop: Header=BB130_3 Depth=1
	v_and_b32_e32 v58, 0x3f3f, v57
	v_and_b32_e32 v56, 0x3f3f, v69
; %bb.19:                               ;   in Loop: Header=BB130_3 Depth=1
	s_wait_alu 0xfffe
	s_or_b32 exec_lo, exec_lo, s2
	v_add_nc_u32_e32 v59, s9, v18
	s_delay_alu instid0(VALU_DEP_1) | instskip(NEXT) | instid1(VALU_DEP_1)
	v_mad_co_u64_u32 v[66:67], null, v59, 36, v[0:1]
	v_add_co_u32 v70, s2, v66, v20
	s_wait_alu 0xf1ff
	s_delay_alu instid0(VALU_DEP_2)
	v_add_co_ci_u32_e64 v71, null, 0, v67, s2
	s_clause 0x5
	global_load_b32 v62, v[66:67], off
	global_load_b32 v68, v[70:71], off offset:4
	global_load_b32 v64, v[70:71], off offset:20
	;; [unrolled: 1-line block ×5, first 2 shown]
                                        ; implicit-def: $vgpr66
                                        ; implicit-def: $vgpr67
	s_and_saveexec_b32 s2, vcc_lo
	s_wait_alu 0xfffe
	s_xor_b32 s2, exec_lo, s2
	s_cbranch_execz .LBB130_21
; %bb.20:                               ;   in Loop: Header=BB130_3 Depth=1
	global_load_u16 v66, v[4:5], off
	v_and_b32_e32 v67, 0x3030, v51
                                        ; implicit-def: $vgpr69
	s_delay_alu instid0(VALU_DEP_1) | instskip(SKIP_2) | instid1(VALU_DEP_1)
	v_or_b32_e32 v67, v67, v46
	s_wait_loadcnt 0x0
	v_lshrrev_b16 v66, 2, v66
	v_and_b32_e32 v66, 0x3030, v66
	s_delay_alu instid0(VALU_DEP_1)
	v_or_b32_e32 v66, v66, v45
.LBB130_21:                             ;   in Loop: Header=BB130_3 Depth=1
	s_wait_alu 0xfffe
	s_and_not1_saveexec_b32 s2, s2
; %bb.22:                               ;   in Loop: Header=BB130_3 Depth=1
	v_and_b32_e32 v66, 0x3f3f, v57
	v_and_b32_e32 v67, 0x3f3f, v69
; %bb.23:                               ;   in Loop: Header=BB130_3 Depth=1
	s_wait_alu 0xfffe
	s_or_b32 exec_lo, exec_lo, s2
	v_add_nc_u32_e32 v69, s11, v18
	s_delay_alu instid0(VALU_DEP_1) | instskip(NEXT) | instid1(VALU_DEP_1)
	v_mad_co_u64_u32 v[69:70], null, v69, 36, v[0:1]
	v_add_co_u32 v73, s2, v69, v20
	s_wait_alu 0xf1ff
	s_delay_alu instid0(VALU_DEP_2)
	v_add_co_ci_u32_e64 v74, null, 0, v70, s2
	s_clause 0x5
	global_load_b32 v72, v[69:70], off
	global_load_b32 v78, v[73:74], off offset:4
	global_load_b32 v76, v[73:74], off offset:20
	;; [unrolled: 1-line block ×5, first 2 shown]
	s_and_saveexec_b32 s2, vcc_lo
	s_wait_alu 0xfffe
	s_xor_b32 s2, exec_lo, s2
	s_cbranch_execz .LBB130_25
; %bb.24:                               ;   in Loop: Header=BB130_3 Depth=1
	global_load_u16 v60, v[4:5], off
	v_and_b32_e32 v51, 0x3030, v51
	s_delay_alu instid0(VALU_DEP_1) | instskip(SKIP_2) | instid1(VALU_DEP_1)
	v_or_b32_e32 v61, v51, v46
	s_wait_loadcnt 0x0
	v_lshrrev_b16 v60, 2, v60
	v_and_b32_e32 v60, 0x3030, v60
	s_delay_alu instid0(VALU_DEP_1)
	v_or_b32_e32 v60, v60, v45
.LBB130_25:                             ;   in Loop: Header=BB130_3 Depth=1
	s_wait_alu 0xfffe
	s_and_not1_saveexec_b32 s2, s2
	s_wait_alu 0xfffe
	s_or_b32 exec_lo, exec_lo, s2
	v_add_nc_u32_e32 v45, s14, v18
                                        ; implicit-def: $vgpr51
	s_delay_alu instid0(VALU_DEP_1) | instskip(NEXT) | instid1(VALU_DEP_1)
	v_mad_co_u64_u32 v[79:80], null, v45, 36, v[0:1]
	v_add_co_u32 v81, s2, v79, v20
	s_wait_alu 0xf1ff
	s_delay_alu instid0(VALU_DEP_2)
	v_add_co_ci_u32_e64 v82, null, 0, v80, s2
	s_clause 0x5
	global_load_b32 v45, v[79:80], off
	global_load_b32 v74, v[81:82], off offset:4
	global_load_b32 v71, v[81:82], off offset:20
	global_load_b32 v70, v[81:82], off offset:40
	global_load_b32 v69, v[81:82], off offset:56
	global_load_b32 v46, v[79:80], off offset:36
	s_and_saveexec_b32 s2, vcc_lo
	s_wait_alu 0xfffe
	s_xor_b32 s2, exec_lo, s2
	s_cbranch_execz .LBB130_27
; %bb.26:                               ;   in Loop: Header=BB130_3 Depth=1
	global_load_u16 v4, v[4:5], off
	v_pk_lshrrev_b16 v5, 4, v57 op_sel:[1,1] op_sel_hi:[0,1]
	s_delay_alu instid0(VALU_DEP_1) | instskip(SKIP_2) | instid1(VALU_DEP_1)
	v_and_b32_e32 v5, 0xf0f0f0f, v5
	s_wait_loadcnt 0x0
	v_perm_b32 v4, v57, v4, 0x5040100
                                        ; implicit-def: $vgpr57
	v_pk_lshrrev_b16 v4, 2, v4 op_sel_hi:[0,1]
	s_delay_alu instid0(VALU_DEP_1)
	v_and_or_b32 v51, 0x30303030, v4, v5
.LBB130_27:                             ;   in Loop: Header=BB130_3 Depth=1
	s_wait_alu 0xfffe
	s_and_not1_saveexec_b32 s2, s2
	s_cbranch_execz .LBB130_2
; %bb.28:                               ;   in Loop: Header=BB130_3 Depth=1
	v_and_b32_e32 v51, 0x3f3f3f3f, v57
	s_branch .LBB130_2
.LBB130_29:
	s_or_b32 exec_lo, exec_lo, s21
.LBB130_30:
	s_delay_alu instid0(SALU_CYCLE_1)
	s_or_b32 exec_lo, exec_lo, s23
	s_mov_b32 s3, 0
	; wave barrier
	global_inv scope:SCOPE_SE
	s_mov_b32 s2, exec_lo
	v_cmpx_eq_u32_e32 0, v12
	s_cbranch_execz .LBB130_45
; %bb.31:
	v_mbcnt_lo_u32_b32 v4, -1, 0
	s_load_b64 s[0:1], s[0:1], 0x38
	s_mul_i32 s2, s10, s19
	s_mul_i32 s4, s18, s22
	s_wait_alu 0xfffe
	s_add_co_i32 s2, s2, ttmp9
	v_xor_b32_e32 v0, 16, v4
	v_xor_b32_e32 v1, 8, v4
	;; [unrolled: 1-line block ×3, first 2 shown]
	s_wait_alu 0xfffe
	s_add_co_i32 s2, s2, s4
	s_wait_alu 0xfffe
	s_lshl_b64 s[2:3], s[2:3], 2
	v_cmp_gt_i32_e32 vcc_lo, 32, v0
	v_cndmask_b32_e32 v0, v4, v0, vcc_lo
	v_cmp_gt_i32_e32 vcc_lo, 32, v1
	s_wait_kmcnt 0x0
	s_wait_alu 0xfffe
	s_add_nc_u64 s[0:1], s[0:1], s[2:3]
	s_wait_alu 0xfffd
	v_cndmask_b32_e32 v1, v4, v1, vcc_lo
	s_delay_alu instid0(VALU_DEP_1)
	v_lshlrev_b32_e32 v1, 2, v1
	v_lshlrev_b32_e32 v0, 2, v0
	ds_bpermute_b32 v2, v0, v15
	s_wait_dscnt 0x0
	v_add_f32_e32 v3, v15, v2
	v_xor_b32_e32 v2, 4, v4
	ds_bpermute_b32 v5, v1, v3
	v_cmp_gt_i32_e32 vcc_lo, 32, v2
	s_wait_dscnt 0x0
	s_wait_alu 0xfffd
	v_dual_cndmask_b32 v2, v4, v2 :: v_dual_add_f32 v5, v3, v5
	s_delay_alu instid0(VALU_DEP_1)
	v_lshlrev_b32_e32 v2, 2, v2
	v_xor_b32_e32 v3, 2, v4
	ds_bpermute_b32 v12, v2, v5
	v_cmp_gt_i32_e32 vcc_lo, 32, v3
	s_wait_alu 0xfffd
	v_cndmask_b32_e32 v3, v4, v3, vcc_lo
	v_cmp_gt_i32_e32 vcc_lo, 32, v14
	s_wait_alu 0xfffd
	v_cndmask_b32_e32 v4, v4, v14, vcc_lo
	v_cmp_eq_u32_e32 vcc_lo, 0, v8
	s_delay_alu instid0(VALU_DEP_2)
	v_lshlrev_b32_e32 v4, 2, v4
	v_lshlrev_b32_e32 v3, 2, v3
	s_wait_dscnt 0x0
	v_add_f32_e32 v5, v5, v12
	ds_bpermute_b32 v12, v3, v5
	s_wait_dscnt 0x0
	v_add_f32_e32 v5, v5, v12
	ds_bpermute_b32 v12, v4, v5
	s_and_saveexec_b32 s2, vcc_lo
	s_cbranch_execz .LBB130_33
; %bb.32:
	s_wait_dscnt 0x0
	v_dual_add_f32 v5, v5, v12 :: v_dual_mov_b32 v8, 0
	global_store_b32 v8, v5, s[0:1]
.LBB130_33:
	s_wait_alu 0xfffe
	s_or_b32 exec_lo, exec_lo, s2
	ds_bpermute_b32 v5, v0, v13
	s_wait_dscnt 0x0
	v_add_f32_e32 v5, v13, v5
	ds_bpermute_b32 v8, v1, v5
	s_wait_dscnt 0x0
	v_add_f32_e32 v5, v5, v8
	;; [unrolled: 3-line block ×4, first 2 shown]
	ds_bpermute_b32 v8, v4, v5
	s_and_saveexec_b32 s2, vcc_lo
	s_cbranch_execz .LBB130_35
; %bb.34:
	s_mov_b32 s7, 0
	s_wait_dscnt 0x0
	v_dual_add_f32 v5, v5, v8 :: v_dual_mov_b32 v8, 0
	s_wait_alu 0xfffe
	s_lshl_b64 s[4:5], s[6:7], 2
	s_wait_alu 0xfffe
	s_add_nc_u64 s[4:5], s[0:1], s[4:5]
	global_store_b32 v8, v5, s[4:5]
.LBB130_35:
	s_wait_alu 0xfffe
	s_or_b32 exec_lo, exec_lo, s2
	ds_bpermute_b32 v5, v0, v11
	s_wait_dscnt 0x0
	v_add_f32_e32 v5, v11, v5
	ds_bpermute_b32 v8, v1, v5
	s_wait_dscnt 0x0
	v_add_f32_e32 v5, v5, v8
	;; [unrolled: 3-line block ×4, first 2 shown]
	ds_bpermute_b32 v8, v4, v5
	s_and_saveexec_b32 s2, vcc_lo
	s_cbranch_execz .LBB130_37
; %bb.36:
	s_lshl_b32 s4, s6, 1
	s_mov_b32 s5, 0
	s_wait_dscnt 0x0
	v_dual_add_f32 v5, v5, v8 :: v_dual_mov_b32 v8, 0
	s_wait_alu 0xfffe
	s_lshl_b64 s[4:5], s[4:5], 2
	s_wait_alu 0xfffe
	s_add_nc_u64 s[4:5], s[0:1], s[4:5]
	global_store_b32 v8, v5, s[4:5]
.LBB130_37:
	s_wait_alu 0xfffe
	s_or_b32 exec_lo, exec_lo, s2
	ds_bpermute_b32 v5, v0, v10
	s_wait_dscnt 0x0
	v_add_f32_e32 v5, v10, v5
	ds_bpermute_b32 v8, v1, v5
	s_wait_dscnt 0x0
	v_add_f32_e32 v5, v5, v8
	;; [unrolled: 3-line block ×4, first 2 shown]
	ds_bpermute_b32 v8, v4, v5
	s_and_saveexec_b32 s2, vcc_lo
	s_cbranch_execz .LBB130_39
; %bb.38:
	s_mul_i32 s4, s6, 3
	s_mov_b32 s5, 0
	s_wait_dscnt 0x0
	v_dual_add_f32 v5, v5, v8 :: v_dual_mov_b32 v8, 0
	s_wait_alu 0xfffe
	s_lshl_b64 s[4:5], s[4:5], 2
	s_wait_alu 0xfffe
	s_add_nc_u64 s[4:5], s[0:1], s[4:5]
	global_store_b32 v8, v5, s[4:5]
.LBB130_39:
	s_wait_alu 0xfffe
	s_or_b32 exec_lo, exec_lo, s2
	ds_bpermute_b32 v5, v0, v9
	s_wait_dscnt 0x0
	v_add_f32_e32 v5, v9, v5
	ds_bpermute_b32 v8, v1, v5
	s_wait_dscnt 0x0
	v_add_f32_e32 v5, v5, v8
	;; [unrolled: 3-line block ×4, first 2 shown]
	ds_bpermute_b32 v8, v4, v5
	s_and_saveexec_b32 s2, vcc_lo
	s_cbranch_execz .LBB130_41
; %bb.40:
	s_lshl_b32 s4, s6, 2
	s_mov_b32 s5, 0
	s_wait_dscnt 0x0
	v_dual_add_f32 v5, v5, v8 :: v_dual_mov_b32 v8, 0
	s_wait_alu 0xfffe
	s_lshl_b64 s[4:5], s[4:5], 2
	s_wait_alu 0xfffe
	s_add_nc_u64 s[4:5], s[0:1], s[4:5]
	global_store_b32 v8, v5, s[4:5]
.LBB130_41:
	s_wait_alu 0xfffe
	s_or_b32 exec_lo, exec_lo, s2
	ds_bpermute_b32 v5, v0, v7
	s_wait_dscnt 0x0
	v_add_f32_e32 v5, v7, v5
	ds_bpermute_b32 v7, v1, v5
	s_wait_dscnt 0x0
	v_add_f32_e32 v5, v5, v7
	;; [unrolled: 3-line block ×4, first 2 shown]
	ds_bpermute_b32 v7, v4, v5
	s_and_saveexec_b32 s2, vcc_lo
	s_cbranch_execz .LBB130_43
; %bb.42:
	s_mul_i32 s4, s6, 5
	s_mov_b32 s5, 0
	s_wait_dscnt 0x0
	v_add_f32_e32 v5, v5, v7
	v_mov_b32_e32 v7, 0
	s_wait_alu 0xfffe
	s_lshl_b64 s[4:5], s[4:5], 2
	s_wait_alu 0xfffe
	s_add_nc_u64 s[4:5], s[0:1], s[4:5]
	global_store_b32 v7, v5, s[4:5]
.LBB130_43:
	s_wait_alu 0xfffe
	s_or_b32 exec_lo, exec_lo, s2
	ds_bpermute_b32 v0, v0, v6
	s_wait_dscnt 0x0
	v_add_f32_e32 v0, v6, v0
	ds_bpermute_b32 v1, v1, v0
	s_wait_dscnt 0x0
	v_add_f32_e32 v0, v0, v1
	ds_bpermute_b32 v1, v2, v0
	s_wait_dscnt 0x0
	v_add_f32_e32 v0, v0, v1
	ds_bpermute_b32 v1, v3, v0
	s_wait_dscnt 0x0
	v_add_f32_e32 v0, v0, v1
	ds_bpermute_b32 v1, v4, v0
	s_and_b32 exec_lo, exec_lo, vcc_lo
	s_cbranch_execz .LBB130_45
; %bb.44:
	s_mul_i32 s2, s6, 6
	s_mov_b32 s3, 0
	s_wait_dscnt 0x0
	v_dual_add_f32 v0, v0, v1 :: v_dual_mov_b32 v1, 0
	s_wait_alu 0xfffe
	s_lshl_b64 s[2:3], s[2:3], 2
	s_wait_alu 0xfffe
	s_add_nc_u64 s[0:1], s[0:1], s[2:3]
	global_store_b32 v1, v0, s[0:1]
.LBB130_45:
	s_endpgm
	.section	.rodata,"a",@progbits
	.p2align	6, 0x0
	.amdhsa_kernel _ZL13mul_mat_vec_qIL9ggml_type12ELi7ELb0ELb0EEvPKvS2_PKi31ggml_cuda_mm_fusion_args_devicePfj15HIP_vector_typeIjLj3EEjjjS8_jjjS8_jjjj
		.amdhsa_group_segment_fixed_size 0
		.amdhsa_private_segment_fixed_size 0
		.amdhsa_kernarg_size 144
		.amdhsa_user_sgpr_count 2
		.amdhsa_user_sgpr_dispatch_ptr 0
		.amdhsa_user_sgpr_queue_ptr 0
		.amdhsa_user_sgpr_kernarg_segment_ptr 1
		.amdhsa_user_sgpr_dispatch_id 0
		.amdhsa_user_sgpr_private_segment_size 0
		.amdhsa_wavefront_size32 1
		.amdhsa_uses_dynamic_stack 0
		.amdhsa_enable_private_segment 0
		.amdhsa_system_sgpr_workgroup_id_x 1
		.amdhsa_system_sgpr_workgroup_id_y 1
		.amdhsa_system_sgpr_workgroup_id_z 1
		.amdhsa_system_sgpr_workgroup_info 0
		.amdhsa_system_vgpr_workitem_id 1
		.amdhsa_next_free_vgpr 83
		.amdhsa_next_free_sgpr 28
		.amdhsa_reserve_vcc 1
		.amdhsa_float_round_mode_32 0
		.amdhsa_float_round_mode_16_64 0
		.amdhsa_float_denorm_mode_32 3
		.amdhsa_float_denorm_mode_16_64 3
		.amdhsa_fp16_overflow 0
		.amdhsa_workgroup_processor_mode 1
		.amdhsa_memory_ordered 1
		.amdhsa_forward_progress 1
		.amdhsa_inst_pref_size 41
		.amdhsa_round_robin_scheduling 0
		.amdhsa_exception_fp_ieee_invalid_op 0
		.amdhsa_exception_fp_denorm_src 0
		.amdhsa_exception_fp_ieee_div_zero 0
		.amdhsa_exception_fp_ieee_overflow 0
		.amdhsa_exception_fp_ieee_underflow 0
		.amdhsa_exception_fp_ieee_inexact 0
		.amdhsa_exception_int_div_zero 0
	.end_amdhsa_kernel
	.section	.text._ZL13mul_mat_vec_qIL9ggml_type12ELi7ELb0ELb0EEvPKvS2_PKi31ggml_cuda_mm_fusion_args_devicePfj15HIP_vector_typeIjLj3EEjjjS8_jjjS8_jjjj,"axG",@progbits,_ZL13mul_mat_vec_qIL9ggml_type12ELi7ELb0ELb0EEvPKvS2_PKi31ggml_cuda_mm_fusion_args_devicePfj15HIP_vector_typeIjLj3EEjjjS8_jjjS8_jjjj,comdat
.Lfunc_end130:
	.size	_ZL13mul_mat_vec_qIL9ggml_type12ELi7ELb0ELb0EEvPKvS2_PKi31ggml_cuda_mm_fusion_args_devicePfj15HIP_vector_typeIjLj3EEjjjS8_jjjS8_jjjj, .Lfunc_end130-_ZL13mul_mat_vec_qIL9ggml_type12ELi7ELb0ELb0EEvPKvS2_PKi31ggml_cuda_mm_fusion_args_devicePfj15HIP_vector_typeIjLj3EEjjjS8_jjjS8_jjjj
                                        ; -- End function
	.set _ZL13mul_mat_vec_qIL9ggml_type12ELi7ELb0ELb0EEvPKvS2_PKi31ggml_cuda_mm_fusion_args_devicePfj15HIP_vector_typeIjLj3EEjjjS8_jjjS8_jjjj.num_vgpr, 83
	.set _ZL13mul_mat_vec_qIL9ggml_type12ELi7ELb0ELb0EEvPKvS2_PKi31ggml_cuda_mm_fusion_args_devicePfj15HIP_vector_typeIjLj3EEjjjS8_jjjS8_jjjj.num_agpr, 0
	.set _ZL13mul_mat_vec_qIL9ggml_type12ELi7ELb0ELb0EEvPKvS2_PKi31ggml_cuda_mm_fusion_args_devicePfj15HIP_vector_typeIjLj3EEjjjS8_jjjS8_jjjj.numbered_sgpr, 28
	.set _ZL13mul_mat_vec_qIL9ggml_type12ELi7ELb0ELb0EEvPKvS2_PKi31ggml_cuda_mm_fusion_args_devicePfj15HIP_vector_typeIjLj3EEjjjS8_jjjS8_jjjj.num_named_barrier, 0
	.set _ZL13mul_mat_vec_qIL9ggml_type12ELi7ELb0ELb0EEvPKvS2_PKi31ggml_cuda_mm_fusion_args_devicePfj15HIP_vector_typeIjLj3EEjjjS8_jjjS8_jjjj.private_seg_size, 0
	.set _ZL13mul_mat_vec_qIL9ggml_type12ELi7ELb0ELb0EEvPKvS2_PKi31ggml_cuda_mm_fusion_args_devicePfj15HIP_vector_typeIjLj3EEjjjS8_jjjS8_jjjj.uses_vcc, 1
	.set _ZL13mul_mat_vec_qIL9ggml_type12ELi7ELb0ELb0EEvPKvS2_PKi31ggml_cuda_mm_fusion_args_devicePfj15HIP_vector_typeIjLj3EEjjjS8_jjjS8_jjjj.uses_flat_scratch, 0
	.set _ZL13mul_mat_vec_qIL9ggml_type12ELi7ELb0ELb0EEvPKvS2_PKi31ggml_cuda_mm_fusion_args_devicePfj15HIP_vector_typeIjLj3EEjjjS8_jjjS8_jjjj.has_dyn_sized_stack, 0
	.set _ZL13mul_mat_vec_qIL9ggml_type12ELi7ELb0ELb0EEvPKvS2_PKi31ggml_cuda_mm_fusion_args_devicePfj15HIP_vector_typeIjLj3EEjjjS8_jjjS8_jjjj.has_recursion, 0
	.set _ZL13mul_mat_vec_qIL9ggml_type12ELi7ELb0ELb0EEvPKvS2_PKi31ggml_cuda_mm_fusion_args_devicePfj15HIP_vector_typeIjLj3EEjjjS8_jjjS8_jjjj.has_indirect_call, 0
	.section	.AMDGPU.csdata,"",@progbits
; Kernel info:
; codeLenInByte = 5200
; TotalNumSgprs: 30
; NumVgprs: 83
; ScratchSize: 0
; MemoryBound: 0
; FloatMode: 240
; IeeeMode: 1
; LDSByteSize: 0 bytes/workgroup (compile time only)
; SGPRBlocks: 0
; VGPRBlocks: 10
; NumSGPRsForWavesPerEU: 30
; NumVGPRsForWavesPerEU: 83
; Occupancy: 16
; WaveLimiterHint : 0
; COMPUTE_PGM_RSRC2:SCRATCH_EN: 0
; COMPUTE_PGM_RSRC2:USER_SGPR: 2
; COMPUTE_PGM_RSRC2:TRAP_HANDLER: 0
; COMPUTE_PGM_RSRC2:TGID_X_EN: 1
; COMPUTE_PGM_RSRC2:TGID_Y_EN: 1
; COMPUTE_PGM_RSRC2:TGID_Z_EN: 1
; COMPUTE_PGM_RSRC2:TIDIG_COMP_CNT: 1
	.section	.text._ZL13mul_mat_vec_qIL9ggml_type12ELi8ELb0ELb0EEvPKvS2_PKi31ggml_cuda_mm_fusion_args_devicePfj15HIP_vector_typeIjLj3EEjjjS8_jjjS8_jjjj,"axG",@progbits,_ZL13mul_mat_vec_qIL9ggml_type12ELi8ELb0ELb0EEvPKvS2_PKi31ggml_cuda_mm_fusion_args_devicePfj15HIP_vector_typeIjLj3EEjjjS8_jjjS8_jjjj,comdat
	.globl	_ZL13mul_mat_vec_qIL9ggml_type12ELi8ELb0ELb0EEvPKvS2_PKi31ggml_cuda_mm_fusion_args_devicePfj15HIP_vector_typeIjLj3EEjjjS8_jjjS8_jjjj ; -- Begin function _ZL13mul_mat_vec_qIL9ggml_type12ELi8ELb0ELb0EEvPKvS2_PKi31ggml_cuda_mm_fusion_args_devicePfj15HIP_vector_typeIjLj3EEjjjS8_jjjS8_jjjj
	.p2align	8
	.type	_ZL13mul_mat_vec_qIL9ggml_type12ELi8ELb0ELb0EEvPKvS2_PKi31ggml_cuda_mm_fusion_args_devicePfj15HIP_vector_typeIjLj3EEjjjS8_jjjS8_jjjj,@function
_ZL13mul_mat_vec_qIL9ggml_type12ELi8ELb0ELb0EEvPKvS2_PKi31ggml_cuda_mm_fusion_args_devicePfj15HIP_vector_typeIjLj3EEjjjS8_jjjS8_jjjj: ; @_ZL13mul_mat_vec_qIL9ggml_type12ELi8ELb0ELb0EEvPKvS2_PKi31ggml_cuda_mm_fusion_args_devicePfj15HIP_vector_typeIjLj3EEjjjS8_jjjS8_jjjj
; %bb.0:
	s_clause 0x5
	s_load_b96 s[16:18], s[0:1], 0x80
	s_load_b32 s12, s[0:1], 0x40
	s_load_b128 s[4:7], s[0:1], 0x50
	s_load_b32 s2, s[0:1], 0x60
	s_load_b128 s[8:11], s[0:1], 0x68
	s_load_b32 s3, s[0:1], 0x78
	v_bfe_u32 v13, v0, 10, 10
	v_dual_mov_b32 v6, 0 :: v_dual_and_b32 v9, 0x3ff, v0
	v_dual_mov_b32 v7, 0 :: v_dual_mov_b32 v8, 0
	v_dual_mov_b32 v10, 0 :: v_dual_mov_b32 v11, 0
	s_delay_alu instid0(VALU_DEP_3)
	v_lshl_or_b32 v0, v13, 5, v9
	v_mov_b32_e32 v12, 0
	v_mov_b32_e32 v14, 0
	;; [unrolled: 1-line block ×3, first 2 shown]
	s_and_b32 s19, ttmp7, 0xffff
	v_lshrrev_b32_e32 v15, 4, v0
	s_lshr_b32 s22, ttmp7, 16
	s_mov_b32 s23, exec_lo
	s_wait_kmcnt 0x0
	s_lshr_b32 s24, s12, 8
	s_delay_alu instid0(SALU_CYCLE_1)
	v_cmpx_gt_u32_e64 s24, v15
	s_cbranch_execz .LBB131_34
; %bb.1:
	s_load_b128 s[12:15], s[0:1], 0x0
	v_lshl_add_u32 v0, v13, 5, v9
	v_bfe_u32 v3, v9, 2, 2
	v_lshlrev_b32_e32 v2, 1, v9
	s_mul_hi_u32 s7, s7, s19
	s_mul_hi_u32 s11, s11, s22
	v_lshrrev_b32_e32 v5, 4, v0
	v_mul_hi_u32_u24_e32 v1, 0x48, v3
	v_mul_u32_u24_e32 v0, 0x48, v3
	s_mul_i32 s20, s17, s22
	s_mov_b32 s21, 0
	s_add_co_i32 s7, s19, s7
	s_add_co_i32 s11, s22, s11
	v_mad_co_u64_u32 v[0:1], null, 0x120, v5, v[0:1]
	s_mul_u64 s[26:27], s[20:21], 36
	s_mul_i32 s20, s9, s19
	s_lshr_b32 s7, s7, s2
	v_bfe_u32 v7, v2, 3, 2
	s_lshr_b32 s11, s11, s3
	s_mul_u64 s[2:3], s[20:21], 36
	s_mul_i32 s7, s7, s8
	s_wait_kmcnt 0x0
	s_add_nc_u64 s[8:9], s[14:15], s[26:27]
	v_dual_mov_b32 v11, 0 :: v_dual_and_b32 v4, 30, v2
	s_add_nc_u64 s[8:9], s[8:9], s[2:3]
	v_lshlrev_b32_e32 v2, 1, v7
	v_add_co_u32 v3, s2, s8, v0
	v_and_b32_e32 v8, 3, v9
	v_cmp_lt_u32_e32 vcc_lo, 15, v4
	v_add_co_ci_u32_e64 v4, null, s9, v1, s2
	v_mad_co_u64_u32 v[0:1], null, v2, 36, s[8:9]
	v_add_co_u32 v2, s2, v3, 36
	s_mul_i32 s4, s4, ttmp9
	v_dual_mov_b32 v6, 0 :: v_dual_lshlrev_b32 v17, 5, v7
	v_lshlrev_b32_e32 v18, 2, v8
	s_wait_alu 0xf1ff
	v_add_co_ci_u32_e64 v3, null, 0, v4, s2
	v_lshlrev_b32_e32 v19, 3, v15
	v_lshlrev_b32_e32 v20, 1, v7
	v_dual_mov_b32 v10, 0 :: v_dual_lshlrev_b32 v21, 2, v8
	v_dual_mov_b32 v7, 0 :: v_dual_mov_b32 v8, 0
	v_mov_b32_e32 v12, 0
	v_mov_b32_e32 v14, 0
	;; [unrolled: 1-line block ×3, first 2 shown]
	s_mul_i32 s11, s11, s16
	s_add_co_i32 s7, s7, s4
	s_mul_i32 s8, s5, 3
	s_add_co_i32 s4, s11, s7
	s_lshl_b32 s7, s5, 1
	s_lshl_b32 s9, s5, 2
	s_mul_i32 s11, s5, 5
	s_mul_i32 s14, s5, 6
	;; [unrolled: 1-line block ×3, first 2 shown]
	s_branch .LBB131_3
.LBB131_2:                              ;   in Loop: Header=BB131_3 Depth=1
	s_wait_alu 0xfffe
	s_or_b32 exec_lo, exec_lo, s2
	s_wait_loadcnt 0x32
	v_and_b32_e32 v4, 0xf0f0f0f, v57
	s_wait_loadcnt 0x31
	v_and_b32_e32 v5, 0xf0f0f0f, v56
	v_lshrrev_b32_e32 v57, 4, v57
	s_wait_loadcnt 0xa
	v_dot4_i32_iu8 v61, 0x1010101, v87, 0 neg_lo:[1,1,0]
	v_and_b32_e32 v88, 0xff, v64
	v_dot4_i32_iu8 v87, v4, v87, 0 neg_lo:[1,1,0]
	v_lshrrev_b32_e32 v56, 4, v56
	v_and_b32_e32 v57, 0xf0f0f0f, v57
	s_wait_loadcnt 0x9
	v_dot4_i32_iu8 v61, 0x1010101, v85, v61 neg_lo:[1,1,0]
	v_and_b32_e32 v89, 0xff, v62
	v_dot4_i32_iu8 v85, v5, v85, v87 neg_lo:[1,1,0]
	s_wait_loadcnt 0x8
	v_dot4_i32_iu8 v87, 0x1010101, v86, 0 neg_lo:[1,1,0]
	v_and_b32_e32 v88, 0xffff, v88
	v_lshrrev_b16 v64, 8, v64
	v_and_b32_e32 v56, 0xf0f0f0f, v56
	v_dot4_i32_iu8 v86, v57, v86, 0 neg_lo:[1,1,0]
	s_wait_loadcnt 0x7
	v_dot4_i32_iu8 v87, 0x1010101, v84, v87 neg_lo:[1,1,0]
	v_lshrrev_b16 v62, 8, v62
	v_and_b32_e32 v89, 0xffff, v89
	v_mul_lo_u32 v61, v61, v88
	v_and_b32_e32 v64, 0xffff, v64
	v_dot4_i32_iu8 v84, v56, v84, v86 neg_lo:[1,1,0]
	v_and_b32_e32 v62, 0xffff, v62
	v_mul_lo_u32 v85, v85, v89
	v_add_nc_u32_e32 v15, 2, v15
	v_mul_lo_u32 v64, v87, v64
	v_add_co_u32 v2, s3, 0x240, v2
	v_cvt_f32_i32_e32 v61, v61
	v_mul_lo_u32 v62, v84, v62
	v_lshrrev_b32_e32 v84, 16, v22
	v_cvt_f32_i32_e32 v85, v85
	v_cmp_le_u32_e64 s2, s24, v15
	v_fma_mix_f32 v61, v81, v61, 0 op_sel_hi:[1,0,0]
	v_cvt_f32_i32_e32 v64, v64
	v_cvt_f32_f16_e32 v84, v84
	v_fma_mix_f32 v81, v81, v85, 0 op_sel_hi:[1,0,0]
	v_cvt_f32_i32_e32 v62, v62
	s_wait_alu 0xf1ff
	v_add_co_ci_u32_e64 v3, null, 0, v3, s3
	s_wait_loadcnt 0x6
	v_fma_mix_f32 v61, v82, v64, v61 op_sel_hi:[1,0,0]
	v_add_nc_u32_e32 v19, 16, v19
	v_fma_mix_f32 v62, v82, v62, v81 op_sel_hi:[1,0,0]
	v_and_b32_e32 v81, 0xff, v76
	v_lshrrev_b16 v76, 8, v76
	v_mul_f32_e32 v61, v61, v84
	s_wait_loadcnt 0x4
	v_dot4_i32_iu8 v64, v4, v83, 0 neg_lo:[1,1,0]
	s_or_b32 s21, s2, s21
	v_and_b32_e32 v81, 0xffff, v81
	v_fma_mix_f32 v61, v62, v22, -v61 op_sel_hi:[0,1,0]
	v_dot4_i32_iu8 v62, 0x1010101, v78, 0 neg_lo:[1,1,0]
	v_dot4_i32_iu8 v78, v4, v78, 0 neg_lo:[1,1,0]
	s_delay_alu instid0(VALU_DEP_3) | instskip(SKIP_1) | instid1(VALU_DEP_3)
	v_add_f32_e32 v7, v7, v61
	v_and_b32_e32 v61, 0xff, v77
	v_dot4_i32_iu8 v78, v5, v75, v78 neg_lo:[1,1,0]
	v_dot4_i32_iu8 v62, 0x1010101, v75, v62 neg_lo:[1,1,0]
	v_dot4_i32_iu8 v75, v57, v74, 0 neg_lo:[1,1,0]
	v_dot4_i32_iu8 v74, 0x1010101, v74, 0 neg_lo:[1,1,0]
	v_and_b32_e32 v61, 0xffff, v61
	v_lshrrev_b16 v77, 8, v77
	v_mul_lo_u32 v78, v78, v81
	v_dot4_i32_iu8 v75, v56, v73, v75 neg_lo:[1,1,0]
	v_dot4_i32_iu8 v73, 0x1010101, v73, v74 neg_lo:[1,1,0]
	v_mul_lo_u32 v61, v62, v61
	v_and_b32_e32 v74, 0xffff, v76
	v_and_b32_e32 v76, 0xffff, v77
	s_wait_loadcnt 0x2
	v_dot4_i32_iu8 v77, v57, v79, 0 neg_lo:[1,1,0]
	v_dot4_i32_iu8 v62, 0x1010101, v83, 0 neg_lo:[1,1,0]
	v_cvt_f32_i32_e32 v78, v78
	v_mul_lo_u32 v74, v75, v74
	v_mul_lo_u32 v73, v73, v76
	v_cvt_f32_i32_e32 v61, v61
	s_wait_loadcnt 0x1
	v_dot4_i32_iu8 v75, v56, v72, v77 neg_lo:[1,1,0]
	v_dot4_i32_iu8 v77, v4, v69, 0 neg_lo:[1,1,0]
	v_fma_mix_f32 v76, v71, v78, 0 op_sel_hi:[1,0,0]
	v_dot4_i32_iu8 v69, 0x1010101, v69, 0 neg_lo:[1,1,0]
	v_fma_mix_f32 v61, v71, v61, 0 op_sel_hi:[1,0,0]
	v_cvt_f32_i32_e32 v71, v74
	v_dot4_i32_iu8 v74, v5, v65, v77 neg_lo:[1,1,0]
	v_and_b32_e32 v77, 0xff, v68
	v_dot4_i32_iu8 v65, 0x1010101, v65, v69 neg_lo:[1,1,0]
	v_dot4_i32_iu8 v69, 0x1010101, v66, 0 neg_lo:[1,1,0]
	v_and_b32_e32 v78, 0xff, v67
	v_lshrrev_b16 v68, 8, v68
	v_and_b32_e32 v77, 0xffff, v77
	v_dot4_i32_iu8 v66, v57, v66, 0 neg_lo:[1,1,0]
	v_dot4_i32_iu8 v69, 0x1010101, v63, v69 neg_lo:[1,1,0]
	v_lshrrev_b16 v67, 8, v67
	v_and_b32_e32 v78, 0xffff, v78
	v_mul_lo_u32 v65, v65, v77
	v_and_b32_e32 v68, 0xffff, v68
	v_dot4_i32_iu8 v63, v56, v63, v66 neg_lo:[1,1,0]
	v_and_b32_e32 v67, 0xffff, v67
	v_mul_lo_u32 v66, v74, v78
	v_cvt_f32_i32_e32 v73, v73
	v_mul_lo_u32 v68, v69, v68
	v_dot4_i32_iu8 v62, 0x1010101, v80, v62 neg_lo:[1,1,0]
	v_cvt_f32_i32_e32 v65, v65
	v_mul_lo_u32 v63, v63, v67
	v_fma_mix_f32 v61, v70, v73, v61 op_sel_hi:[1,0,0]
	v_fma_mix_f32 v70, v70, v71, v76 op_sel_hi:[1,0,0]
	v_cvt_f32_i32_e32 v66, v66
	v_fma_mix_f32 v65, v60, v65, 0 op_sel_hi:[1,0,0]
	v_cvt_f32_i32_e32 v67, v68
	v_dot4_i32_iu8 v68, v4, v53, 0 neg_lo:[1,1,0]
	v_and_b32_e32 v71, 0xff, v55
	v_fma_mix_f32 v60, v60, v66, 0 op_sel_hi:[1,0,0]
	v_cvt_f32_i32_e32 v63, v63
	v_fma_mix_f32 v65, v58, v67, v65 op_sel_hi:[1,0,0]
	v_dot4_i32_iu8 v66, v5, v50, v68 neg_lo:[1,1,0]
	v_and_b32_e32 v67, 0xffff, v71
	v_dot4_i32_iu8 v53, 0x1010101, v53, 0 neg_lo:[1,1,0]
	v_lshrrev_b16 v55, 8, v55
	v_and_b32_e32 v71, 0xff, v54
	v_fma_mix_f32 v58, v58, v63, v60 op_sel_hi:[1,0,0]
	v_mul_f32_e32 v60, v65, v84
	v_dot4_i32_iu8 v68, v57, v52, 0 neg_lo:[1,1,0]
	v_mul_lo_u32 v66, v66, v67
	v_dot4_i32_iu8 v50, 0x1010101, v50, v53 neg_lo:[1,1,0]
	v_dot4_i32_iu8 v52, 0x1010101, v52, 0 neg_lo:[1,1,0]
	v_and_b32_e32 v67, 0xffff, v71
	v_dot4_i32_iu8 v53, v56, v48, v68 neg_lo:[1,1,0]
	v_and_b32_e32 v55, 0xffff, v55
	v_lshrrev_b16 v54, 8, v54
	v_dot4_i32_iu8 v48, 0x1010101, v48, v52 neg_lo:[1,1,0]
	v_mul_lo_u32 v50, v50, v67
	v_mul_f32_e32 v61, v61, v84
	v_mul_lo_u32 v53, v53, v55
	v_and_b32_e32 v54, 0xffff, v54
	v_cvt_f32_i32_e32 v52, v66
	v_dot4_i32_iu8 v69, 0x1010101, v79, 0 neg_lo:[1,1,0]
	v_fma_mix_f32 v55, v70, v22, -v61 op_sel_hi:[0,1,0]
	s_delay_alu instid0(VALU_DEP_4) | instskip(NEXT) | instid1(VALU_DEP_4)
	v_mul_lo_u32 v48, v48, v54
	v_fma_mix_f32 v52, v47, v52, 0 op_sel_hi:[1,0,0]
	v_cvt_f32_i32_e32 v50, v50
	v_cvt_f32_i32_e32 v53, v53
	v_add_f32_e32 v8, v8, v55
	v_fma_mix_f32 v55, v58, v22, -v60 op_sel_hi:[0,1,0]
	v_and_b32_e32 v58, 0xff, v44
	v_fma_mix_f32 v47, v47, v50, 0 op_sel_hi:[1,0,0]
	v_fma_mix_f32 v50, v46, v53, v52 op_sel_hi:[1,0,0]
	v_cvt_f32_i32_e32 v48, v48
	v_dot4_i32_iu8 v52, v4, v45, 0 neg_lo:[1,1,0]
	v_dot4_i32_iu8 v45, 0x1010101, v45, 0 neg_lo:[1,1,0]
	v_and_b32_e32 v53, 0xff, v42
	v_lshrrev_b16 v44, 8, v44
	v_fma_mix_f32 v46, v46, v48, v47 op_sel_hi:[1,0,0]
	v_dot4_i32_iu8 v47, v5, v43, v52 neg_lo:[1,1,0]
	v_dot4_i32_iu8 v43, 0x1010101, v43, v45 neg_lo:[1,1,0]
	v_and_b32_e32 v45, 0xffff, v53
	v_and_b32_e32 v48, 0xffff, v58
	v_dot4_i32_iu8 v52, 0x1010101, v41, 0 neg_lo:[1,1,0]
	v_mul_f32_e32 v46, v46, v84
	v_and_b32_e32 v44, 0xffff, v44
	v_mul_lo_u32 v45, v47, v45
	v_mul_lo_u32 v43, v43, v48
	v_dot4_i32_iu8 v47, 0x1010101, v40, v52 neg_lo:[1,1,0]
	v_fma_mix_f32 v46, v50, v22, -v46 op_sel_hi:[0,1,0]
	v_dot4_i32_iu8 v41, v57, v41, 0 neg_lo:[1,1,0]
	v_lshrrev_b16 v42, 8, v42
	v_dot4_i32_iu8 v64, v5, v80, v64 neg_lo:[1,1,0]
	v_mul_lo_u32 v44, v47, v44
	v_cvt_f32_i32_e32 v45, v45
	v_cvt_f32_i32_e32 v43, v43
	v_add_f32_e32 v11, v11, v46
	v_dot4_i32_iu8 v40, v56, v40, v41 neg_lo:[1,1,0]
	v_and_b32_e32 v41, 0xffff, v42
	v_fma_mix_f32 v42, v39, v45, 0 op_sel_hi:[1,0,0]
	v_fma_mix_f32 v39, v39, v43, 0 op_sel_hi:[1,0,0]
	v_dot4_i32_iu8 v43, v4, v37, 0 neg_lo:[1,1,0]
	v_dot4_i32_iu8 v37, 0x1010101, v37, 0 neg_lo:[1,1,0]
	v_mul_lo_u32 v40, v40, v41
	v_cvt_f32_i32_e32 v41, v44
	v_and_b32_e32 v44, 0xff, v35
	v_dot4_i32_iu8 v43, v5, v34, v43 neg_lo:[1,1,0]
	v_dot4_i32_iu8 v34, 0x1010101, v34, v37 neg_lo:[1,1,0]
	v_and_b32_e32 v37, 0xff, v36
	v_dot4_i32_iu8 v45, v57, v33, 0 neg_lo:[1,1,0]
	v_and_b32_e32 v44, 0xffff, v44
	v_dot4_i32_iu8 v33, 0x1010101, v33, 0 neg_lo:[1,1,0]
	v_lshrrev_b16 v36, 8, v36
	v_and_b32_e32 v37, 0xffff, v37
	v_lshrrev_b16 v35, 8, v35
	v_mul_lo_u32 v43, v43, v44
	v_dot4_i32_iu8 v44, v56, v32, v45 neg_lo:[1,1,0]
	v_dot4_i32_iu8 v32, 0x1010101, v32, v33 neg_lo:[1,1,0]
	v_mul_lo_u32 v33, v34, v37
	v_and_b32_e32 v34, 0xffff, v35
	v_and_b32_e32 v35, 0xffff, v36
	v_cvt_f32_i32_e32 v36, v40
	v_fma_mix_f32 v37, v38, v41, v39 op_sel_hi:[1,0,0]
	v_cvt_f32_i32_e32 v39, v43
	v_mul_lo_u32 v34, v44, v34
	v_mul_lo_u32 v32, v32, v35
	v_cvt_f32_i32_e32 v33, v33
	v_fma_mix_f32 v35, v38, v36, v42 op_sel_hi:[1,0,0]
	v_mul_f32_e32 v36, v37, v84
	v_dot4_i32_iu8 v4, v4, v29, 0 neg_lo:[1,1,0]
	v_fma_mix_f32 v37, v31, v39, 0 op_sel_hi:[1,0,0]
	v_fma_mix_f32 v31, v31, v33, 0 op_sel_hi:[1,0,0]
	v_cvt_f32_i32_e32 v33, v34
	v_cvt_f32_i32_e32 v32, v32
	v_dot4_i32_iu8 v4, v5, v28, v4 neg_lo:[1,1,0]
	v_dot4_i32_iu8 v5, 0x1010101, v29, 0 neg_lo:[1,1,0]
	v_bfe_u32 v29, v26, 16, 8
	v_fma_mix_f32 v33, v30, v33, v37 op_sel_hi:[1,0,0]
	v_fma_mix_f32 v30, v30, v32, v31 op_sel_hi:[1,0,0]
	v_dot4_i32_iu8 v31, v57, v27, 0 neg_lo:[1,1,0]
	v_dot4_i32_iu8 v5, 0x1010101, v28, v5 neg_lo:[1,1,0]
	v_mul_lo_u32 v4, v4, v29
	v_dot4_i32_iu8 v27, 0x1010101, v27, 0 neg_lo:[1,1,0]
	v_lshrrev_b16 v28, 8, v26
	v_dot4_i32_iu8 v29, v56, v25, v31 neg_lo:[1,1,0]
	v_and_b32_e32 v31, 0xff, v26
	v_and_b32_e32 v32, 0xff00ff, v59
	v_dot4_i32_iu8 v25, 0x1010101, v25, v27 neg_lo:[1,1,0]
	v_and_b32_e32 v27, 0xffff, v28
	v_dot4_i32_iu8 v54, 0x1010101, v72, v69 neg_lo:[1,1,0]
	v_mul_lo_u32 v5, v5, v31
	v_lshrrev_b32_e32 v28, 16, v32
	v_pk_lshrrev_b16 v31, 8, v59 op_sel_hi:[0,1]
	v_and_b32_e32 v32, 0xff, v32
	v_cvt_f32_i32_e32 v4, v4
	v_lshrrev_b32_e32 v26, 24, v26
	v_mul_lo_u32 v28, v62, v28
	v_lshrrev_b32_e32 v34, 16, v31
	v_cvt_f32_i32_e32 v5, v5
	v_mul_lo_u32 v25, v25, v27
	v_mul_lo_u32 v27, v64, v32
	v_and_b32_e32 v31, 0xff, v31
	v_mul_lo_u32 v32, v54, v34
	v_fma_mix_f32 v4, v24, v4, 0 op_sel_hi:[1,0,0]
	v_cvt_f32_i32_e32 v28, v28
	v_mul_lo_u32 v26, v29, v26
	v_fma_mix_f32 v5, v24, v5, 0 op_sel_hi:[1,0,0]
	v_mul_lo_u32 v24, v75, v31
	v_cvt_f32_i32_e32 v25, v25
	v_cvt_f32_i32_e32 v27, v27
	v_fma_mix_f32 v28, v49, v28, 0 op_sel_hi:[1,0,0]
	v_cvt_f32_i32_e32 v29, v32
	v_add_f32_e32 v10, v10, v55
	v_cvt_f32_i32_e32 v26, v26
	v_fma_mix_f32 v5, v23, v25, v5 op_sel_hi:[1,0,0]
	v_fma_mix_f32 v25, v49, v27, 0 op_sel_hi:[1,0,0]
	v_cvt_f32_i32_e32 v24, v24
	s_wait_loadcnt 0x0
	v_fma_mix_f32 v27, v51, v29, v28 op_sel_hi:[1,0,0]
	v_mul_f32_e32 v28, v30, v84
	v_fma_mix_f32 v4, v23, v26, v4 op_sel_hi:[1,0,0]
	v_mul_f32_e32 v5, v5, v84
	;; [unrolled: 2-line block ×3, first 2 shown]
	v_fma_mix_f32 v25, v35, v22, -v36 op_sel_hi:[0,1,0]
	v_fma_mix_f32 v26, v33, v22, -v28 op_sel_hi:[0,1,0]
	;; [unrolled: 1-line block ×3, first 2 shown]
	s_delay_alu instid0(VALU_DEP_4) | instskip(NEXT) | instid1(VALU_DEP_4)
	v_fma_mix_f32 v5, v23, v22, -v24 op_sel_hi:[0,1,0]
	v_add_f32_e32 v12, v12, v25
	s_delay_alu instid0(VALU_DEP_4) | instskip(NEXT) | instid1(VALU_DEP_4)
	v_add_f32_e32 v14, v14, v26
	v_add_f32_e32 v16, v16, v4
	s_delay_alu instid0(VALU_DEP_4)
	v_add_f32_e32 v6, v6, v5
	s_and_not1_b32 exec_lo, exec_lo, s21
	s_cbranch_execz .LBB131_33
.LBB131_3:                              ; =>This Inner Loop Header: Depth=1
	v_add_nc_u32_e32 v4, s4, v15
                                        ; implicit-def: $vgpr61
	s_delay_alu instid0(VALU_DEP_1) | instskip(NEXT) | instid1(VALU_DEP_1)
	v_mad_co_i64_i32 v[4:5], null, 0x90, v4, s[12:13]
	v_add_co_u32 v22, s2, v4, v17
	s_wait_alu 0xf1ff
	s_delay_alu instid0(VALU_DEP_2) | instskip(NEXT) | instid1(VALU_DEP_2)
	v_add_co_ci_u32_e64 v23, null, 0, v5, s2
	v_add_co_u32 v22, s2, v22, v18
	s_wait_alu 0xf1ff
	s_delay_alu instid0(VALU_DEP_2)
	v_add_co_ci_u32_e64 v23, null, 0, v23, s2
	v_add_co_u32 v25, s2, v2, v18
	s_wait_alu 0xf1ff
	v_add_co_ci_u32_e64 v26, null, 0, v3, s2
	s_clause 0x2
	global_load_b32 v57, v[22:23], off offset:16
	global_load_b32 v56, v[22:23], off offset:32
	global_load_b32 v22, v[4:5], off
	s_clause 0x5
	global_load_b32 v24, v[2:3], off offset:-36
	global_load_b32 v23, v[2:3], off
	global_load_b32 v29, v[25:26], off offset:-32
	global_load_b32 v28, v[25:26], off offset:-16
	global_load_b32 v27, v[25:26], off offset:4
	global_load_b32 v25, v[25:26], off offset:20
	v_add_co_u32 v4, s2, v4, v20
	s_wait_alu 0xf1ff
	v_add_co_ci_u32_e64 v5, null, 0, v5, s2
                                        ; implicit-def: $vgpr26
	s_and_saveexec_b32 s2, vcc_lo
	s_wait_alu 0xfffe
	s_xor_b32 s2, exec_lo, s2
	s_cbranch_execz .LBB131_5
; %bb.4:                                ;   in Loop: Header=BB131_3 Depth=1
	s_clause 0x1
	global_load_u16 v26, v[4:5], off offset:8
	global_load_u16 v30, v[4:5], off offset:4
	s_wait_loadcnt 0x1
	v_mov_b32_e32 v31, v26
	s_wait_loadcnt 0x0
	v_perm_b32 v61, v26, v30, 0x5040100
	s_delay_alu instid0(VALU_DEP_1) | instskip(NEXT) | instid1(VALU_DEP_1)
	v_pk_lshrrev_b16 v26, 2, v61
	v_and_b32_e32 v26, 0xf0f3030, v26
	global_load_d16_hi_b16 v31, v[4:5], off
	s_wait_loadcnt 0x0
	v_pk_lshrrev_b16 v30, 0x20004, v31
	s_delay_alu instid0(VALU_DEP_1)
	v_and_or_b32 v26, 0x30300f0f, v30, v26
.LBB131_5:                              ;   in Loop: Header=BB131_3 Depth=1
	s_wait_alu 0xfffe
	s_and_not1_saveexec_b32 s2, s2
	s_cbranch_execz .LBB131_7
; %bb.6:                                ;   in Loop: Header=BB131_3 Depth=1
	s_clause 0x1
	global_load_u16 v30, v[4:5], off offset:4
	global_load_u16 v31, v[4:5], off offset:8
	s_wait_loadcnt 0x0
	v_perm_b32 v26, v30, v31, 0x5040100
	v_perm_b32 v61, v31, v30, 0x5040100
	s_delay_alu instid0(VALU_DEP_2)
	v_and_b32_e32 v26, 0x3f3f3f3f, v26
.LBB131_7:                              ;   in Loop: Header=BB131_3 Depth=1
	s_wait_alu 0xfffe
	s_or_b32 exec_lo, exec_lo, s2
	v_add_nc_u32_e32 v30, s5, v19
	v_lshrrev_b32_e32 v72, 16, v61
	v_lshrrev_b16 v59, 2, v61
	s_delay_alu instid0(VALU_DEP_3) | instskip(NEXT) | instid1(VALU_DEP_3)
	v_mad_co_u64_u32 v[35:36], null, v30, 36, v[0:1]
	v_and_b32_e32 v49, 0xf0f, v72
	s_delay_alu instid0(VALU_DEP_2) | instskip(SKIP_1) | instid1(VALU_DEP_3)
	v_add_co_u32 v38, s2, v35, v21
	s_wait_alu 0xf1ff
	v_add_co_ci_u32_e64 v39, null, 0, v36, s2
	s_clause 0x5
	global_load_b32 v31, v[35:36], off
	global_load_b32 v37, v[38:39], off offset:4
	global_load_b32 v34, v[38:39], off offset:20
	;; [unrolled: 1-line block ×5, first 2 shown]
	v_lshrrev_b32_e32 v35, 20, v61
                                        ; implicit-def: $vgpr36
	s_delay_alu instid0(VALU_DEP_1)
	v_and_b32_e32 v51, 0xf0f, v35
                                        ; implicit-def: $vgpr35
	s_and_saveexec_b32 s2, vcc_lo
	s_wait_alu 0xfffe
	s_xor_b32 s2, exec_lo, s2
	s_cbranch_execz .LBB131_9
; %bb.8:                                ;   in Loop: Header=BB131_3 Depth=1
	global_load_u16 v35, v[4:5], off
	v_and_b32_e32 v36, 0x3030, v59
	s_delay_alu instid0(VALU_DEP_1) | instskip(SKIP_2) | instid1(VALU_DEP_1)
	v_or_b32_e32 v36, v36, v51
	s_wait_loadcnt 0x0
	v_lshrrev_b16 v35, 2, v35
	v_and_b32_e32 v35, 0x3030, v35
	s_delay_alu instid0(VALU_DEP_1)
	v_or_b32_e32 v35, v35, v49
.LBB131_9:                              ;   in Loop: Header=BB131_3 Depth=1
	s_wait_alu 0xfffe
	s_or_saveexec_b32 s2, s2
	v_and_b32_e32 v62, 0x3f3f, v61
	v_and_b32_e32 v64, 0x3f3f, v72
	s_wait_alu 0xfffe
	s_xor_b32 exec_lo, exec_lo, s2
; %bb.10:                               ;   in Loop: Header=BB131_3 Depth=1
	v_and_b32_e32 v35, 0x3f3f, v61
	v_and_b32_e32 v36, 0x3f3f, v72
; %bb.11:                               ;   in Loop: Header=BB131_3 Depth=1
	s_or_b32 exec_lo, exec_lo, s2
	v_add_nc_u32_e32 v38, s7, v19
                                        ; implicit-def: $vgpr42
                                        ; implicit-def: $vgpr44
	s_delay_alu instid0(VALU_DEP_1) | instskip(NEXT) | instid1(VALU_DEP_1)
	v_mad_co_u64_u32 v[46:47], null, v38, 36, v[0:1]
	v_add_co_u32 v52, s2, v46, v21
	s_wait_alu 0xf1ff
	s_delay_alu instid0(VALU_DEP_2)
	v_add_co_ci_u32_e64 v53, null, 0, v47, s2
	s_clause 0x5
	global_load_b32 v39, v[46:47], off
	global_load_b32 v45, v[52:53], off offset:4
	global_load_b32 v43, v[52:53], off offset:20
	;; [unrolled: 1-line block ×5, first 2 shown]
	s_and_saveexec_b32 s2, vcc_lo
	s_wait_alu 0xfffe
	s_xor_b32 s2, exec_lo, s2
	s_cbranch_execz .LBB131_13
; %bb.12:                               ;   in Loop: Header=BB131_3 Depth=1
	global_load_u16 v42, v[4:5], off
	v_and_b32_e32 v44, 0x3030, v59
	s_delay_alu instid0(VALU_DEP_1) | instskip(SKIP_2) | instid1(VALU_DEP_1)
	v_or_b32_e32 v44, v44, v51
	s_wait_loadcnt 0x0
	v_lshrrev_b16 v42, 2, v42
	v_and_b32_e32 v42, 0x3030, v42
	s_delay_alu instid0(VALU_DEP_1)
	v_or_b32_e32 v42, v42, v49
.LBB131_13:                             ;   in Loop: Header=BB131_3 Depth=1
	s_wait_alu 0xfffe
	s_and_not1_saveexec_b32 s2, s2
; %bb.14:                               ;   in Loop: Header=BB131_3 Depth=1
	v_and_b32_e32 v42, 0x3f3f, v61
	v_and_b32_e32 v44, 0x3f3f, v72
; %bb.15:                               ;   in Loop: Header=BB131_3 Depth=1
	s_wait_alu 0xfffe
	s_or_b32 exec_lo, exec_lo, s2
	v_add_nc_u32_e32 v46, s8, v19
	s_delay_alu instid0(VALU_DEP_1) | instskip(NEXT) | instid1(VALU_DEP_1)
	v_mad_co_u64_u32 v[54:55], null, v46, 36, v[0:1]
	v_add_co_u32 v65, s2, v54, v21
	s_wait_alu 0xf1ff
	s_delay_alu instid0(VALU_DEP_2)
	v_add_co_ci_u32_e64 v66, null, 0, v55, s2
	s_clause 0x5
	global_load_b32 v47, v[54:55], off
	global_load_b32 v53, v[65:66], off offset:4
	global_load_b32 v50, v[65:66], off offset:20
	;; [unrolled: 1-line block ×5, first 2 shown]
                                        ; implicit-def: $vgpr55
                                        ; implicit-def: $vgpr54
	s_and_saveexec_b32 s2, vcc_lo
	s_wait_alu 0xfffe
	s_xor_b32 s2, exec_lo, s2
	s_cbranch_execz .LBB131_17
; %bb.16:                               ;   in Loop: Header=BB131_3 Depth=1
	global_load_u16 v54, v[4:5], off
	v_and_b32_e32 v58, 0x3030, v59
	s_wait_loadcnt 0x0
	v_lshrrev_b16 v54, 2, v54
	s_delay_alu instid0(VALU_DEP_1) | instskip(NEXT) | instid1(VALU_DEP_1)
	v_and_b32_e32 v54, 0x3030, v54
	v_or_b32_e32 v55, v54, v49
	v_or_b32_e32 v54, v58, v51
.LBB131_17:                             ;   in Loop: Header=BB131_3 Depth=1
	s_wait_alu 0xfffe
	s_and_not1_saveexec_b32 s2, s2
; %bb.18:                               ;   in Loop: Header=BB131_3 Depth=1
	v_and_b32_e32 v55, 0x3f3f, v61
	v_and_b32_e32 v54, 0x3f3f, v72
; %bb.19:                               ;   in Loop: Header=BB131_3 Depth=1
	s_wait_alu 0xfffe
	s_or_b32 exec_lo, exec_lo, s2
	v_add_nc_u32_e32 v58, s9, v19
	s_delay_alu instid0(VALU_DEP_1) | instskip(NEXT) | instid1(VALU_DEP_1)
	v_mad_co_u64_u32 v[67:68], null, v58, 36, v[0:1]
	v_add_co_u32 v70, s2, v67, v21
	s_wait_alu 0xf1ff
	s_delay_alu instid0(VALU_DEP_2)
	v_add_co_ci_u32_e64 v71, null, 0, v68, s2
	s_clause 0x5
	global_load_b32 v60, v[67:68], off
	global_load_b32 v69, v[70:71], off offset:4
	global_load_b32 v65, v[70:71], off offset:20
	;; [unrolled: 1-line block ×5, first 2 shown]
                                        ; implicit-def: $vgpr67
                                        ; implicit-def: $vgpr68
	s_and_saveexec_b32 s2, vcc_lo
	s_wait_alu 0xfffe
	s_xor_b32 s2, exec_lo, s2
	s_cbranch_execz .LBB131_21
; %bb.20:                               ;   in Loop: Header=BB131_3 Depth=1
	global_load_u16 v67, v[4:5], off
	v_and_b32_e32 v68, 0x3030, v59
	s_delay_alu instid0(VALU_DEP_1) | instskip(SKIP_2) | instid1(VALU_DEP_1)
	v_or_b32_e32 v68, v68, v51
	s_wait_loadcnt 0x0
	v_lshrrev_b16 v67, 2, v67
	v_and_b32_e32 v67, 0x3030, v67
	s_delay_alu instid0(VALU_DEP_1)
	v_or_b32_e32 v67, v67, v49
.LBB131_21:                             ;   in Loop: Header=BB131_3 Depth=1
	s_wait_alu 0xfffe
	s_and_not1_saveexec_b32 s2, s2
; %bb.22:                               ;   in Loop: Header=BB131_3 Depth=1
	v_and_b32_e32 v67, 0x3f3f, v61
	v_and_b32_e32 v68, 0x3f3f, v72
; %bb.23:                               ;   in Loop: Header=BB131_3 Depth=1
	s_wait_alu 0xfffe
	s_or_b32 exec_lo, exec_lo, s2
	v_add_nc_u32_e32 v70, s11, v19
	s_delay_alu instid0(VALU_DEP_1) | instskip(NEXT) | instid1(VALU_DEP_1)
	v_mad_co_u64_u32 v[76:77], null, v70, 36, v[0:1]
	v_add_co_u32 v79, s2, v76, v21
	s_wait_alu 0xf1ff
	s_delay_alu instid0(VALU_DEP_2)
	v_add_co_ci_u32_e64 v80, null, 0, v77, s2
	s_clause 0x5
	global_load_b32 v71, v[76:77], off
	global_load_b32 v78, v[79:80], off offset:4
	global_load_b32 v75, v[79:80], off offset:20
	;; [unrolled: 1-line block ×5, first 2 shown]
                                        ; implicit-def: $vgpr76
                                        ; implicit-def: $vgpr77
	s_and_saveexec_b32 s2, vcc_lo
	s_wait_alu 0xfffe
	s_xor_b32 s2, exec_lo, s2
	s_cbranch_execz .LBB131_25
; %bb.24:                               ;   in Loop: Header=BB131_3 Depth=1
	global_load_u16 v72, v[4:5], off
	v_and_b32_e32 v77, 0x3030, v59
	s_delay_alu instid0(VALU_DEP_1) | instskip(SKIP_2) | instid1(VALU_DEP_1)
	v_or_b32_e32 v77, v77, v51
	s_wait_loadcnt 0x0
	v_lshrrev_b16 v72, 2, v72
	v_and_b32_e32 v72, 0x3030, v72
	s_delay_alu instid0(VALU_DEP_1)
	v_or_b32_e32 v76, v72, v49
                                        ; implicit-def: $vgpr72
.LBB131_25:                             ;   in Loop: Header=BB131_3 Depth=1
	s_wait_alu 0xfffe
	s_and_not1_saveexec_b32 s2, s2
; %bb.26:                               ;   in Loop: Header=BB131_3 Depth=1
	v_and_b32_e32 v76, 0x3f3f, v61
	v_and_b32_e32 v77, 0x3f3f, v72
; %bb.27:                               ;   in Loop: Header=BB131_3 Depth=1
	s_wait_alu 0xfffe
	s_or_b32 exec_lo, exec_lo, s2
	v_add_nc_u32_e32 v72, s14, v19
	s_delay_alu instid0(VALU_DEP_1) | instskip(NEXT) | instid1(VALU_DEP_1)
	v_mad_co_u64_u32 v[79:80], null, v72, 36, v[0:1]
	v_add_co_u32 v82, s2, v79, v21
	s_wait_alu 0xf1ff
	s_delay_alu instid0(VALU_DEP_2)
	v_add_co_ci_u32_e64 v83, null, 0, v80, s2
	s_clause 0x5
	global_load_b32 v81, v[79:80], off
	global_load_b32 v87, v[82:83], off offset:4
	global_load_b32 v85, v[82:83], off offset:20
	;; [unrolled: 1-line block ×5, first 2 shown]
	s_and_saveexec_b32 s2, vcc_lo
	s_wait_alu 0xfffe
	s_xor_b32 s2, exec_lo, s2
	s_cbranch_execz .LBB131_29
; %bb.28:                               ;   in Loop: Header=BB131_3 Depth=1
	global_load_u16 v62, v[4:5], off
	v_and_b32_e32 v59, 0x3030, v59
	s_delay_alu instid0(VALU_DEP_1) | instskip(SKIP_2) | instid1(VALU_DEP_1)
	v_or_b32_e32 v64, v59, v51
	s_wait_loadcnt 0x0
	v_lshrrev_b16 v62, 2, v62
	v_and_b32_e32 v62, 0x3030, v62
	s_delay_alu instid0(VALU_DEP_1)
	v_or_b32_e32 v62, v62, v49
.LBB131_29:                             ;   in Loop: Header=BB131_3 Depth=1
	s_wait_alu 0xfffe
	s_and_not1_saveexec_b32 s2, s2
	s_wait_alu 0xfffe
	s_or_b32 exec_lo, exec_lo, s2
	v_add_nc_u32_e32 v49, s15, v19
                                        ; implicit-def: $vgpr59
	s_delay_alu instid0(VALU_DEP_1) | instskip(NEXT) | instid1(VALU_DEP_1)
	v_mad_co_u64_u32 v[88:89], null, v49, 36, v[0:1]
	v_add_co_u32 v90, s2, v88, v21
	s_wait_alu 0xf1ff
	s_delay_alu instid0(VALU_DEP_2)
	v_add_co_ci_u32_e64 v91, null, 0, v89, s2
	s_clause 0x5
	global_load_b32 v49, v[88:89], off
	global_load_b32 v83, v[90:91], off offset:4
	global_load_b32 v80, v[90:91], off offset:20
	;; [unrolled: 1-line block ×5, first 2 shown]
	s_and_saveexec_b32 s2, vcc_lo
	s_wait_alu 0xfffe
	s_xor_b32 s2, exec_lo, s2
	s_cbranch_execz .LBB131_31
; %bb.30:                               ;   in Loop: Header=BB131_3 Depth=1
	global_load_u16 v4, v[4:5], off
	v_pk_lshrrev_b16 v5, 4, v61 op_sel:[1,1] op_sel_hi:[0,1]
	s_delay_alu instid0(VALU_DEP_1) | instskip(SKIP_2) | instid1(VALU_DEP_1)
	v_and_b32_e32 v5, 0xf0f0f0f, v5
	s_wait_loadcnt 0x0
	v_perm_b32 v4, v61, v4, 0x5040100
                                        ; implicit-def: $vgpr61
	v_pk_lshrrev_b16 v4, 2, v4 op_sel_hi:[0,1]
	s_delay_alu instid0(VALU_DEP_1)
	v_and_or_b32 v59, 0x30303030, v4, v5
.LBB131_31:                             ;   in Loop: Header=BB131_3 Depth=1
	s_wait_alu 0xfffe
	s_and_not1_saveexec_b32 s2, s2
	s_cbranch_execz .LBB131_2
; %bb.32:                               ;   in Loop: Header=BB131_3 Depth=1
	v_and_b32_e32 v59, 0x3f3f3f3f, v61
	s_branch .LBB131_2
.LBB131_33:
	s_or_b32 exec_lo, exec_lo, s21
.LBB131_34:
	s_delay_alu instid0(SALU_CYCLE_1)
	s_or_b32 exec_lo, exec_lo, s23
	s_mov_b32 s3, 0
	; wave barrier
	global_inv scope:SCOPE_SE
	s_mov_b32 s2, exec_lo
	v_cmpx_eq_u32_e32 0, v13
	s_cbranch_execz .LBB131_51
; %bb.35:
	v_mbcnt_lo_u32_b32 v4, -1, 0
	s_load_b64 s[0:1], s[0:1], 0x38
	s_mul_i32 s2, s10, s19
	s_mul_i32 s4, s18, s22
	s_wait_alu 0xfffe
	s_add_co_i32 s2, s2, ttmp9
	v_xor_b32_e32 v0, 16, v4
	v_xor_b32_e32 v1, 8, v4
	;; [unrolled: 1-line block ×3, first 2 shown]
	s_wait_alu 0xfffe
	s_add_co_i32 s2, s2, s4
	s_wait_alu 0xfffe
	s_lshl_b64 s[2:3], s[2:3], 2
	v_cmp_gt_i32_e32 vcc_lo, 32, v0
	v_cndmask_b32_e32 v0, v4, v0, vcc_lo
	v_cmp_gt_i32_e32 vcc_lo, 32, v1
	s_wait_kmcnt 0x0
	s_wait_alu 0xfffe
	s_add_nc_u64 s[0:1], s[0:1], s[2:3]
	s_wait_alu 0xfffd
	v_cndmask_b32_e32 v1, v4, v1, vcc_lo
	s_delay_alu instid0(VALU_DEP_1)
	v_lshlrev_b32_e32 v1, 2, v1
	v_lshlrev_b32_e32 v0, 2, v0
	ds_bpermute_b32 v2, v0, v16
	s_wait_dscnt 0x0
	v_add_f32_e32 v3, v16, v2
	v_xor_b32_e32 v2, 4, v4
	ds_bpermute_b32 v5, v1, v3
	v_cmp_gt_i32_e32 vcc_lo, 32, v2
	s_wait_dscnt 0x0
	s_wait_alu 0xfffd
	v_dual_cndmask_b32 v2, v4, v2 :: v_dual_add_f32 v5, v3, v5
	s_delay_alu instid0(VALU_DEP_1)
	v_lshlrev_b32_e32 v2, 2, v2
	v_xor_b32_e32 v3, 2, v4
	ds_bpermute_b32 v13, v2, v5
	v_cmp_gt_i32_e32 vcc_lo, 32, v3
	s_wait_alu 0xfffd
	v_cndmask_b32_e32 v3, v4, v3, vcc_lo
	v_cmp_gt_i32_e32 vcc_lo, 32, v15
	s_wait_alu 0xfffd
	v_cndmask_b32_e32 v4, v4, v15, vcc_lo
	v_cmp_eq_u32_e32 vcc_lo, 0, v9
	s_delay_alu instid0(VALU_DEP_2)
	v_lshlrev_b32_e32 v4, 2, v4
	v_lshlrev_b32_e32 v3, 2, v3
	s_wait_dscnt 0x0
	v_add_f32_e32 v5, v5, v13
	ds_bpermute_b32 v13, v3, v5
	s_wait_dscnt 0x0
	v_add_f32_e32 v5, v5, v13
	ds_bpermute_b32 v13, v4, v5
	s_and_saveexec_b32 s2, vcc_lo
	s_cbranch_execz .LBB131_37
; %bb.36:
	s_wait_dscnt 0x0
	v_add_f32_e32 v5, v5, v13
	v_mov_b32_e32 v9, 0
	global_store_b32 v9, v5, s[0:1]
.LBB131_37:
	s_wait_alu 0xfffe
	s_or_b32 exec_lo, exec_lo, s2
	ds_bpermute_b32 v5, v0, v14
	s_wait_dscnt 0x0
	v_add_f32_e32 v5, v14, v5
	ds_bpermute_b32 v9, v1, v5
	s_wait_dscnt 0x0
	v_add_f32_e32 v5, v5, v9
	;; [unrolled: 3-line block ×4, first 2 shown]
	ds_bpermute_b32 v9, v4, v5
	s_and_saveexec_b32 s2, vcc_lo
	s_cbranch_execz .LBB131_39
; %bb.38:
	s_mov_b32 s7, 0
	s_wait_dscnt 0x0
	v_add_f32_e32 v5, v5, v9
	v_mov_b32_e32 v9, 0
	s_wait_alu 0xfffe
	s_lshl_b64 s[4:5], s[6:7], 2
	s_wait_alu 0xfffe
	s_add_nc_u64 s[4:5], s[0:1], s[4:5]
	global_store_b32 v9, v5, s[4:5]
.LBB131_39:
	s_wait_alu 0xfffe
	s_or_b32 exec_lo, exec_lo, s2
	ds_bpermute_b32 v5, v0, v12
	s_wait_dscnt 0x0
	v_add_f32_e32 v5, v12, v5
	ds_bpermute_b32 v9, v1, v5
	s_wait_dscnt 0x0
	v_add_f32_e32 v5, v5, v9
	ds_bpermute_b32 v9, v2, v5
	s_wait_dscnt 0x0
	v_add_f32_e32 v5, v5, v9
	ds_bpermute_b32 v9, v3, v5
	s_wait_dscnt 0x0
	v_add_f32_e32 v5, v5, v9
	ds_bpermute_b32 v9, v4, v5
	s_and_saveexec_b32 s2, vcc_lo
	s_cbranch_execz .LBB131_41
; %bb.40:
	s_lshl_b32 s4, s6, 1
	s_mov_b32 s5, 0
	s_wait_dscnt 0x0
	v_add_f32_e32 v5, v5, v9
	v_mov_b32_e32 v9, 0
	s_wait_alu 0xfffe
	s_lshl_b64 s[4:5], s[4:5], 2
	s_wait_alu 0xfffe
	s_add_nc_u64 s[4:5], s[0:1], s[4:5]
	global_store_b32 v9, v5, s[4:5]
.LBB131_41:
	s_wait_alu 0xfffe
	s_or_b32 exec_lo, exec_lo, s2
	ds_bpermute_b32 v5, v0, v11
	s_wait_dscnt 0x0
	v_add_f32_e32 v5, v11, v5
	ds_bpermute_b32 v9, v1, v5
	s_wait_dscnt 0x0
	v_add_f32_e32 v5, v5, v9
	;; [unrolled: 3-line block ×4, first 2 shown]
	ds_bpermute_b32 v9, v4, v5
	s_and_saveexec_b32 s2, vcc_lo
	s_cbranch_execz .LBB131_43
; %bb.42:
	s_mul_i32 s4, s6, 3
	s_mov_b32 s5, 0
	s_wait_dscnt 0x0
	v_add_f32_e32 v5, v5, v9
	v_mov_b32_e32 v9, 0
	s_wait_alu 0xfffe
	s_lshl_b64 s[4:5], s[4:5], 2
	s_wait_alu 0xfffe
	s_add_nc_u64 s[4:5], s[0:1], s[4:5]
	global_store_b32 v9, v5, s[4:5]
.LBB131_43:
	s_wait_alu 0xfffe
	s_or_b32 exec_lo, exec_lo, s2
	ds_bpermute_b32 v5, v0, v10
	s_wait_dscnt 0x0
	v_add_f32_e32 v5, v10, v5
	ds_bpermute_b32 v9, v1, v5
	s_wait_dscnt 0x0
	v_add_f32_e32 v5, v5, v9
	;; [unrolled: 3-line block ×4, first 2 shown]
	ds_bpermute_b32 v9, v4, v5
	s_and_saveexec_b32 s2, vcc_lo
	s_cbranch_execz .LBB131_45
; %bb.44:
	s_lshl_b32 s4, s6, 2
	s_mov_b32 s5, 0
	s_wait_dscnt 0x0
	v_add_f32_e32 v5, v5, v9
	v_mov_b32_e32 v9, 0
	s_wait_alu 0xfffe
	s_lshl_b64 s[4:5], s[4:5], 2
	s_wait_alu 0xfffe
	s_add_nc_u64 s[4:5], s[0:1], s[4:5]
	global_store_b32 v9, v5, s[4:5]
.LBB131_45:
	s_wait_alu 0xfffe
	s_or_b32 exec_lo, exec_lo, s2
	ds_bpermute_b32 v5, v0, v8
	s_wait_dscnt 0x0
	v_add_f32_e32 v5, v8, v5
	ds_bpermute_b32 v8, v1, v5
	s_wait_dscnt 0x0
	v_add_f32_e32 v5, v5, v8
	;; [unrolled: 3-line block ×4, first 2 shown]
	ds_bpermute_b32 v8, v4, v5
	s_and_saveexec_b32 s2, vcc_lo
	s_cbranch_execz .LBB131_47
; %bb.46:
	s_mul_i32 s4, s6, 5
	s_mov_b32 s5, 0
	s_wait_dscnt 0x0
	v_dual_add_f32 v5, v5, v8 :: v_dual_mov_b32 v8, 0
	s_wait_alu 0xfffe
	s_lshl_b64 s[4:5], s[4:5], 2
	s_wait_alu 0xfffe
	s_add_nc_u64 s[4:5], s[0:1], s[4:5]
	global_store_b32 v8, v5, s[4:5]
.LBB131_47:
	s_wait_alu 0xfffe
	s_or_b32 exec_lo, exec_lo, s2
	ds_bpermute_b32 v5, v0, v7
	s_wait_dscnt 0x0
	v_add_f32_e32 v5, v7, v5
	ds_bpermute_b32 v7, v1, v5
	s_wait_dscnt 0x0
	v_add_f32_e32 v5, v5, v7
	;; [unrolled: 3-line block ×4, first 2 shown]
	ds_bpermute_b32 v7, v4, v5
	s_and_saveexec_b32 s2, vcc_lo
	s_cbranch_execz .LBB131_49
; %bb.48:
	s_mul_i32 s4, s6, 6
	s_mov_b32 s5, 0
	s_wait_dscnt 0x0
	v_add_f32_e32 v5, v5, v7
	v_mov_b32_e32 v7, 0
	s_wait_alu 0xfffe
	s_lshl_b64 s[4:5], s[4:5], 2
	s_wait_alu 0xfffe
	s_add_nc_u64 s[4:5], s[0:1], s[4:5]
	global_store_b32 v7, v5, s[4:5]
.LBB131_49:
	s_wait_alu 0xfffe
	s_or_b32 exec_lo, exec_lo, s2
	ds_bpermute_b32 v0, v0, v6
	s_wait_dscnt 0x0
	v_add_f32_e32 v0, v6, v0
	ds_bpermute_b32 v1, v1, v0
	s_wait_dscnt 0x0
	v_add_f32_e32 v0, v0, v1
	;; [unrolled: 3-line block ×4, first 2 shown]
	ds_bpermute_b32 v1, v4, v0
	s_and_b32 exec_lo, exec_lo, vcc_lo
	s_cbranch_execz .LBB131_51
; %bb.50:
	s_mul_i32 s2, s6, 7
	s_mov_b32 s3, 0
	s_wait_dscnt 0x0
	v_dual_add_f32 v0, v0, v1 :: v_dual_mov_b32 v1, 0
	s_wait_alu 0xfffe
	s_lshl_b64 s[2:3], s[2:3], 2
	s_wait_alu 0xfffe
	s_add_nc_u64 s[0:1], s[0:1], s[2:3]
	global_store_b32 v1, v0, s[0:1]
.LBB131_51:
	s_endpgm
	.section	.rodata,"a",@progbits
	.p2align	6, 0x0
	.amdhsa_kernel _ZL13mul_mat_vec_qIL9ggml_type12ELi8ELb0ELb0EEvPKvS2_PKi31ggml_cuda_mm_fusion_args_devicePfj15HIP_vector_typeIjLj3EEjjjS8_jjjS8_jjjj
		.amdhsa_group_segment_fixed_size 0
		.amdhsa_private_segment_fixed_size 0
		.amdhsa_kernarg_size 144
		.amdhsa_user_sgpr_count 2
		.amdhsa_user_sgpr_dispatch_ptr 0
		.amdhsa_user_sgpr_queue_ptr 0
		.amdhsa_user_sgpr_kernarg_segment_ptr 1
		.amdhsa_user_sgpr_dispatch_id 0
		.amdhsa_user_sgpr_private_segment_size 0
		.amdhsa_wavefront_size32 1
		.amdhsa_uses_dynamic_stack 0
		.amdhsa_enable_private_segment 0
		.amdhsa_system_sgpr_workgroup_id_x 1
		.amdhsa_system_sgpr_workgroup_id_y 1
		.amdhsa_system_sgpr_workgroup_id_z 1
		.amdhsa_system_sgpr_workgroup_info 0
		.amdhsa_system_vgpr_workitem_id 1
		.amdhsa_next_free_vgpr 92
		.amdhsa_next_free_sgpr 28
		.amdhsa_reserve_vcc 1
		.amdhsa_float_round_mode_32 0
		.amdhsa_float_round_mode_16_64 0
		.amdhsa_float_denorm_mode_32 3
		.amdhsa_float_denorm_mode_16_64 3
		.amdhsa_fp16_overflow 0
		.amdhsa_workgroup_processor_mode 1
		.amdhsa_memory_ordered 1
		.amdhsa_forward_progress 1
		.amdhsa_inst_pref_size 46
		.amdhsa_round_robin_scheduling 0
		.amdhsa_exception_fp_ieee_invalid_op 0
		.amdhsa_exception_fp_denorm_src 0
		.amdhsa_exception_fp_ieee_div_zero 0
		.amdhsa_exception_fp_ieee_overflow 0
		.amdhsa_exception_fp_ieee_underflow 0
		.amdhsa_exception_fp_ieee_inexact 0
		.amdhsa_exception_int_div_zero 0
	.end_amdhsa_kernel
	.section	.text._ZL13mul_mat_vec_qIL9ggml_type12ELi8ELb0ELb0EEvPKvS2_PKi31ggml_cuda_mm_fusion_args_devicePfj15HIP_vector_typeIjLj3EEjjjS8_jjjS8_jjjj,"axG",@progbits,_ZL13mul_mat_vec_qIL9ggml_type12ELi8ELb0ELb0EEvPKvS2_PKi31ggml_cuda_mm_fusion_args_devicePfj15HIP_vector_typeIjLj3EEjjjS8_jjjS8_jjjj,comdat
.Lfunc_end131:
	.size	_ZL13mul_mat_vec_qIL9ggml_type12ELi8ELb0ELb0EEvPKvS2_PKi31ggml_cuda_mm_fusion_args_devicePfj15HIP_vector_typeIjLj3EEjjjS8_jjjS8_jjjj, .Lfunc_end131-_ZL13mul_mat_vec_qIL9ggml_type12ELi8ELb0ELb0EEvPKvS2_PKi31ggml_cuda_mm_fusion_args_devicePfj15HIP_vector_typeIjLj3EEjjjS8_jjjS8_jjjj
                                        ; -- End function
	.set _ZL13mul_mat_vec_qIL9ggml_type12ELi8ELb0ELb0EEvPKvS2_PKi31ggml_cuda_mm_fusion_args_devicePfj15HIP_vector_typeIjLj3EEjjjS8_jjjS8_jjjj.num_vgpr, 92
	.set _ZL13mul_mat_vec_qIL9ggml_type12ELi8ELb0ELb0EEvPKvS2_PKi31ggml_cuda_mm_fusion_args_devicePfj15HIP_vector_typeIjLj3EEjjjS8_jjjS8_jjjj.num_agpr, 0
	.set _ZL13mul_mat_vec_qIL9ggml_type12ELi8ELb0ELb0EEvPKvS2_PKi31ggml_cuda_mm_fusion_args_devicePfj15HIP_vector_typeIjLj3EEjjjS8_jjjS8_jjjj.numbered_sgpr, 28
	.set _ZL13mul_mat_vec_qIL9ggml_type12ELi8ELb0ELb0EEvPKvS2_PKi31ggml_cuda_mm_fusion_args_devicePfj15HIP_vector_typeIjLj3EEjjjS8_jjjS8_jjjj.num_named_barrier, 0
	.set _ZL13mul_mat_vec_qIL9ggml_type12ELi8ELb0ELb0EEvPKvS2_PKi31ggml_cuda_mm_fusion_args_devicePfj15HIP_vector_typeIjLj3EEjjjS8_jjjS8_jjjj.private_seg_size, 0
	.set _ZL13mul_mat_vec_qIL9ggml_type12ELi8ELb0ELb0EEvPKvS2_PKi31ggml_cuda_mm_fusion_args_devicePfj15HIP_vector_typeIjLj3EEjjjS8_jjjS8_jjjj.uses_vcc, 1
	.set _ZL13mul_mat_vec_qIL9ggml_type12ELi8ELb0ELb0EEvPKvS2_PKi31ggml_cuda_mm_fusion_args_devicePfj15HIP_vector_typeIjLj3EEjjjS8_jjjS8_jjjj.uses_flat_scratch, 0
	.set _ZL13mul_mat_vec_qIL9ggml_type12ELi8ELb0ELb0EEvPKvS2_PKi31ggml_cuda_mm_fusion_args_devicePfj15HIP_vector_typeIjLj3EEjjjS8_jjjS8_jjjj.has_dyn_sized_stack, 0
	.set _ZL13mul_mat_vec_qIL9ggml_type12ELi8ELb0ELb0EEvPKvS2_PKi31ggml_cuda_mm_fusion_args_devicePfj15HIP_vector_typeIjLj3EEjjjS8_jjjS8_jjjj.has_recursion, 0
	.set _ZL13mul_mat_vec_qIL9ggml_type12ELi8ELb0ELb0EEvPKvS2_PKi31ggml_cuda_mm_fusion_args_devicePfj15HIP_vector_typeIjLj3EEjjjS8_jjjS8_jjjj.has_indirect_call, 0
	.section	.AMDGPU.csdata,"",@progbits
; Kernel info:
; codeLenInByte = 5776
; TotalNumSgprs: 30
; NumVgprs: 92
; ScratchSize: 0
; MemoryBound: 0
; FloatMode: 240
; IeeeMode: 1
; LDSByteSize: 0 bytes/workgroup (compile time only)
; SGPRBlocks: 0
; VGPRBlocks: 11
; NumSGPRsForWavesPerEU: 30
; NumVGPRsForWavesPerEU: 92
; Occupancy: 16
; WaveLimiterHint : 0
; COMPUTE_PGM_RSRC2:SCRATCH_EN: 0
; COMPUTE_PGM_RSRC2:USER_SGPR: 2
; COMPUTE_PGM_RSRC2:TRAP_HANDLER: 0
; COMPUTE_PGM_RSRC2:TGID_X_EN: 1
; COMPUTE_PGM_RSRC2:TGID_Y_EN: 1
; COMPUTE_PGM_RSRC2:TGID_Z_EN: 1
; COMPUTE_PGM_RSRC2:TIDIG_COMP_CNT: 1
	.section	.text._ZL17mul_mat_vec_q_moeIL9ggml_type13ELi2EEvPKvS2_PKiPfj15HIP_vector_typeIjLj3EEjjjjjjjjj,"axG",@progbits,_ZL17mul_mat_vec_q_moeIL9ggml_type13ELi2EEvPKvS2_PKiPfj15HIP_vector_typeIjLj3EEjjjjjjjjj,comdat
	.globl	_ZL17mul_mat_vec_q_moeIL9ggml_type13ELi2EEvPKvS2_PKiPfj15HIP_vector_typeIjLj3EEjjjjjjjjj ; -- Begin function _ZL17mul_mat_vec_q_moeIL9ggml_type13ELi2EEvPKvS2_PKiPfj15HIP_vector_typeIjLj3EEjjjjjjjjj
	.p2align	8
	.type	_ZL17mul_mat_vec_q_moeIL9ggml_type13ELi2EEvPKvS2_PKiPfj15HIP_vector_typeIjLj3EEjjjjjjjjj,@function
_ZL17mul_mat_vec_q_moeIL9ggml_type13ELi2EEvPKvS2_PKiPfj15HIP_vector_typeIjLj3EEjjjjjjjjj: ; @_ZL17mul_mat_vec_q_moeIL9ggml_type13ELi2EEvPKvS2_PKiPfj15HIP_vector_typeIjLj3EEjjjjjjjjj
; %bb.0:
	s_load_b256 s[4:11], s[0:1], 0x30
	v_bfe_u32 v10, v0, 10, 10
	s_mov_b32 s2, exec_lo
	s_wait_kmcnt 0x0
	s_delay_alu instid0(VALU_DEP_1)
	v_cmpx_gt_u32_e64 s11, v10
	s_cbranch_execz .LBB132_15
; %bb.1:
	s_clause 0x2
	s_load_b32 s3, s[0:1], 0x20
	s_load_b32 s2, s[0:1], 0x50
	s_load_b256 s[12:19], s[0:1], 0x0
	v_bfe_u32 v12, v0, 4, 6
	v_dual_mov_b32 v0, 0 :: v_dual_and_b32 v11, 0x3ff, v0
	v_mov_b32_e32 v1, 0
	s_lshl_b32 s11, ttmp9, 1
	s_mov_b32 s21, exec_lo
	s_wait_kmcnt 0x0
	s_lshr_b32 s20, s3, 8
	s_delay_alu instid0(SALU_CYCLE_1)
	v_cmpx_gt_u32_e64 s20, v12
	s_cbranch_execz .LBB132_13
; %bb.2:
	s_mov_b32 s22, ttmp7
	v_lshrrev_b32_e32 v7, 4, v11
	v_mad_co_u64_u32 v[0:1], null, s2, v10, s[22:23]
	v_dual_mov_b32 v1, 0 :: v_dual_and_b32 v6, 3, v11
	s_load_b96 s[0:2], s[0:1], 0x24
	v_mul_lo_u32 v4, s6, v10
	s_mov_b32 s3, 0
	v_lshlrev_b32_e32 v5, 1, v11
	s_delay_alu instid0(VALU_DEP_4) | instskip(SKIP_2) | instid1(VALU_DEP_3)
	v_lshlrev_b64_e32 v[2:3], 2, v[0:1]
	s_add_co_i32 s6, s11, 1
	v_lshlrev_b32_e32 v13, 2, v6
	v_bfe_u32 v8, v5, 3, 2
	s_delay_alu instid0(VALU_DEP_3) | instskip(NEXT) | instid1(VALU_DEP_1)
	v_add_co_u32 v2, vcc_lo, s16, v2
	v_add_co_ci_u32_e64 v3, null, s17, v3, vcc_lo
	s_delay_alu instid0(VALU_DEP_3)
	v_lshlrev_b32_e32 v14, 5, v8
	v_lshlrev_b32_e32 v15, 1, v8
	;; [unrolled: 1-line block ×3, first 2 shown]
	global_load_b32 v0, v[2:3], off
	v_bfe_u32 v2, v11, 2, 2
	s_wait_kmcnt 0x0
	s_mul_hi_u32 s0, s0, ttmp7
	s_delay_alu instid0(SALU_CYCLE_1) | instskip(NEXT) | instid1(VALU_DEP_1)
	s_add_co_i32 s0, ttmp7, s0
	v_mul_hi_u32_u24_e32 v3, 0x48, v2
	v_mul_u32_u24_e32 v2, 0x48, v2
	s_lshr_b32 s0, s0, s1
	s_delay_alu instid0(SALU_CYCLE_1) | instskip(NEXT) | instid1(VALU_DEP_1)
	s_mul_i32 s0, s0, s2
	v_mad_co_u64_u32 v[2:3], null, 0x120, v7, v[2:3]
	s_sub_co_i32 s0, ttmp7, s0
	v_and_b32_e32 v7, 30, v5
	s_mul_i32 s2, s0, s9
	s_wait_alu 0xfffe
	s_mul_u64 s[0:1], s[2:3], 36
	v_mad_co_u64_u32 v[2:3], null, v4, 36, v[2:3]
	s_add_nc_u64 s[0:1], s[14:15], s[0:1]
	v_cmp_lt_u32_e32 vcc_lo, 15, v7
	v_add_co_u32 v5, s0, s0, v2
	s_wait_alu 0xf1ff
	v_add_co_ci_u32_e64 v6, null, s1, v3, s0
	s_wait_loadcnt 0x0
	v_mul_lo_u32 v0, v0, s8
	s_delay_alu instid0(VALU_DEP_1)
	v_mad_co_u64_u32 v[2:3], null, s11, s5, v[0:1]
	v_mad_co_u64_u32 v[3:4], null, s5, s6, v[0:1]
	v_add_co_u32 v4, s0, v5, 36
	s_wait_alu 0xf1ff
	v_add_co_ci_u32_e64 v5, null, 0, v6, s0
	v_mov_b32_e32 v0, v1
	s_branch .LBB132_4
.LBB132_3:                              ;   in Loop: Header=BB132_4 Depth=1
	s_wait_alu 0xfffe
	s_or_b32 exec_lo, exec_lo, s0
	global_load_b32 v6, v[6:7], off
	s_wait_loadcnt 0x6
	v_ashrrev_i32_e32 v27, v15, v27
	v_and_b32_e32 v37, 0xf0f0f0f, v25
	v_lshrrev_b32_e32 v25, 4, v25
	s_wait_loadcnt 0x1
	v_ashrrev_i32_e32 v32, v15, v32
	v_dot4_i32_iu8 v7, 0x1010101, v21, 0 neg_lo:[1,1,0]
	v_ashrrev_i32_e32 v26, v15, v26
	v_and_b32_e32 v36, 0xf0f0f0f, v24
	v_lshrrev_b32_e32 v24, 4, v24
	v_lshrrev_b16 v40, 8, v34
	v_ashrrev_i32_e32 v31, v15, v31
	v_and_b32_e32 v42, 0xf0f0f0f, v30
	v_and_b32_e32 v43, 0xf0f0f0f, v29
	;; [unrolled: 1-line block ×3, first 2 shown]
	v_lshrrev_b32_e32 v30, 4, v30
	v_lshrrev_b32_e32 v29, 4, v29
	v_lshlrev_b32_e32 v45, 4, v27
	v_and_b32_e32 v25, 0xf0f0f0f, v25
	v_lshlrev_b32_e32 v27, 3, v27
	v_lshlrev_b32_e32 v47, 4, v32
	v_lshrrev_b16 v9, 8, v28
	v_lshrrev_b32_e32 v35, 24, v28
	v_bfe_u32 v38, v28, 16, 8
	v_and_b32_e32 v28, 0xff, v28
	v_dot4_i32_iu8 v7, 0x1010101, v19, v7 neg_lo:[1,1,0]
	v_dot4_i32_iu8 v8, 0x1010101, v22, 0 neg_lo:[1,1,0]
	v_lshlrev_b32_e32 v44, 4, v26
	v_and_b32_e32 v24, 0xf0f0f0f, v24
	v_lshlrev_b32_e32 v26, 3, v26
	v_lshlrev_b32_e32 v46, 4, v31
	v_and_b32_e32 v34, 0xffff, v34
	v_and_b32_e32 v30, 0xf0f0f0f, v30
	;; [unrolled: 1-line block ×3, first 2 shown]
	v_lshlrev_b32_e32 v31, 3, v31
	v_lshlrev_b32_e32 v32, 3, v32
	v_and_or_b32 v37, 0x10101010, v45, v37
	v_and_or_b32 v25, 0x10101010, v27, v25
	;; [unrolled: 1-line block ×3, first 2 shown]
	v_mul_lo_u32 v28, v7, v28
	v_lshrrev_b16 v41, 8, v33
	v_and_b32_e32 v33, 0xff, v33
	v_dot4_i32_iu8 v8, 0x1010101, v20, v8 neg_lo:[1,1,0]
	v_and_b32_e32 v9, 0xffff, v9
	v_and_b32_e32 v40, 0xffff, v40
	v_and_or_b32 v36, 0x10101010, v44, v36
	v_and_or_b32 v24, 0x10101010, v26, v24
	;; [unrolled: 1-line block ×3, first 2 shown]
	v_mul_lo_u32 v7, v7, v34
	v_and_or_b32 v30, 0x10101010, v31, v30
	v_and_or_b32 v29, 0x10101010, v32, v29
	v_dot4_i32_iu8 v31, v37, v21, 0 neg_lo:[1,1,0]
	v_dot4_i32_iu8 v21, v27, v21, 0 neg_lo:[1,1,0]
	v_and_b32_e32 v33, 0xffff, v33
	v_mul_lo_u32 v9, v8, v9
	v_mul_lo_u32 v8, v8, v40
	v_dot4_i32_iu8 v25, v25, v22, 0 neg_lo:[1,1,0]
	v_dot4_i32_iu8 v22, v29, v22, 0 neg_lo:[1,1,0]
	v_cvt_f32_i32_e32 v27, v28
	v_dot4_i32_iu8 v28, v36, v19, v31 neg_lo:[1,1,0]
	v_dot4_i32_iu8 v19, v26, v19, v21 neg_lo:[1,1,0]
	v_cvt_f32_i32_e32 v7, v7
	v_and_b32_e32 v41, 0xffff, v41
	v_dot4_i32_iu8 v21, v24, v20, v25 neg_lo:[1,1,0]
	v_dot4_i32_iu8 v20, v30, v20, v22 neg_lo:[1,1,0]
	v_mul_lo_u32 v24, v28, v38
	v_mul_lo_u32 v19, v19, v33
	v_cvt_f32_i32_e32 v9, v9
	v_cvt_f32_i32_e32 v8, v8
	v_fma_mix_f32 v22, v18, v27, 0 op_sel_hi:[1,0,0]
	v_fma_mix_f32 v7, v18, v7, 0 op_sel_hi:[1,0,0]
	v_mul_lo_u32 v21, v21, v35
	v_mul_lo_u32 v20, v20, v41
	v_lshrrev_b32_e32 v39, 16, v23
	v_fma_mix_f32 v9, v17, v9, v22 op_sel_hi:[1,0,0]
	v_fma_mix_f32 v7, v17, v8, v7 op_sel_hi:[1,0,0]
	v_cvt_f32_i32_e32 v8, v24
	v_cvt_f32_i32_e32 v19, v19
	v_cvt_f32_f16_e32 v25, v39
	v_cvt_f32_i32_e32 v21, v21
	v_cvt_f32_i32_e32 v20, v20
	v_fma_mix_f32 v8, v18, v8, 0 op_sel_hi:[1,0,0]
	v_fma_mix_f32 v18, v18, v19, 0 op_sel_hi:[1,0,0]
	v_dual_mul_f32 v9, v9, v25 :: v_dual_add_nc_u32 v12, 2, v12
	v_add_co_u32 v4, s1, 0x240, v4
	s_delay_alu instid0(VALU_DEP_4) | instskip(NEXT) | instid1(VALU_DEP_4)
	v_fma_mix_f32 v8, v17, v21, v8 op_sel_hi:[1,0,0]
	v_fma_mix_f32 v17, v17, v20, v18 op_sel_hi:[1,0,0]
	s_delay_alu instid0(VALU_DEP_4) | instskip(SKIP_3) | instid1(VALU_DEP_3)
	v_cmp_le_u32_e64 s0, s20, v12
	s_wait_alu 0xf1ff
	v_add_co_ci_u32_e64 v5, null, 0, v5, s1
	v_fma_mix_f32 v8, v8, v23, -v9 op_sel_hi:[0,1,0]
	s_or_b32 s3, s0, s3
	s_delay_alu instid0(VALU_DEP_1) | instskip(SKIP_2) | instid1(VALU_DEP_1)
	v_add_f32_e32 v1, v1, v8
	s_wait_loadcnt 0x0
	v_lshrrev_b32_e32 v22, 16, v6
	v_cvt_f32_f16_e32 v19, v22
	s_delay_alu instid0(VALU_DEP_1) | instskip(NEXT) | instid1(VALU_DEP_1)
	v_mul_f32_e32 v7, v7, v19
	v_fma_mix_f32 v6, v17, v6, -v7 op_sel_hi:[0,1,0]
	s_delay_alu instid0(VALU_DEP_1)
	v_add_f32_e32 v0, v0, v6
	s_wait_alu 0xfffe
	s_and_not1_b32 exec_lo, exec_lo, s3
	s_cbranch_execz .LBB132_12
.LBB132_4:                              ; =>This Inner Loop Header: Depth=1
	v_add_nc_u32_e32 v6, v2, v12
	s_clause 0x1
	global_load_b32 v18, v[4:5], off offset:-36
	global_load_b32 v17, v[4:5], off
	v_mad_co_i64_i32 v[8:9], null, 0xb0, v6, s[12:13]
	v_add_co_u32 v6, s0, v4, v13
	s_wait_alu 0xf1ff
	v_add_co_ci_u32_e64 v7, null, 0, v5, s0
	s_delay_alu instid0(VALU_DEP_3) | instskip(SKIP_1) | instid1(VALU_DEP_4)
	v_add_co_u32 v19, s0, v8, v14
	s_wait_alu 0xf1ff
	v_add_co_ci_u32_e64 v20, null, 0, v9, s0
	s_delay_alu instid0(VALU_DEP_2) | instskip(SKIP_1) | instid1(VALU_DEP_2)
	v_add_co_u32 v25, s0, v19, v13
	s_wait_alu 0xf1ff
	v_add_co_ci_u32_e64 v26, null, 0, v20, s0
	v_add_co_u32 v27, s0, v8, v13
	s_wait_alu 0xf1ff
	v_add_co_ci_u32_e64 v28, null, 0, v9, s0
	s_clause 0x3
	global_load_b32 v19, v[6:7], off offset:-32
	global_load_b32 v21, v[6:7], off offset:-16
	global_load_b32 v20, v[6:7], off offset:4
	global_load_b32 v22, v[6:7], off offset:20
	s_clause 0x3
	global_load_b32 v24, v[25:26], off offset:48
	global_load_b32 v25, v[25:26], off offset:64
	;; [unrolled: 1-line block ×4, first 2 shown]
	v_add_co_u32 v6, s0, v8, v16
	s_wait_alu 0xf1ff
	v_add_co_ci_u32_e64 v7, null, 0, v9, s0
                                        ; implicit-def: $vgpr28
	s_and_saveexec_b32 s0, vcc_lo
	s_wait_alu 0xfffe
	s_xor_b32 s0, exec_lo, s0
	s_cbranch_execz .LBB132_6
; %bb.5:                                ;   in Loop: Header=BB132_4 Depth=1
	s_clause 0x1
	global_load_u16 v23, v[6:7], off offset:8
	global_load_u16 v28, v[6:7], off offset:4
	s_wait_loadcnt 0x1
	v_mov_b32_e32 v29, v23
	global_load_d16_hi_b16 v29, v[6:7], off
	s_wait_loadcnt 0x1
	v_perm_b32 v6, v23, v28, 0x5040100
	s_delay_alu instid0(VALU_DEP_1) | instskip(NEXT) | instid1(VALU_DEP_1)
	v_pk_lshrrev_b16 v6, 2, v6
	v_and_b32_e32 v6, 0xf0f3030, v6
	s_wait_loadcnt 0x0
	v_pk_lshrrev_b16 v7, 0x20004, v29
	s_delay_alu instid0(VALU_DEP_1)
	v_and_or_b32 v28, 0x30300f0f, v7, v6
                                        ; implicit-def: $vgpr6_vgpr7
.LBB132_6:                              ;   in Loop: Header=BB132_4 Depth=1
	s_wait_alu 0xfffe
	s_and_not1_saveexec_b32 s0, s0
	s_cbranch_execz .LBB132_8
; %bb.7:                                ;   in Loop: Header=BB132_4 Depth=1
	global_load_u16 v23, v[6:7], off offset:8
	s_wait_loadcnt 0x0
	global_load_d16_hi_b16 v23, v[6:7], off offset:4
	s_wait_loadcnt 0x0
	v_and_b32_e32 v28, 0x3f3f3f3f, v23
.LBB132_8:                              ;   in Loop: Header=BB132_4 Depth=1
	s_wait_alu 0xfffe
	s_or_b32 exec_lo, exec_lo, s0
	v_add_nc_u32_e32 v6, v3, v12
	s_delay_alu instid0(VALU_DEP_1) | instskip(NEXT) | instid1(VALU_DEP_1)
	v_mad_co_i64_i32 v[6:7], null, 0xb0, v6, s[12:13]
	v_add_co_u32 v23, s0, v6, v14
	s_wait_alu 0xf1ff
	s_delay_alu instid0(VALU_DEP_2) | instskip(NEXT) | instid1(VALU_DEP_2)
	v_add_co_ci_u32_e64 v29, null, 0, v7, s0
	v_add_co_u32 v31, s0, v23, v13
	s_wait_alu 0xf1ff
	s_delay_alu instid0(VALU_DEP_2)
	v_add_co_ci_u32_e64 v32, null, 0, v29, s0
	v_add_co_u32 v33, s0, v6, v13
	s_wait_alu 0xf1ff
	v_add_co_ci_u32_e64 v34, null, 0, v7, s0
	s_clause 0x4
	global_load_b32 v23, v[8:9], off
	global_load_b32 v30, v[31:32], off offset:48
	global_load_b32 v29, v[31:32], off offset:64
	;; [unrolled: 1-line block ×4, first 2 shown]
	v_add_co_u32 v8, s0, v6, v16
	s_wait_alu 0xf1ff
	v_add_co_ci_u32_e64 v9, null, 0, v7, s0
                                        ; implicit-def: $vgpr33
                                        ; implicit-def: $vgpr34
	s_and_saveexec_b32 s0, vcc_lo
	s_wait_alu 0xfffe
	s_xor_b32 s0, exec_lo, s0
	s_cbranch_execz .LBB132_10
; %bb.9:                                ;   in Loop: Header=BB132_4 Depth=1
	s_clause 0x2
	global_load_u16 v33, v[8:9], off
	global_load_u16 v34, v[8:9], off offset:8
	global_load_u16 v8, v[8:9], off offset:4
	s_wait_loadcnt 0x2
	v_lshrrev_b16 v9, 2, v33
	s_wait_loadcnt 0x1
	v_lshrrev_b16 v33, 4, v34
	;; [unrolled: 2-line block ×3, first 2 shown]
	v_and_b32_e32 v34, 0xf0f, v34
	v_and_b32_e32 v9, 0x3030, v9
	;; [unrolled: 1-line block ×3, first 2 shown]
	s_delay_alu instid0(VALU_DEP_4) | instskip(NEXT) | instid1(VALU_DEP_3)
	v_and_b32_e32 v8, 0x3030, v8
	v_or_b32_e32 v33, v9, v34
	s_delay_alu instid0(VALU_DEP_2)
	v_or_b32_e32 v34, v8, v35
                                        ; implicit-def: $vgpr8_vgpr9
.LBB132_10:                             ;   in Loop: Header=BB132_4 Depth=1
	s_wait_alu 0xfffe
	s_and_not1_saveexec_b32 s0, s0
	s_cbranch_execz .LBB132_3
; %bb.11:                               ;   in Loop: Header=BB132_4 Depth=1
	s_clause 0x1
	global_load_u16 v33, v[8:9], off offset:4
	global_load_u16 v8, v[8:9], off offset:8
	s_wait_loadcnt 0x1
	v_and_b32_e32 v33, 0x3f3f, v33
	s_wait_loadcnt 0x0
	v_and_b32_e32 v34, 0x3f3f, v8
	s_branch .LBB132_3
.LBB132_12:
	s_or_b32 exec_lo, exec_lo, s3
.LBB132_13:
	s_delay_alu instid0(SALU_CYCLE_1) | instskip(SKIP_1) | instid1(VALU_DEP_1)
	s_or_b32 exec_lo, exec_lo, s21
	v_mbcnt_lo_u32_b32 v2, -1, 0
	v_xor_b32_e32 v3, 16, v2
	v_xor_b32_e32 v5, 8, v2
	s_delay_alu instid0(VALU_DEP_2) | instskip(SKIP_2) | instid1(VALU_DEP_3)
	v_cmp_gt_i32_e32 vcc_lo, 32, v3
	s_wait_alu 0xfffd
	v_cndmask_b32_e32 v3, v2, v3, vcc_lo
	v_cmp_gt_i32_e32 vcc_lo, 32, v5
	s_delay_alu instid0(VALU_DEP_2)
	v_lshlrev_b32_e32 v3, 2, v3
	ds_bpermute_b32 v4, v3, v1
	ds_bpermute_b32 v3, v3, v0
	s_wait_alu 0xfffd
	v_cndmask_b32_e32 v5, v2, v5, vcc_lo
	s_wait_dscnt 0x0
	v_dual_add_f32 v1, v1, v4 :: v_dual_add_f32 v0, v0, v3
	s_delay_alu instid0(VALU_DEP_2) | instskip(SKIP_3) | instid1(VALU_DEP_1)
	v_lshlrev_b32_e32 v5, 2, v5
	ds_bpermute_b32 v3, v5, v1
	ds_bpermute_b32 v4, v5, v0
	v_xor_b32_e32 v5, 4, v2
	v_cmp_gt_i32_e32 vcc_lo, 32, v5
	s_wait_alu 0xfffd
	v_cndmask_b32_e32 v5, v2, v5, vcc_lo
	s_delay_alu instid0(VALU_DEP_1)
	v_lshlrev_b32_e32 v5, 2, v5
	s_wait_dscnt 0x0
	v_dual_add_f32 v1, v1, v3 :: v_dual_add_f32 v0, v0, v4
	ds_bpermute_b32 v3, v5, v1
	ds_bpermute_b32 v4, v5, v0
	v_xor_b32_e32 v5, 2, v2
	s_delay_alu instid0(VALU_DEP_1) | instskip(SKIP_2) | instid1(VALU_DEP_1)
	v_cmp_gt_i32_e32 vcc_lo, 32, v5
	s_wait_alu 0xfffd
	v_cndmask_b32_e32 v5, v2, v5, vcc_lo
	v_lshlrev_b32_e32 v5, 2, v5
	s_wait_dscnt 0x1
	v_add_f32_e32 v1, v1, v3
	s_wait_dscnt 0x0
	v_add_f32_e32 v3, v0, v4
	ds_bpermute_b32 v0, v5, v1
	ds_bpermute_b32 v4, v5, v3
	v_xor_b32_e32 v5, 1, v2
	s_delay_alu instid0(VALU_DEP_1) | instskip(SKIP_4) | instid1(VALU_DEP_2)
	v_cmp_gt_i32_e32 vcc_lo, 32, v5
	s_wait_alu 0xfffd
	v_cndmask_b32_e32 v2, v2, v5, vcc_lo
	v_cmp_gt_u32_e32 vcc_lo, 2, v11
	s_wait_dscnt 0x1
	v_dual_add_f32 v0, v1, v0 :: v_dual_lshlrev_b32 v5, 2, v2
	s_wait_dscnt 0x0
	s_wait_alu 0xfffe
	v_dual_add_f32 v1, v3, v4 :: v_dual_add_nc_u32 v4, s11, v11
	ds_bpermute_b32 v2, v5, v0
	ds_bpermute_b32 v3, v5, v1
	v_cmp_gt_u32_e64 s0, s4, v4
	s_and_b32 s0, vcc_lo, s0
	s_wait_alu 0xfffe
	s_and_b32 exec_lo, exec_lo, s0
	s_cbranch_execz .LBB132_15
; %bb.14:
	v_mul_lo_u32 v4, s7, v10
	v_or_b32_e32 v6, s11, v11
	s_mul_i32 s0, s10, ttmp7
	s_wait_dscnt 0x1
	v_dual_mov_b32 v5, 0 :: v_dual_add_f32 v2, v0, v2
	s_wait_dscnt 0x0
	v_add_f32_e32 v3, v1, v3
	v_cmp_eq_u32_e32 vcc_lo, 1, v11
	s_wait_alu 0xfffe
	v_add3_u32 v4, v6, v4, s0
	s_wait_alu 0xfffd
	v_cndmask_b32_e32 v2, v2, v3, vcc_lo
	s_delay_alu instid0(VALU_DEP_2) | instskip(NEXT) | instid1(VALU_DEP_1)
	v_lshlrev_b64_e32 v[0:1], 2, v[4:5]
	v_add_co_u32 v0, vcc_lo, s18, v0
	s_wait_alu 0xfffd
	s_delay_alu instid0(VALU_DEP_2)
	v_add_co_ci_u32_e64 v1, null, s19, v1, vcc_lo
	global_store_b32 v[0:1], v2, off
.LBB132_15:
	s_endpgm
	.section	.rodata,"a",@progbits
	.p2align	6, 0x0
	.amdhsa_kernel _ZL17mul_mat_vec_q_moeIL9ggml_type13ELi2EEvPKvS2_PKiPfj15HIP_vector_typeIjLj3EEjjjjjjjjj
		.amdhsa_group_segment_fixed_size 0
		.amdhsa_private_segment_fixed_size 0
		.amdhsa_kernarg_size 84
		.amdhsa_user_sgpr_count 2
		.amdhsa_user_sgpr_dispatch_ptr 0
		.amdhsa_user_sgpr_queue_ptr 0
		.amdhsa_user_sgpr_kernarg_segment_ptr 1
		.amdhsa_user_sgpr_dispatch_id 0
		.amdhsa_user_sgpr_private_segment_size 0
		.amdhsa_wavefront_size32 1
		.amdhsa_uses_dynamic_stack 0
		.amdhsa_enable_private_segment 0
		.amdhsa_system_sgpr_workgroup_id_x 1
		.amdhsa_system_sgpr_workgroup_id_y 1
		.amdhsa_system_sgpr_workgroup_id_z 0
		.amdhsa_system_sgpr_workgroup_info 0
		.amdhsa_system_vgpr_workitem_id 1
		.amdhsa_next_free_vgpr 48
		.amdhsa_next_free_sgpr 24
		.amdhsa_reserve_vcc 1
		.amdhsa_float_round_mode_32 0
		.amdhsa_float_round_mode_16_64 0
		.amdhsa_float_denorm_mode_32 3
		.amdhsa_float_denorm_mode_16_64 3
		.amdhsa_fp16_overflow 0
		.amdhsa_workgroup_processor_mode 1
		.amdhsa_memory_ordered 1
		.amdhsa_forward_progress 1
		.amdhsa_inst_pref_size 19
		.amdhsa_round_robin_scheduling 0
		.amdhsa_exception_fp_ieee_invalid_op 0
		.amdhsa_exception_fp_denorm_src 0
		.amdhsa_exception_fp_ieee_div_zero 0
		.amdhsa_exception_fp_ieee_overflow 0
		.amdhsa_exception_fp_ieee_underflow 0
		.amdhsa_exception_fp_ieee_inexact 0
		.amdhsa_exception_int_div_zero 0
	.end_amdhsa_kernel
	.section	.text._ZL17mul_mat_vec_q_moeIL9ggml_type13ELi2EEvPKvS2_PKiPfj15HIP_vector_typeIjLj3EEjjjjjjjjj,"axG",@progbits,_ZL17mul_mat_vec_q_moeIL9ggml_type13ELi2EEvPKvS2_PKiPfj15HIP_vector_typeIjLj3EEjjjjjjjjj,comdat
.Lfunc_end132:
	.size	_ZL17mul_mat_vec_q_moeIL9ggml_type13ELi2EEvPKvS2_PKiPfj15HIP_vector_typeIjLj3EEjjjjjjjjj, .Lfunc_end132-_ZL17mul_mat_vec_q_moeIL9ggml_type13ELi2EEvPKvS2_PKiPfj15HIP_vector_typeIjLj3EEjjjjjjjjj
                                        ; -- End function
	.set _ZL17mul_mat_vec_q_moeIL9ggml_type13ELi2EEvPKvS2_PKiPfj15HIP_vector_typeIjLj3EEjjjjjjjjj.num_vgpr, 48
	.set _ZL17mul_mat_vec_q_moeIL9ggml_type13ELi2EEvPKvS2_PKiPfj15HIP_vector_typeIjLj3EEjjjjjjjjj.num_agpr, 0
	.set _ZL17mul_mat_vec_q_moeIL9ggml_type13ELi2EEvPKvS2_PKiPfj15HIP_vector_typeIjLj3EEjjjjjjjjj.numbered_sgpr, 24
	.set _ZL17mul_mat_vec_q_moeIL9ggml_type13ELi2EEvPKvS2_PKiPfj15HIP_vector_typeIjLj3EEjjjjjjjjj.num_named_barrier, 0
	.set _ZL17mul_mat_vec_q_moeIL9ggml_type13ELi2EEvPKvS2_PKiPfj15HIP_vector_typeIjLj3EEjjjjjjjjj.private_seg_size, 0
	.set _ZL17mul_mat_vec_q_moeIL9ggml_type13ELi2EEvPKvS2_PKiPfj15HIP_vector_typeIjLj3EEjjjjjjjjj.uses_vcc, 1
	.set _ZL17mul_mat_vec_q_moeIL9ggml_type13ELi2EEvPKvS2_PKiPfj15HIP_vector_typeIjLj3EEjjjjjjjjj.uses_flat_scratch, 0
	.set _ZL17mul_mat_vec_q_moeIL9ggml_type13ELi2EEvPKvS2_PKiPfj15HIP_vector_typeIjLj3EEjjjjjjjjj.has_dyn_sized_stack, 0
	.set _ZL17mul_mat_vec_q_moeIL9ggml_type13ELi2EEvPKvS2_PKiPfj15HIP_vector_typeIjLj3EEjjjjjjjjj.has_recursion, 0
	.set _ZL17mul_mat_vec_q_moeIL9ggml_type13ELi2EEvPKvS2_PKiPfj15HIP_vector_typeIjLj3EEjjjjjjjjj.has_indirect_call, 0
	.section	.AMDGPU.csdata,"",@progbits
; Kernel info:
; codeLenInByte = 2424
; TotalNumSgprs: 26
; NumVgprs: 48
; ScratchSize: 0
; MemoryBound: 0
; FloatMode: 240
; IeeeMode: 1
; LDSByteSize: 0 bytes/workgroup (compile time only)
; SGPRBlocks: 0
; VGPRBlocks: 5
; NumSGPRsForWavesPerEU: 26
; NumVGPRsForWavesPerEU: 48
; Occupancy: 16
; WaveLimiterHint : 1
; COMPUTE_PGM_RSRC2:SCRATCH_EN: 0
; COMPUTE_PGM_RSRC2:USER_SGPR: 2
; COMPUTE_PGM_RSRC2:TRAP_HANDLER: 0
; COMPUTE_PGM_RSRC2:TGID_X_EN: 1
; COMPUTE_PGM_RSRC2:TGID_Y_EN: 1
; COMPUTE_PGM_RSRC2:TGID_Z_EN: 0
; COMPUTE_PGM_RSRC2:TIDIG_COMP_CNT: 1
	.section	.text._ZL13mul_mat_vec_qIL9ggml_type13ELi1ELb1ELb1EEvPKvS2_PKi31ggml_cuda_mm_fusion_args_devicePfj15HIP_vector_typeIjLj3EEjjjS8_jjjS8_jjjj,"axG",@progbits,_ZL13mul_mat_vec_qIL9ggml_type13ELi1ELb1ELb1EEvPKvS2_PKi31ggml_cuda_mm_fusion_args_devicePfj15HIP_vector_typeIjLj3EEjjjS8_jjjS8_jjjj,comdat
	.globl	_ZL13mul_mat_vec_qIL9ggml_type13ELi1ELb1ELb1EEvPKvS2_PKi31ggml_cuda_mm_fusion_args_devicePfj15HIP_vector_typeIjLj3EEjjjS8_jjjS8_jjjj ; -- Begin function _ZL13mul_mat_vec_qIL9ggml_type13ELi1ELb1ELb1EEvPKvS2_PKi31ggml_cuda_mm_fusion_args_devicePfj15HIP_vector_typeIjLj3EEjjjS8_jjjS8_jjjj
	.p2align	8
	.type	_ZL13mul_mat_vec_qIL9ggml_type13ELi1ELb1ELb1EEvPKvS2_PKi31ggml_cuda_mm_fusion_args_devicePfj15HIP_vector_typeIjLj3EEjjjS8_jjjS8_jjjj,@function
_ZL13mul_mat_vec_qIL9ggml_type13ELi1ELb1ELb1EEvPKvS2_PKi31ggml_cuda_mm_fusion_args_devicePfj15HIP_vector_typeIjLj3EEjjjS8_jjjS8_jjjj: ; @_ZL13mul_mat_vec_qIL9ggml_type13ELi1ELb1ELb1EEvPKvS2_PKi31ggml_cuda_mm_fusion_args_devicePfj15HIP_vector_typeIjLj3EEjjjS8_jjjS8_jjjj
; %bb.0:
	s_clause 0x3
	s_load_b256 s[8:15], s[0:1], 0x0
	s_load_b128 s[16:19], s[0:1], 0x20
	s_load_b128 s[20:23], s[0:1], 0x40
	;; [unrolled: 1-line block ×3, first 2 shown]
	s_and_b32 s27, ttmp7, 0xffff
	s_wait_kmcnt 0x0
	s_cmp_lg_u64 s[12:13], 0
	s_cselect_b32 s2, -1, 0
	s_cmp_eq_u64 s[12:13], 0
	s_cbranch_scc1 .LBB133_50
; %bb.1:
	s_lshl_b32 s3, s27, 2
	s_load_b32 s28, s[12:13], s3 offset:0x0
	s_clause 0x1
	s_load_b32 s30, s[0:1], 0x50
	s_load_b32 s29, s[0:1], 0x78
	s_cbranch_execnz .LBB133_3
.LBB133_2:
	s_load_b64 s[12:13], s[0:1], 0x5c
	s_wait_kmcnt 0x0
	s_mul_hi_u32 s3, s12, s27
	s_delay_alu instid0(SALU_CYCLE_1) | instskip(NEXT) | instid1(SALU_CYCLE_1)
	s_add_co_i32 s3, s27, s3
	s_lshr_b32 s28, s3, s13
.LBB133_3:
	s_and_not1_b32 vcc_lo, exec_lo, s2
	s_mov_b32 s3, s27
	s_mov_b32 s31, s27
	s_cbranch_vccnz .LBB133_5
; %bb.4:
	s_mul_hi_u32 s2, s21, s27
	s_wait_kmcnt 0x0
	s_mov_b32 s3, s28
	s_add_co_i32 s2, s27, s2
	s_delay_alu instid0(SALU_CYCLE_1) | instskip(NEXT) | instid1(SALU_CYCLE_1)
	s_lshr_b32 s2, s2, s22
	s_mul_i32 s2, s2, s23
	s_delay_alu instid0(SALU_CYCLE_1)
	s_sub_co_i32 s31, s27, s2
.LBB133_5:
	s_load_b96 s[24:26], s[0:1], 0x80
	v_bfe_u32 v12, v0, 10, 10
	v_dual_mov_b32 v8, 0 :: v_dual_and_b32 v7, 0x3ff, v0
	s_lshr_b32 s21, ttmp7, 16
	s_cmp_lg_u64 s[14:15], 0
	s_delay_alu instid0(VALU_DEP_1) | instskip(SKIP_4) | instid1(VALU_DEP_1)
	v_dual_mov_b32 v9, 0 :: v_dual_lshlrev_b32 v6, 2, v7
	v_or_b32_e32 v0, v7, v12
	s_cselect_b32 s2, -1, 0
	s_mov_b32 s23, 0
	s_mul_i32 s12, s3, s6
	v_cmp_eq_u32_e32 vcc_lo, 0, v0
	s_and_b32 s13, s2, vcc_lo
	s_delay_alu instid0(SALU_CYCLE_1)
	s_and_saveexec_b32 s3, s13
	s_cbranch_execz .LBB133_7
; %bb.6:
	s_wait_kmcnt 0x0
	s_mul_i32 s22, s26, s21
	s_mov_b32 s13, s23
	s_lshl_b64 s[36:37], s[22:23], 2
	s_mov_b32 s34, ttmp9
	s_add_nc_u64 s[14:15], s[14:15], s[36:37]
	s_lshl_b64 s[22:23], s[12:13], 2
	s_ashr_i32 s35, ttmp9, 31
	s_add_nc_u64 s[14:15], s[14:15], s[22:23]
	s_lshl_b64 s[22:23], s[34:35], 2
	s_delay_alu instid0(SALU_CYCLE_1)
	s_add_nc_u64 s[14:15], s[14:15], s[22:23]
	global_load_b32 v9, v6, s[14:15]
.LBB133_7:
	s_or_b32 exec_lo, exec_lo, s3
	s_cmp_lg_u64 s[16:17], 0
	s_cselect_b32 s14, -1, 0
	s_cmp_lg_u64 s[18:19], 0
	s_cselect_b32 s3, -1, 0
	s_delay_alu instid0(SALU_CYCLE_1) | instskip(NEXT) | instid1(SALU_CYCLE_1)
	s_and_b32 s13, s3, s14
	s_and_b32 s13, s13, vcc_lo
	s_delay_alu instid0(SALU_CYCLE_1)
	s_and_saveexec_b32 s15, s13
	s_cbranch_execz .LBB133_9
; %bb.8:
	s_wait_kmcnt 0x0
	s_mul_i32 s34, s26, s21
	s_mov_b32 s35, 0
	s_mov_b32 s22, ttmp9
	s_lshl_b64 s[36:37], s[34:35], 2
	s_mov_b32 s13, s35
	s_add_nc_u64 s[18:19], s[18:19], s[36:37]
	s_lshl_b64 s[12:13], s[12:13], 2
	s_ashr_i32 s23, ttmp9, 31
	s_add_nc_u64 s[12:13], s[18:19], s[12:13]
	s_lshl_b64 s[18:19], s[22:23], 2
	s_delay_alu instid0(SALU_CYCLE_1)
	s_add_nc_u64 s[12:13], s[12:13], s[18:19]
	global_load_b32 v8, v6, s[12:13]
.LBB133_9:
	s_or_b32 exec_lo, exec_lo, s15
	v_lshl_add_u32 v0, v12, 5, v7
	v_mov_b32_e32 v13, 0
	v_cndmask_b32_e64 v10, 0, 1, s14
	v_mov_b32_e32 v11, 0
	s_lshr_b32 s15, s20, 8
	v_lshrrev_b32_e32 v14, 4, v0
	s_mov_b32 s18, exec_lo
	s_wait_alu 0xfffe
	s_delay_alu instid0(VALU_DEP_1)
	v_cmpx_gt_u32_e64 s15, v14
	s_cbranch_execz .LBB133_23
; %bb.10:
	v_lshlrev_b32_e32 v1, 1, v7
	v_bfe_u32 v2, v7, 2, 2
	v_lshrrev_b32_e32 v5, 4, v0
	s_mul_hi_u32 s7, s7, s21
	s_wait_kmcnt 0x0
	s_mul_i32 s19, s28, s4
	v_bfe_u32 v3, v1, 3, 2
	v_dual_mov_b32 v13, 0 :: v_dual_and_b32 v4, 30, v1
	v_mul_hi_u32_u24_e32 v1, 0x48, v2
	v_mul_u32_u24_e32 v0, 0x48, v2
	s_add_co_i32 s7, s21, s7
	s_mul_i32 s12, s25, s21
	s_lshr_b32 s4, s7, s29
	s_mov_b32 s13, 0
	v_mad_co_u64_u32 v[0:1], null, 0x120, v5, v[0:1]
	s_mul_i32 s7, s4, s24
	s_mul_i32 s4, s31, s5
	s_mov_b32 s5, s13
	s_mul_u64 s[22:23], s[12:13], 36
	s_mul_u64 s[24:25], s[4:5], 36
	s_add_nc_u64 s[10:11], s[10:11], s[22:23]
	v_dual_mov_b32 v11, 0 :: v_dual_and_b32 v2, 3, v7
	s_add_nc_u64 s[10:11], s[10:11], s[24:25]
	s_mul_i32 s30, s30, ttmp9
	v_add_co_u32 v0, vcc_lo, s10, v0
	s_delay_alu instid0(VALU_DEP_1) | instskip(SKIP_1) | instid1(VALU_DEP_3)
	v_add_co_ci_u32_e64 v1, null, s11, v1, vcc_lo
	v_lshlrev_b32_e32 v15, 5, v3
	v_add_co_u32 v0, vcc_lo, v0, 36
	v_lshlrev_b32_e32 v16, 2, v2
	v_cmp_lt_u32_e64 s4, 15, v4
	v_lshlrev_b32_e32 v17, 1, v3
	s_wait_alu 0xfffd
	v_add_co_ci_u32_e64 v1, null, 0, v1, vcc_lo
	v_lshlrev_b32_e32 v18, 1, v3
	s_add_co_i32 s7, s7, s30
	s_delay_alu instid0(SALU_CYCLE_1)
	s_add_co_i32 s7, s19, s7
	s_branch .LBB133_13
.LBB133_11:                             ;   in Loop: Header=BB133_13 Depth=1
	s_wait_alu 0xfffe
	s_or_b32 exec_lo, exec_lo, s5
	global_load_b32 v2, v[2:3], off
	s_wait_loadcnt 0x1
	v_ashrrev_i32_e32 v3, v17, v37
	v_ashrrev_i32_e32 v4, v17, v36
	v_and_b32_e32 v36, 0xf0f0f0f, v35
	v_lshrrev_b32_e32 v35, 4, v35
	v_and_b32_e32 v5, 0xf0f0f0f, v34
	v_lshlrev_b32_e32 v37, 4, v3
	v_lshlrev_b32_e32 v38, 4, v4
	v_lshrrev_b32_e32 v34, 4, v34
	v_and_b32_e32 v35, 0xf0f0f0f, v35
	v_lshlrev_b32_e32 v3, 3, v3
	v_and_or_b32 v36, 0x10101010, v37, v36
	v_and_or_b32 v5, 0x10101010, v38, v5
	v_lshrrev_b16 v37, 8, v33
	v_and_b32_e32 v34, 0xf0f0f0f, v34
	v_lshlrev_b32_e32 v4, 3, v4
	v_dot4_i32_iu8 v36, v36, v23, 0 neg_lo:[1,1,0]
	v_and_or_b32 v3, 0x10101010, v3, v35
	v_and_b32_e32 v35, 0xff, v33
	s_delay_alu instid0(VALU_DEP_4) | instskip(NEXT) | instid1(VALU_DEP_4)
	v_and_or_b32 v4, 0x10101010, v4, v34
	v_dot4_i32_iu8 v5, v5, v21, v36 neg_lo:[1,1,0]
	v_bfe_u32 v36, v33, 16, 8
	v_dot4_i32_iu8 v3, v3, v22, 0 neg_lo:[1,1,0]
	v_and_b32_e32 v34, 0xffff, v37
	v_mul_lo_u32 v35, v32, v35
	v_lshrrev_b32_e32 v33, 24, v33
	v_mul_lo_u32 v5, v5, v36
	v_dot4_i32_iu8 v3, v4, v20, v3 neg_lo:[1,1,0]
	v_mul_lo_u32 v4, v31, v34
	v_cvt_f32_i32_e32 v34, v35
	s_delay_alu instid0(VALU_DEP_3) | instskip(SKIP_1) | instid1(VALU_DEP_4)
	v_mul_lo_u32 v3, v3, v33
	v_cvt_f32_i32_e32 v5, v5
	v_cvt_f32_i32_e32 v4, v4
	s_delay_alu instid0(VALU_DEP_4) | instskip(NEXT) | instid1(VALU_DEP_3)
	v_fma_f32 v33, v27, v34, 0
	v_fma_f32 v5, v27, v5, 0
	v_cvt_f32_i32_e32 v3, v3
	s_delay_alu instid0(VALU_DEP_3) | instskip(NEXT) | instid1(VALU_DEP_2)
	v_fmac_f32_e32 v33, v28, v4
	v_fmac_f32_e32 v5, v28, v3
	s_wait_loadcnt 0x0
	v_lshrrev_b32_e32 v34, 16, v2
	s_delay_alu instid0(VALU_DEP_1) | instskip(NEXT) | instid1(VALU_DEP_1)
	v_cvt_f32_f16_e32 v4, v34
	v_mul_f32_e32 v3, v33, v4
	s_delay_alu instid0(VALU_DEP_1) | instskip(NEXT) | instid1(VALU_DEP_1)
	v_fma_mix_f32 v2, v5, v2, -v3 op_sel_hi:[0,1,0]
	v_add_f32_e32 v11, v11, v2
.LBB133_12:                             ;   in Loop: Header=BB133_13 Depth=1
	s_wait_loadcnt 0x1
	v_ashrrev_i32_e32 v2, v17, v30
	v_ashrrev_i32_e32 v3, v17, v29
	v_lshrrev_b32_e32 v5, 4, v26
	v_and_b32_e32 v26, 0xf0f0f0f, v26
	v_and_b32_e32 v4, 0xf0f0f0f, v25
	v_lshlrev_b32_e32 v29, 4, v2
	v_lshrrev_b32_e32 v25, 4, v25
	v_lshlrev_b32_e32 v30, 4, v3
	v_and_b32_e32 v5, 0xf0f0f0f, v5
	v_lshlrev_b32_e32 v2, 3, v2
	v_and_or_b32 v26, 0x10101010, v29, v26
	v_and_b32_e32 v25, 0xf0f0f0f, v25
	v_lshlrev_b32_e32 v3, 3, v3
	v_and_or_b32 v4, 0x10101010, v30, v4
	v_and_or_b32 v2, 0x10101010, v2, v5
	v_dot4_i32_iu8 v5, v26, v23, 0 neg_lo:[1,1,0]
	v_and_b32_e32 v23, 0xff, v24
	v_lshrrev_b16 v26, 8, v24
	v_and_or_b32 v3, 0x10101010, v3, v25
	v_dot4_i32_iu8 v2, v2, v22, 0 neg_lo:[1,1,0]
	v_dot4_i32_iu8 v4, v4, v21, v5 neg_lo:[1,1,0]
	v_mul_lo_u32 v5, v32, v23
	v_and_b32_e32 v21, 0xffff, v26
	v_bfe_u32 v22, v24, 16, 8
	v_dot4_i32_iu8 v2, v3, v20, v2 neg_lo:[1,1,0]
	v_lshrrev_b32_e32 v3, 24, v24
	v_add_nc_u32_e32 v14, 16, v14
	v_mul_lo_u32 v20, v31, v21
	v_mul_lo_u32 v4, v4, v22
	v_cvt_f32_i32_e32 v5, v5
	v_mul_lo_u32 v2, v2, v3
	s_wait_loadcnt 0x0
	v_lshrrev_b32_e32 v21, 16, v19
	v_cmp_le_u32_e32 vcc_lo, s15, v14
	v_add_co_u32 v0, s5, 0x1200, v0
	v_fma_f32 v3, v27, v5, 0
	v_cvt_f32_i32_e32 v5, v20
	v_cvt_f32_i32_e32 v4, v4
	v_cvt_f32_f16_e32 v20, v21
	v_cvt_f32_i32_e32 v2, v2
	s_wait_alu 0xf1ff
	v_add_co_ci_u32_e64 v1, null, 0, v1, s5
	v_fmac_f32_e32 v3, v28, v5
	v_fma_f32 v4, v27, v4, 0
	s_or_b32 s13, vcc_lo, s13
	s_delay_alu instid0(VALU_DEP_1) | instskip(NEXT) | instid1(VALU_DEP_1)
	v_dual_mul_f32 v3, v3, v20 :: v_dual_fmac_f32 v4, v28, v2
	v_fma_mix_f32 v2, v4, v19, -v3 op_sel_hi:[0,1,0]
	s_delay_alu instid0(VALU_DEP_1)
	v_add_f32_e32 v13, v13, v2
	s_and_not1_b32 exec_lo, exec_lo, s13
	s_cbranch_execz .LBB133_22
.LBB133_13:                             ; =>This Inner Loop Header: Depth=1
	v_add_nc_u32_e32 v4, s7, v14
	v_add_co_u32 v24, vcc_lo, v0, v16
	s_wait_alu 0xfffd
	v_add_co_ci_u32_e64 v25, null, 0, v1, vcc_lo
	s_delay_alu instid0(VALU_DEP_3) | instskip(NEXT) | instid1(VALU_DEP_1)
	v_mad_co_i64_i32 v[2:3], null, 0xb0, v4, s[8:9]
	v_add_co_u32 v5, vcc_lo, v2, v15
	s_wait_alu 0xfffd
	s_delay_alu instid0(VALU_DEP_2)
	v_add_co_ci_u32_e64 v19, null, 0, v3, vcc_lo
	v_add_co_u32 v30, vcc_lo, v2, v16
	s_wait_alu 0xfffd
	v_add_co_ci_u32_e64 v31, null, 0, v3, vcc_lo
	v_add_co_u32 v26, vcc_lo, v5, v16
	s_wait_alu 0xfffd
	v_add_co_ci_u32_e64 v27, null, 0, v19, vcc_lo
	s_clause 0x5
	global_load_b32 v5, v[0:1], off offset:-36
	global_load_b32 v21, v[24:25], off offset:-32
	;; [unrolled: 1-line block ×3, first 2 shown]
	global_load_b32 v28, v[0:1], off
	global_load_b32 v20, v[24:25], off offset:4
	global_load_b32 v22, v[24:25], off offset:20
	s_clause 0x4
	global_load_b32 v25, v[26:27], off offset:48
	global_load_b32 v26, v[26:27], off offset:64
	;; [unrolled: 1-line block ×4, first 2 shown]
	global_load_b32 v19, v[2:3], off
	v_add_co_u32 v2, vcc_lo, v2, v18
	s_wait_alu 0xfffd
	v_add_co_ci_u32_e64 v3, null, 0, v3, vcc_lo
                                        ; implicit-def: $vgpr24
	s_and_saveexec_b32 s5, s4
	s_wait_alu 0xfffe
	s_xor_b32 s5, exec_lo, s5
	s_cbranch_execz .LBB133_15
; %bb.14:                               ;   in Loop: Header=BB133_13 Depth=1
	s_clause 0x1
	global_load_u16 v24, v[2:3], off offset:8
	global_load_u16 v27, v[2:3], off offset:4
	s_wait_loadcnt 0x1
	v_mov_b32_e32 v31, v24
	global_load_d16_hi_b16 v31, v[2:3], off
	s_wait_loadcnt 0x1
	v_perm_b32 v2, v24, v27, 0x5040100
	s_delay_alu instid0(VALU_DEP_1) | instskip(NEXT) | instid1(VALU_DEP_1)
	v_pk_lshrrev_b16 v2, 2, v2
	v_and_b32_e32 v2, 0xf0f3030, v2
	s_wait_loadcnt 0x0
	v_pk_lshrrev_b16 v3, 0x20004, v31
	s_delay_alu instid0(VALU_DEP_1)
	v_and_or_b32 v24, 0x30300f0f, v3, v2
                                        ; implicit-def: $vgpr2_vgpr3
.LBB133_15:                             ;   in Loop: Header=BB133_13 Depth=1
	s_wait_alu 0xfffe
	s_and_not1_saveexec_b32 s5, s5
	s_cbranch_execz .LBB133_17
; %bb.16:                               ;   in Loop: Header=BB133_13 Depth=1
	global_load_u16 v24, v[2:3], off offset:8
	s_wait_loadcnt 0x0
	global_load_d16_hi_b16 v24, v[2:3], off offset:4
	s_wait_loadcnt 0x0
	v_and_b32_e32 v24, 0x3f3f3f3f, v24
.LBB133_17:                             ;   in Loop: Header=BB133_13 Depth=1
	s_wait_alu 0xfffe
	s_or_b32 exec_lo, exec_lo, s5
	s_wait_loadcnt 0x8
	v_dot4_i32_iu8 v2, 0x1010101, v23, 0 neg_lo:[1,1,0]
	s_wait_loadcnt 0x5
	v_dot4_i32_iu8 v3, 0x1010101, v22, 0 neg_lo:[1,1,0]
	v_cvt_f32_f16_e32 v27, v5
	v_cvt_f32_f16_e32 v28, v28
	s_and_not1_b32 vcc_lo, exec_lo, s14
	v_dot4_i32_iu8 v32, 0x1010101, v21, v2 neg_lo:[1,1,0]
	v_dot4_i32_iu8 v31, 0x1010101, v20, v3 neg_lo:[1,1,0]
	s_wait_alu 0xfffe
	s_cbranch_vccnz .LBB133_12
; %bb.18:                               ;   in Loop: Header=BB133_13 Depth=1
	v_mad_co_i64_i32 v[2:3], null, 0xb0, v4, s[16:17]
                                        ; implicit-def: $vgpr33
	s_delay_alu instid0(VALU_DEP_1) | instskip(SKIP_1) | instid1(VALU_DEP_2)
	v_add_co_u32 v4, vcc_lo, v2, v15
	s_wait_alu 0xfffd
	v_add_co_ci_u32_e64 v5, null, 0, v3, vcc_lo
	s_delay_alu instid0(VALU_DEP_2) | instskip(SKIP_1) | instid1(VALU_DEP_2)
	v_add_co_u32 v4, vcc_lo, v4, v16
	s_wait_alu 0xfffd
	v_add_co_ci_u32_e64 v5, null, 0, v5, vcc_lo
	v_add_co_u32 v37, vcc_lo, v2, v16
	s_wait_alu 0xfffd
	v_add_co_ci_u32_e64 v38, null, 0, v3, vcc_lo
	s_clause 0x3
	global_load_b32 v34, v[4:5], off offset:48
	global_load_b32 v35, v[4:5], off offset:64
	;; [unrolled: 1-line block ×4, first 2 shown]
	v_add_co_u32 v4, vcc_lo, v2, v18
	s_wait_alu 0xfffd
	v_add_co_ci_u32_e64 v5, null, 0, v3, vcc_lo
	s_and_saveexec_b32 s5, s4
	s_wait_alu 0xfffe
	s_xor_b32 s5, exec_lo, s5
	s_cbranch_execz .LBB133_20
; %bb.19:                               ;   in Loop: Header=BB133_13 Depth=1
	s_clause 0x1
	global_load_u16 v33, v[4:5], off offset:8
	global_load_u16 v38, v[4:5], off offset:4
	s_wait_loadcnt 0x1
	v_mov_b32_e32 v39, v33
	global_load_d16_hi_b16 v39, v[4:5], off
	s_wait_loadcnt 0x1
	v_perm_b32 v4, v33, v38, 0x5040100
	s_delay_alu instid0(VALU_DEP_1) | instskip(NEXT) | instid1(VALU_DEP_1)
	v_pk_lshrrev_b16 v4, 2, v4
	v_and_b32_e32 v4, 0xf0f3030, v4
	s_wait_loadcnt 0x0
	v_pk_lshrrev_b16 v5, 0x20004, v39
	s_delay_alu instid0(VALU_DEP_1)
	v_and_or_b32 v33, 0x30300f0f, v5, v4
                                        ; implicit-def: $vgpr4_vgpr5
.LBB133_20:                             ;   in Loop: Header=BB133_13 Depth=1
	s_wait_alu 0xfffe
	s_and_not1_saveexec_b32 s5, s5
	s_cbranch_execz .LBB133_11
; %bb.21:                               ;   in Loop: Header=BB133_13 Depth=1
	global_load_u16 v33, v[4:5], off offset:8
	s_wait_loadcnt 0x0
	global_load_d16_hi_b16 v33, v[4:5], off offset:4
	s_wait_loadcnt 0x0
	v_and_b32_e32 v33, 0x3f3f3f3f, v33
	s_branch .LBB133_11
.LBB133_22:
	s_or_b32 exec_lo, exec_lo, s13
.LBB133_23:
	s_delay_alu instid0(SALU_CYCLE_1)
	s_or_b32 exec_lo, exec_lo, s18
	s_load_b32 s5, s[0:1], 0x30
	v_cmp_eq_u32_e64 s4, 0, v12
	s_mov_b32 s7, exec_lo
	v_cmpx_ne_u32_e32 0, v12
	s_cbranch_execz .LBB133_27
; %bb.24:
	v_add_nc_u32_e32 v0, -1, v12
	s_and_b32 vcc_lo, exec_lo, s14
	s_delay_alu instid0(VALU_DEP_1)
	v_lshlrev_b32_e32 v0, 7, v0
	s_wait_alu 0xfffe
	s_cbranch_vccz .LBB133_26
; %bb.25:
	s_delay_alu instid0(VALU_DEP_1)
	v_lshl_add_u32 v1, v7, 2, v0
	ds_store_b32 v1, v11 offset:896
.LBB133_26:
	s_delay_alu instid0(VALU_DEP_1)
	v_lshl_add_u32 v0, v7, 2, v0
	ds_store_b32 v0, v13
.LBB133_27:
	s_wait_alu 0xfffe
	s_or_b32 exec_lo, exec_lo, s7
	s_wait_loadcnt_dscnt 0x0
	s_barrier_signal -1
	s_barrier_wait -1
	global_inv scope:SCOPE_SE
	s_and_saveexec_b32 s7, s4
	s_cbranch_execz .LBB133_69
; %bb.28:
	ds_load_b32 v0, v6
	v_cmp_ne_u32_e32 vcc_lo, 1, v10
	v_add_nc_u32_e32 v1, 0x380, v6
	s_cbranch_vccnz .LBB133_30
; %bb.29:
	ds_load_b32 v2, v1
	s_wait_dscnt 0x0
	v_add_f32_e32 v11, v11, v2
.LBB133_30:
	ds_load_b32 v2, v6 offset:128
	v_cmp_ne_u32_e32 vcc_lo, 1, v10
	s_cbranch_vccnz .LBB133_32
; %bb.31:
	ds_load_b32 v3, v1 offset:128
	s_wait_dscnt 0x0
	v_add_f32_e32 v11, v11, v3
.LBB133_32:
	ds_load_b32 v3, v6 offset:256
	v_cmp_ne_u32_e32 vcc_lo, 1, v10
	s_cbranch_vccnz .LBB133_34
; %bb.33:
	ds_load_b32 v4, v1 offset:256
	s_wait_dscnt 0x0
	v_add_f32_e32 v11, v11, v4
.LBB133_34:
	;; [unrolled: 8-line block ×6, first 2 shown]
	s_wait_dscnt 0x6
	v_add_f32_e32 v0, v13, v0
	v_mbcnt_lo_u32_b32 v1, -1, 0
	s_wait_dscnt 0x5
	s_delay_alu instid0(VALU_DEP_2) | instskip(NEXT) | instid1(VALU_DEP_2)
	v_add_f32_e32 v0, v0, v2
	v_xor_b32_e32 v2, 16, v1
	s_wait_dscnt 0x4
	s_delay_alu instid0(VALU_DEP_2) | instskip(NEXT) | instid1(VALU_DEP_2)
	v_add_f32_e32 v0, v0, v3
	v_cmp_gt_i32_e32 vcc_lo, 32, v2
	v_xor_b32_e32 v3, 8, v1
	s_wait_dscnt 0x3
	s_delay_alu instid0(VALU_DEP_3)
	v_add_f32_e32 v0, v0, v4
	s_wait_alu 0xfffd
	v_cndmask_b32_e32 v2, v1, v2, vcc_lo
	v_cmp_gt_i32_e32 vcc_lo, 32, v3
	s_wait_dscnt 0x2
	s_wait_alu 0xfffd
	v_dual_add_f32 v0, v0, v5 :: v_dual_cndmask_b32 v3, v1, v3
	s_wait_dscnt 0x1
	s_delay_alu instid0(VALU_DEP_1) | instskip(SKIP_1) | instid1(VALU_DEP_1)
	v_dual_add_f32 v0, v0, v12 :: v_dual_lshlrev_b32 v3, 2, v3
	s_wait_dscnt 0x0
	v_add_f32_e32 v4, v0, v14
	v_lshlrev_b32_e32 v0, 2, v2
	ds_bpermute_b32 v2, v0, v4
	s_wait_dscnt 0x0
	v_add_f32_e32 v2, v4, v2
	v_xor_b32_e32 v4, 4, v1
	ds_bpermute_b32 v5, v3, v2
	v_cmp_gt_i32_e32 vcc_lo, 32, v4
	s_wait_alu 0xfffd
	v_cndmask_b32_e32 v4, v1, v4, vcc_lo
	s_delay_alu instid0(VALU_DEP_1)
	v_lshlrev_b32_e32 v4, 2, v4
	s_wait_dscnt 0x0
	v_add_f32_e32 v2, v2, v5
	v_xor_b32_e32 v5, 2, v1
	ds_bpermute_b32 v12, v4, v2
	v_cmp_gt_i32_e32 vcc_lo, 32, v5
	s_wait_alu 0xfffd
	v_cndmask_b32_e32 v5, v1, v5, vcc_lo
	s_wait_dscnt 0x0
	s_delay_alu instid0(VALU_DEP_1)
	v_dual_add_f32 v2, v2, v12 :: v_dual_lshlrev_b32 v5, 2, v5
	v_xor_b32_e32 v12, 1, v1
	ds_bpermute_b32 v13, v5, v2
	v_cmp_gt_i32_e32 vcc_lo, 32, v12
	s_wait_alu 0xfffd
	v_cndmask_b32_e32 v1, v1, v12, vcc_lo
	v_cmp_ne_u32_e32 vcc_lo, 1, v10
	s_delay_alu instid0(VALU_DEP_2)
	v_lshlrev_b32_e32 v12, 2, v1
	s_wait_dscnt 0x0
	v_add_f32_e32 v1, v2, v13
	ds_bpermute_b32 v2, v12, v1
	s_cbranch_vccnz .LBB133_44
; %bb.43:
	ds_bpermute_b32 v0, v0, v11
	s_wait_dscnt 0x0
	v_add_f32_e32 v0, v11, v0
	ds_bpermute_b32 v3, v3, v0
	s_wait_dscnt 0x0
	v_add_f32_e32 v0, v0, v3
	;; [unrolled: 3-line block ×5, first 2 shown]
.LBB133_44:
	v_cmp_eq_u32_e32 vcc_lo, 0, v7
	s_and_b32 exec_lo, exec_lo, vcc_lo
	s_cbranch_execz .LBB133_69
; %bb.45:
	s_wait_dscnt 0x0
	v_add_f32_e32 v0, v1, v2
	v_cmp_ne_u32_e32 vcc_lo, 1, v10
	s_delay_alu instid0(VALU_DEP_2) | instskip(NEXT) | instid1(VALU_DEP_1)
	v_add_f32_e32 v1, v9, v0
	v_cndmask_b32_e64 v0, v0, v1, s2
	s_cbranch_vccnz .LBB133_68
; %bb.46:
	v_add_f32_e32 v1, v8, v11
	s_wait_kmcnt 0x0
	s_cmp_lt_i32 s5, 2
	s_mov_b32 s2, 0
	s_delay_alu instid0(VALU_DEP_1)
	v_cndmask_b32_e64 v1, v11, v1, s3
	s_cbranch_scc1 .LBB133_51
; %bb.47:
	s_cmp_gt_i32 s5, 2
	s_cbranch_scc0 .LBB133_52
; %bb.48:
	s_cmp_eq_u32 s5, 3
	s_cbranch_scc0 .LBB133_53
; %bb.49:
	v_max_num_f32_e32 v2, v1, v1
	s_mov_b32 s3, 0xc0e00000
	s_delay_alu instid0(VALU_DEP_1) | instskip(NEXT) | instid1(VALU_DEP_1)
	v_min_num_f32_e32 v2, 0x40e00000, v2
	v_mul_f32_e32 v3, 0xbfd9db23, v2
	s_delay_alu instid0(VALU_DEP_1) | instskip(NEXT) | instid1(VALU_DEP_1)
	v_mul_f32_e32 v4, 0x3fb8aa3b, v3
	v_fma_f32 v5, 0x3fb8aa3b, v3, -v4
	v_rndne_f32_e32 v7, v4
	s_delay_alu instid0(VALU_DEP_1) | instskip(SKIP_1) | instid1(VALU_DEP_2)
	v_dual_sub_f32 v4, v4, v7 :: v_dual_fmamk_f32 v5, v3, 0x32a5705f, v5
	v_cmp_ngt_f32_e32 vcc_lo, 0xc2ce8ed0, v3
	v_add_f32_e32 v4, v4, v5
	v_cvt_i32_f32_e32 v5, v7
	s_delay_alu instid0(VALU_DEP_2) | instskip(NEXT) | instid1(TRANS32_DEP_1)
	v_exp_f32_e32 v4, v4
	v_ldexp_f32 v4, v4, v5
	s_wait_alu 0xfffd
	s_delay_alu instid0(VALU_DEP_1) | instskip(SKIP_2) | instid1(VALU_DEP_2)
	v_cndmask_b32_e32 v4, 0, v4, vcc_lo
	v_cmp_nlt_f32_e32 vcc_lo, 0x42b17218, v3
	s_wait_alu 0xfffd
	v_cndmask_b32_e32 v3, 0x7f800000, v4, vcc_lo
	s_delay_alu instid0(VALU_DEP_1) | instskip(NEXT) | instid1(VALU_DEP_1)
	v_add_f32_e32 v3, 1.0, v3
	v_div_scale_f32 v4, null, v3, v3, v2
	v_div_scale_f32 v8, vcc_lo, v2, v3, v2
	s_delay_alu instid0(VALU_DEP_2) | instskip(NEXT) | instid1(TRANS32_DEP_1)
	v_rcp_f32_e32 v5, v4
	v_fma_f32 v7, -v4, v5, 1.0
	s_delay_alu instid0(VALU_DEP_1) | instskip(NEXT) | instid1(VALU_DEP_1)
	v_fmac_f32_e32 v5, v7, v5
	v_mul_f32_e32 v7, v8, v5
	s_delay_alu instid0(VALU_DEP_1) | instskip(NEXT) | instid1(VALU_DEP_1)
	v_fma_f32 v9, -v4, v7, v8
	v_fmac_f32_e32 v7, v9, v5
	s_delay_alu instid0(VALU_DEP_1) | instskip(SKIP_2) | instid1(VALU_DEP_2)
	v_fma_f32 v4, -v4, v7, v8
	v_max_num_f32_e32 v8, v0, v0
	s_wait_alu 0xfffd
	v_div_fmas_f32 v4, v4, v5, v7
	s_wait_alu 0xfffe
	s_delay_alu instid0(VALU_DEP_2) | instskip(SKIP_1) | instid1(VALU_DEP_2)
	v_minmax_num_f32 v5, v8, 0x40e00000, s3
	s_mov_b32 s3, 0
	v_div_fixup_f32 v2, v4, v3, v2
	s_delay_alu instid0(VALU_DEP_2) | instskip(NEXT) | instid1(VALU_DEP_1)
	v_add_f32_e32 v3, 1.0, v5
	v_mul_f32_e32 v2, v3, v2
	s_branch .LBB133_54
.LBB133_50:
                                        ; implicit-def: $sgpr28
	s_clause 0x1
	s_load_b32 s30, s[0:1], 0x50
	s_load_b32 s29, s[0:1], 0x78
	s_branch .LBB133_2
.LBB133_51:
	s_mov_b32 s3, 0
                                        ; implicit-def: $vgpr2
	s_cbranch_execnz .LBB133_58
	s_branch .LBB133_59
.LBB133_52:
	s_mov_b32 s4, -1
	s_mov_b32 s3, 0
                                        ; implicit-def: $vgpr2
	s_branch .LBB133_55
.LBB133_53:
	s_mov_b32 s3, -1
                                        ; implicit-def: $vgpr2
.LBB133_54:
	s_mov_b32 s4, 0
.LBB133_55:
	s_wait_alu 0xfffe
	s_and_b32 vcc_lo, exec_lo, s4
	s_wait_alu 0xfffe
	s_cbranch_vccz .LBB133_57
; %bb.56:
	v_mul_f32_e32 v2, 0xbfb8aa3b, v1
	v_cmp_nlt_f32_e32 vcc_lo, 0x42ce8ed0, v1
	s_delay_alu instid0(VALU_DEP_2) | instskip(SKIP_1) | instid1(VALU_DEP_2)
	v_rndne_f32_e32 v3, v2
	v_fma_f32 v4, 0xbfb8aa3b, v1, -v2
	v_sub_f32_e32 v2, v2, v3
	s_delay_alu instid0(VALU_DEP_2) | instskip(SKIP_1) | instid1(VALU_DEP_2)
	v_fmamk_f32 v4, v1, 0xb2a5705f, v4
	v_cvt_i32_f32_e32 v3, v3
	v_add_f32_e32 v2, v2, v4
	s_delay_alu instid0(VALU_DEP_1) | instskip(NEXT) | instid1(TRANS32_DEP_1)
	v_exp_f32_e32 v2, v2
	v_ldexp_f32 v2, v2, v3
	s_wait_alu 0xfffd
	s_delay_alu instid0(VALU_DEP_1) | instskip(SKIP_2) | instid1(VALU_DEP_2)
	v_cndmask_b32_e32 v2, 0, v2, vcc_lo
	v_cmp_ngt_f32_e32 vcc_lo, 0xc2b17218, v1
	s_wait_alu 0xfffd
	v_cndmask_b32_e32 v2, 0x7f800000, v2, vcc_lo
	s_delay_alu instid0(VALU_DEP_1) | instskip(NEXT) | instid1(VALU_DEP_1)
	v_add_f32_e32 v2, 1.0, v2
	v_div_scale_f32 v3, null, v2, v2, v1
	s_delay_alu instid0(VALU_DEP_1) | instskip(NEXT) | instid1(TRANS32_DEP_1)
	v_rcp_f32_e32 v4, v3
	v_fma_f32 v5, -v3, v4, 1.0
	s_delay_alu instid0(VALU_DEP_1) | instskip(SKIP_1) | instid1(VALU_DEP_1)
	v_fmac_f32_e32 v4, v5, v4
	v_div_scale_f32 v5, vcc_lo, v1, v2, v1
	v_mul_f32_e32 v7, v5, v4
	s_delay_alu instid0(VALU_DEP_1) | instskip(NEXT) | instid1(VALU_DEP_1)
	v_fma_f32 v8, -v3, v7, v5
	v_fmac_f32_e32 v7, v8, v4
	s_delay_alu instid0(VALU_DEP_1) | instskip(SKIP_1) | instid1(VALU_DEP_1)
	v_fma_f32 v3, -v3, v7, v5
	s_wait_alu 0xfffd
	v_div_fmas_f32 v3, v3, v4, v7
	s_delay_alu instid0(VALU_DEP_1) | instskip(NEXT) | instid1(VALU_DEP_1)
	v_div_fixup_f32 v2, v3, v2, v1
	v_mul_f32_e32 v2, v0, v2
.LBB133_57:
	s_branch .LBB133_59
.LBB133_58:
	s_cmp_lg_u32 s5, 1
	s_mov_b32 s2, -1
	s_cselect_b32 s3, -1, 0
.LBB133_59:
	s_wait_alu 0xfffe
	s_and_not1_b32 vcc_lo, exec_lo, s3
	s_wait_alu 0xfffe
	s_cbranch_vccz .LBB133_61
; %bb.60:
	s_and_not1_b32 vcc_lo, exec_lo, s2
	s_wait_alu 0xfffe
	s_cbranch_vccz .LBB133_62
	s_branch .LBB133_67
.LBB133_61:
	v_mul_f32_e32 v2, v1, v0
	s_cbranch_execnz .LBB133_67
.LBB133_62:
	v_mul_f32_e32 v2, 0x3d372713, v1
	v_mul_f32_e32 v3, 0x3f4c422a, v1
	s_delay_alu instid0(VALU_DEP_2) | instskip(NEXT) | instid1(VALU_DEP_1)
	v_fma_f32 v2, v1, v2, 1.0
	v_mul_f32_e32 v2, v3, v2
                                        ; implicit-def: $vgpr3
	s_delay_alu instid0(VALU_DEP_1)
	v_cmp_ngt_f32_e64 s2, 0x3f200000, |v2|
	s_and_saveexec_b32 s3, s2
	s_wait_alu 0xfffe
	s_xor_b32 s2, exec_lo, s3
	s_cbranch_execz .LBB133_64
; %bb.63:
	v_add_f32_e64 v3, |v2|, |v2|
	s_delay_alu instid0(VALU_DEP_1) | instskip(SKIP_1) | instid1(VALU_DEP_2)
	v_mul_f32_e32 v4, 0x3fb8aa3b, v3
	v_cmp_ngt_f32_e32 vcc_lo, 0xc2ce8ed0, v3
	v_rndne_f32_e32 v5, v4
	v_fma_f32 v7, 0x3fb8aa3b, v3, -v4
	s_delay_alu instid0(VALU_DEP_1) | instskip(SKIP_1) | instid1(VALU_DEP_2)
	v_dual_sub_f32 v4, v4, v5 :: v_dual_fmamk_f32 v7, v3, 0x32a5705f, v7
	v_cvt_i32_f32_e32 v5, v5
	v_add_f32_e32 v4, v4, v7
	s_delay_alu instid0(VALU_DEP_1) | instskip(NEXT) | instid1(TRANS32_DEP_1)
	v_exp_f32_e32 v4, v4
	v_ldexp_f32 v4, v4, v5
	s_wait_alu 0xfffd
	s_delay_alu instid0(VALU_DEP_1) | instskip(SKIP_2) | instid1(VALU_DEP_2)
	v_cndmask_b32_e32 v4, 0, v4, vcc_lo
	v_cmp_nlt_f32_e32 vcc_lo, 0x42b17218, v3
	s_wait_alu 0xfffd
	v_cndmask_b32_e32 v3, 0x7f800000, v4, vcc_lo
	s_delay_alu instid0(VALU_DEP_1) | instskip(NEXT) | instid1(VALU_DEP_1)
	v_add_f32_e32 v3, 1.0, v3
	v_rcp_f32_e32 v3, v3
	s_delay_alu instid0(TRANS32_DEP_1)
	v_fma_f32 v3, v3, -2.0, 1.0
.LBB133_64:
	s_wait_alu 0xfffe
	s_and_not1_saveexec_b32 s2, s2
	s_cbranch_execz .LBB133_66
; %bb.65:
	v_mul_f32_e32 v3, v2, v2
	s_mov_b32 s3, 0xbbbac73d
	s_wait_alu 0xfffe
	s_delay_alu instid0(VALU_DEP_1) | instskip(NEXT) | instid1(VALU_DEP_1)
	v_fmaak_f32 v4, s3, v3, 0x3ca908c9
	v_fmaak_f32 v4, v3, v4, 0xbd5c1c4e
	s_delay_alu instid0(VALU_DEP_1) | instskip(NEXT) | instid1(VALU_DEP_1)
	v_fmaak_f32 v4, v3, v4, 0x3e088382
	v_fmaak_f32 v4, v3, v4, 0xbeaaaa99
	s_delay_alu instid0(VALU_DEP_1) | instskip(NEXT) | instid1(VALU_DEP_1)
	v_mul_f32_e64 v4, |v2|, v4
	v_fma_f32 v3, v3, v4, |v2|
.LBB133_66:
	s_wait_alu 0xfffe
	s_or_b32 exec_lo, exec_lo, s2
	s_delay_alu instid0(VALU_DEP_1) | instskip(NEXT) | instid1(VALU_DEP_1)
	v_bfi_b32 v2, 0x7fffffff, v3, v2
	v_dual_mul_f32 v1, 0.5, v1 :: v_dual_add_f32 v2, 1.0, v2
	s_delay_alu instid0(VALU_DEP_1) | instskip(NEXT) | instid1(VALU_DEP_1)
	v_mul_f32_e32 v1, v1, v2
	v_mul_f32_e32 v2, v0, v1
.LBB133_67:
	s_delay_alu instid0(VALU_DEP_1)
	v_mov_b32_e32 v0, v2
.LBB133_68:
	s_load_b64 s[0:1], s[0:1], 0x38
	s_mul_i32 s2, s6, s27
	s_wait_kmcnt 0x0
	s_mul_i32 s3, s26, s21
	s_wait_alu 0xfffe
	s_add_co_i32 s2, s2, ttmp9
	s_wait_alu 0xfffe
	s_add_co_i32 s2, s2, s3
	s_mov_b32 s3, 0
	s_wait_alu 0xfffe
	s_lshl_b64 s[2:3], s[2:3], 2
	s_wait_alu 0xfffe
	s_add_nc_u64 s[0:1], s[0:1], s[2:3]
	global_store_b32 v6, v0, s[0:1]
.LBB133_69:
	s_endpgm
	.section	.rodata,"a",@progbits
	.p2align	6, 0x0
	.amdhsa_kernel _ZL13mul_mat_vec_qIL9ggml_type13ELi1ELb1ELb1EEvPKvS2_PKi31ggml_cuda_mm_fusion_args_devicePfj15HIP_vector_typeIjLj3EEjjjS8_jjjS8_jjjj
		.amdhsa_group_segment_fixed_size 1792
		.amdhsa_private_segment_fixed_size 0
		.amdhsa_kernarg_size 144
		.amdhsa_user_sgpr_count 2
		.amdhsa_user_sgpr_dispatch_ptr 0
		.amdhsa_user_sgpr_queue_ptr 0
		.amdhsa_user_sgpr_kernarg_segment_ptr 1
		.amdhsa_user_sgpr_dispatch_id 0
		.amdhsa_user_sgpr_private_segment_size 0
		.amdhsa_wavefront_size32 1
		.amdhsa_uses_dynamic_stack 0
		.amdhsa_enable_private_segment 0
		.amdhsa_system_sgpr_workgroup_id_x 1
		.amdhsa_system_sgpr_workgroup_id_y 1
		.amdhsa_system_sgpr_workgroup_id_z 1
		.amdhsa_system_sgpr_workgroup_info 0
		.amdhsa_system_vgpr_workitem_id 1
		.amdhsa_next_free_vgpr 40
		.amdhsa_next_free_sgpr 38
		.amdhsa_reserve_vcc 1
		.amdhsa_float_round_mode_32 0
		.amdhsa_float_round_mode_16_64 0
		.amdhsa_float_denorm_mode_32 3
		.amdhsa_float_denorm_mode_16_64 3
		.amdhsa_fp16_overflow 0
		.amdhsa_workgroup_processor_mode 1
		.amdhsa_memory_ordered 1
		.amdhsa_forward_progress 1
		.amdhsa_inst_pref_size 33
		.amdhsa_round_robin_scheduling 0
		.amdhsa_exception_fp_ieee_invalid_op 0
		.amdhsa_exception_fp_denorm_src 0
		.amdhsa_exception_fp_ieee_div_zero 0
		.amdhsa_exception_fp_ieee_overflow 0
		.amdhsa_exception_fp_ieee_underflow 0
		.amdhsa_exception_fp_ieee_inexact 0
		.amdhsa_exception_int_div_zero 0
	.end_amdhsa_kernel
	.section	.text._ZL13mul_mat_vec_qIL9ggml_type13ELi1ELb1ELb1EEvPKvS2_PKi31ggml_cuda_mm_fusion_args_devicePfj15HIP_vector_typeIjLj3EEjjjS8_jjjS8_jjjj,"axG",@progbits,_ZL13mul_mat_vec_qIL9ggml_type13ELi1ELb1ELb1EEvPKvS2_PKi31ggml_cuda_mm_fusion_args_devicePfj15HIP_vector_typeIjLj3EEjjjS8_jjjS8_jjjj,comdat
.Lfunc_end133:
	.size	_ZL13mul_mat_vec_qIL9ggml_type13ELi1ELb1ELb1EEvPKvS2_PKi31ggml_cuda_mm_fusion_args_devicePfj15HIP_vector_typeIjLj3EEjjjS8_jjjS8_jjjj, .Lfunc_end133-_ZL13mul_mat_vec_qIL9ggml_type13ELi1ELb1ELb1EEvPKvS2_PKi31ggml_cuda_mm_fusion_args_devicePfj15HIP_vector_typeIjLj3EEjjjS8_jjjS8_jjjj
                                        ; -- End function
	.set _ZL13mul_mat_vec_qIL9ggml_type13ELi1ELb1ELb1EEvPKvS2_PKi31ggml_cuda_mm_fusion_args_devicePfj15HIP_vector_typeIjLj3EEjjjS8_jjjS8_jjjj.num_vgpr, 40
	.set _ZL13mul_mat_vec_qIL9ggml_type13ELi1ELb1ELb1EEvPKvS2_PKi31ggml_cuda_mm_fusion_args_devicePfj15HIP_vector_typeIjLj3EEjjjS8_jjjS8_jjjj.num_agpr, 0
	.set _ZL13mul_mat_vec_qIL9ggml_type13ELi1ELb1ELb1EEvPKvS2_PKi31ggml_cuda_mm_fusion_args_devicePfj15HIP_vector_typeIjLj3EEjjjS8_jjjS8_jjjj.numbered_sgpr, 38
	.set _ZL13mul_mat_vec_qIL9ggml_type13ELi1ELb1ELb1EEvPKvS2_PKi31ggml_cuda_mm_fusion_args_devicePfj15HIP_vector_typeIjLj3EEjjjS8_jjjS8_jjjj.num_named_barrier, 0
	.set _ZL13mul_mat_vec_qIL9ggml_type13ELi1ELb1ELb1EEvPKvS2_PKi31ggml_cuda_mm_fusion_args_devicePfj15HIP_vector_typeIjLj3EEjjjS8_jjjS8_jjjj.private_seg_size, 0
	.set _ZL13mul_mat_vec_qIL9ggml_type13ELi1ELb1ELb1EEvPKvS2_PKi31ggml_cuda_mm_fusion_args_devicePfj15HIP_vector_typeIjLj3EEjjjS8_jjjS8_jjjj.uses_vcc, 1
	.set _ZL13mul_mat_vec_qIL9ggml_type13ELi1ELb1ELb1EEvPKvS2_PKi31ggml_cuda_mm_fusion_args_devicePfj15HIP_vector_typeIjLj3EEjjjS8_jjjS8_jjjj.uses_flat_scratch, 0
	.set _ZL13mul_mat_vec_qIL9ggml_type13ELi1ELb1ELb1EEvPKvS2_PKi31ggml_cuda_mm_fusion_args_devicePfj15HIP_vector_typeIjLj3EEjjjS8_jjjS8_jjjj.has_dyn_sized_stack, 0
	.set _ZL13mul_mat_vec_qIL9ggml_type13ELi1ELb1ELb1EEvPKvS2_PKi31ggml_cuda_mm_fusion_args_devicePfj15HIP_vector_typeIjLj3EEjjjS8_jjjS8_jjjj.has_recursion, 0
	.set _ZL13mul_mat_vec_qIL9ggml_type13ELi1ELb1ELb1EEvPKvS2_PKi31ggml_cuda_mm_fusion_args_devicePfj15HIP_vector_typeIjLj3EEjjjS8_jjjS8_jjjj.has_indirect_call, 0
	.section	.AMDGPU.csdata,"",@progbits
; Kernel info:
; codeLenInByte = 4100
; TotalNumSgprs: 40
; NumVgprs: 40
; ScratchSize: 0
; MemoryBound: 0
; FloatMode: 240
; IeeeMode: 1
; LDSByteSize: 1792 bytes/workgroup (compile time only)
; SGPRBlocks: 0
; VGPRBlocks: 4
; NumSGPRsForWavesPerEU: 40
; NumVGPRsForWavesPerEU: 40
; Occupancy: 16
; WaveLimiterHint : 0
; COMPUTE_PGM_RSRC2:SCRATCH_EN: 0
; COMPUTE_PGM_RSRC2:USER_SGPR: 2
; COMPUTE_PGM_RSRC2:TRAP_HANDLER: 0
; COMPUTE_PGM_RSRC2:TGID_X_EN: 1
; COMPUTE_PGM_RSRC2:TGID_Y_EN: 1
; COMPUTE_PGM_RSRC2:TGID_Z_EN: 1
; COMPUTE_PGM_RSRC2:TIDIG_COMP_CNT: 1
	.section	.text._ZL13mul_mat_vec_qIL9ggml_type13ELi1ELb0ELb1EEvPKvS2_PKi31ggml_cuda_mm_fusion_args_devicePfj15HIP_vector_typeIjLj3EEjjjS8_jjjS8_jjjj,"axG",@progbits,_ZL13mul_mat_vec_qIL9ggml_type13ELi1ELb0ELb1EEvPKvS2_PKi31ggml_cuda_mm_fusion_args_devicePfj15HIP_vector_typeIjLj3EEjjjS8_jjjS8_jjjj,comdat
	.globl	_ZL13mul_mat_vec_qIL9ggml_type13ELi1ELb0ELb1EEvPKvS2_PKi31ggml_cuda_mm_fusion_args_devicePfj15HIP_vector_typeIjLj3EEjjjS8_jjjS8_jjjj ; -- Begin function _ZL13mul_mat_vec_qIL9ggml_type13ELi1ELb0ELb1EEvPKvS2_PKi31ggml_cuda_mm_fusion_args_devicePfj15HIP_vector_typeIjLj3EEjjjS8_jjjS8_jjjj
	.p2align	8
	.type	_ZL13mul_mat_vec_qIL9ggml_type13ELi1ELb0ELb1EEvPKvS2_PKi31ggml_cuda_mm_fusion_args_devicePfj15HIP_vector_typeIjLj3EEjjjS8_jjjS8_jjjj,@function
_ZL13mul_mat_vec_qIL9ggml_type13ELi1ELb0ELb1EEvPKvS2_PKi31ggml_cuda_mm_fusion_args_devicePfj15HIP_vector_typeIjLj3EEjjjS8_jjjS8_jjjj: ; @_ZL13mul_mat_vec_qIL9ggml_type13ELi1ELb0ELb1EEvPKvS2_PKi31ggml_cuda_mm_fusion_args_devicePfj15HIP_vector_typeIjLj3EEjjjS8_jjjS8_jjjj
; %bb.0:
	s_clause 0x1
	s_load_b64 s[2:3], s[0:1], 0x10
	s_load_b128 s[8:11], s[0:1], 0x40
	s_and_b32 s15, ttmp7, 0xffff
	s_wait_kmcnt 0x0
	s_cmp_lg_u64 s[2:3], 0
	s_cselect_b32 s12, -1, 0
	s_cmp_eq_u64 s[2:3], 0
	s_cbranch_scc1 .LBB134_19
; %bb.1:
	s_lshl_b32 s4, s15, 2
	s_load_b32 s2, s[2:3], s4 offset:0x0
	s_clause 0x1
	s_load_b128 s[4:7], s[0:1], 0x68
	s_load_b32 s3, s[0:1], 0x50
	s_cbranch_execnz .LBB134_3
.LBB134_2:
	s_load_b64 s[16:17], s[0:1], 0x5c
	s_wait_kmcnt 0x0
	s_mul_hi_u32 s2, s16, s15
	s_delay_alu instid0(SALU_CYCLE_1) | instskip(NEXT) | instid1(SALU_CYCLE_1)
	s_add_co_i32 s2, s15, s2
	s_lshr_b32 s2, s2, s17
.LBB134_3:
	s_load_b32 s20, s[0:1], 0x78
	s_and_not1_b32 vcc_lo, exec_lo, s12
	s_mov_b32 s19, s15
	s_cbranch_vccnz .LBB134_5
; %bb.4:
	s_mul_hi_u32 s9, s9, s15
	s_delay_alu instid0(SALU_CYCLE_1) | instskip(NEXT) | instid1(SALU_CYCLE_1)
	s_add_co_i32 s9, s15, s9
	s_lshr_b32 s9, s9, s10
	s_delay_alu instid0(SALU_CYCLE_1) | instskip(NEXT) | instid1(SALU_CYCLE_1)
	s_mul_i32 s9, s9, s11
	s_sub_co_i32 s19, s15, s9
.LBB134_5:
	s_load_b96 s[12:14], s[0:1], 0x80
	v_bfe_u32 v5, v0, 10, 10
	v_and_b32_e32 v4, 0x3ff, v0
	v_mov_b32_e32 v6, 0
	s_lshr_b32 s18, s8, 8
	s_lshr_b32 s16, ttmp7, 16
	s_mov_b32 s17, exec_lo
	v_lshl_add_u32 v0, v5, 5, v4
	s_delay_alu instid0(VALU_DEP_1) | instskip(NEXT) | instid1(VALU_DEP_1)
	v_lshrrev_b32_e32 v7, 4, v0
	v_cmpx_gt_u32_e64 s18, v7
	s_cbranch_execz .LBB134_13
; %bb.6:
	s_load_b128 s[8:11], s[0:1], 0x0
	v_lshlrev_b32_e32 v1, 1, v4
	v_bfe_u32 v2, v4, 2, 2
	s_wait_kmcnt 0x0
	s_mul_hi_u32 s7, s7, s16
	v_lshrrev_b32_e32 v6, 4, v0
	s_add_co_i32 s7, s16, s7
	v_bfe_u32 v3, v1, 3, 2
	v_and_b32_e32 v10, 30, v1
	v_mul_hi_u32_u24_e32 v1, 0x48, v2
	v_mul_u32_u24_e32 v0, 0x48, v2
	s_mul_i32 s21, s3, ttmp9
	s_lshr_b32 s3, s7, s20
	s_mul_i32 s7, s2, s4
	s_mul_i32 s20, s3, s12
	;; [unrolled: 1-line block ×3, first 2 shown]
	s_mov_b32 s13, 0
	v_mad_co_u64_u32 v[0:1], null, 0x120, v6, v[0:1]
	s_mul_i32 s2, s19, s5
	s_mov_b32 s3, s13
	s_mul_u64 s[4:5], s[12:13], 36
	s_mul_u64 s[2:3], s[2:3], 36
	s_add_nc_u64 s[4:5], s[10:11], s[4:5]
	v_and_b32_e32 v2, 3, v4
	s_add_nc_u64 s[2:3], s[4:5], s[2:3]
	v_lshlrev_b32_e32 v8, 5, v3
	v_add_co_u32 v0, s2, s2, v0
	s_wait_alu 0xf1ff
	v_add_co_ci_u32_e64 v1, null, s3, v1, s2
	v_mov_b32_e32 v6, 0
	s_delay_alu instid0(VALU_DEP_3)
	v_add_co_u32 v0, s2, v0, 36
	v_lshlrev_b32_e32 v9, 2, v2
	v_cmp_lt_u32_e32 vcc_lo, 15, v10
	v_lshlrev_b32_e32 v10, 1, v3
	s_wait_alu 0xf1ff
	v_add_co_ci_u32_e64 v1, null, 0, v1, s2
	v_lshlrev_b32_e32 v11, 1, v3
	s_add_co_i32 s20, s20, s21
	s_delay_alu instid0(SALU_CYCLE_1)
	s_add_co_i32 s4, s7, s20
	s_branch .LBB134_8
.LBB134_7:                              ;   in Loop: Header=BB134_8 Depth=1
	s_wait_alu 0xfffe
	s_or_b32 exec_lo, exec_lo, s2
	s_wait_loadcnt 0x1
	v_ashrrev_i32_e32 v2, v10, v23
	v_ashrrev_i32_e32 v3, v10, v22
	v_and_b32_e32 v23, 0xf0f0f0f, v20
	v_and_b32_e32 v22, 0xf0f0f0f, v21
	v_lshrrev_b32_e32 v20, 4, v20
	v_lshlrev_b32_e32 v24, 4, v2
	v_lshlrev_b32_e32 v26, 4, v3
	v_lshrrev_b32_e32 v21, 4, v21
	v_dot4_i32_iu8 v25, 0x1010101, v18, 0 neg_lo:[1,1,0]
	v_and_b32_e32 v20, 0xf0f0f0f, v20
	v_and_or_b32 v23, 0x10101010, v24, v23
	v_lshlrev_b32_e32 v2, 3, v2
	v_and_or_b32 v22, 0x10101010, v26, v22
	v_and_b32_e32 v21, 0xf0f0f0f, v21
	v_lshlrev_b32_e32 v3, 3, v3
	v_dot4_i32_iu8 v18, v23, v18, 0 neg_lo:[1,1,0]
	v_and_b32_e32 v23, 0xff00ff, v19
	v_dot4_i32_iu8 v24, 0x1010101, v17, v25 neg_lo:[1,1,0]
	v_and_or_b32 v2, 0x10101010, v2, v20
	v_pk_lshrrev_b16 v19, 8, v19 op_sel_hi:[0,1]
	v_dot4_i32_iu8 v17, v22, v17, v18 neg_lo:[1,1,0]
	v_dot4_i32_iu8 v18, 0x1010101, v16, 0 neg_lo:[1,1,0]
	v_lshrrev_b32_e32 v20, 16, v23
	v_and_or_b32 v3, 0x10101010, v3, v21
	v_dot4_i32_iu8 v2, v2, v16, 0 neg_lo:[1,1,0]
	v_and_b32_e32 v16, 0xff, v23
	v_dot4_i32_iu8 v18, 0x1010101, v15, v18 neg_lo:[1,1,0]
	v_mul_lo_u32 v20, v24, v20
	v_lshrrev_b32_e32 v21, 16, v19
	v_dot4_i32_iu8 v2, v3, v15, v2 neg_lo:[1,1,0]
	v_mul_lo_u32 v16, v17, v16
	v_and_b32_e32 v15, 0xff, v19
	v_add_nc_u32_e32 v7, 16, v7
	v_mul_lo_u32 v3, v18, v21
	s_wait_loadcnt 0x0
	v_lshrrev_b32_e32 v18, 16, v14
	v_cvt_f32_i32_e32 v17, v20
	v_mul_lo_u32 v2, v2, v15
	v_cmp_le_u32_e64 s2, s18, v7
	v_cvt_f32_i32_e32 v16, v16
	v_add_co_u32 v0, s3, 0x1200, v0
	v_fma_mix_f32 v15, v12, v17, 0 op_sel_hi:[1,0,0]
	v_cvt_f32_i32_e32 v3, v3
	v_cvt_f32_f16_e32 v17, v18
	v_fma_mix_f32 v12, v12, v16, 0 op_sel_hi:[1,0,0]
	v_cvt_f32_i32_e32 v2, v2
	s_wait_alu 0xf1ff
	v_add_co_ci_u32_e64 v1, null, 0, v1, s3
	v_fma_mix_f32 v3, v13, v3, v15 op_sel_hi:[1,0,0]
	s_or_b32 s13, s2, s13
	v_fma_mix_f32 v2, v13, v2, v12 op_sel_hi:[1,0,0]
	s_delay_alu instid0(VALU_DEP_2) | instskip(NEXT) | instid1(VALU_DEP_1)
	v_mul_f32_e32 v3, v3, v17
	v_fma_mix_f32 v2, v2, v14, -v3 op_sel_hi:[0,1,0]
	s_delay_alu instid0(VALU_DEP_1)
	v_add_f32_e32 v6, v6, v2
	s_and_not1_b32 exec_lo, exec_lo, s13
	s_cbranch_execz .LBB134_12
.LBB134_8:                              ; =>This Inner Loop Header: Depth=1
	v_add_nc_u32_e32 v2, s4, v7
	v_add_co_u32 v19, s2, v0, v9
	s_wait_alu 0xf1ff
	v_add_co_ci_u32_e64 v20, null, 0, v1, s2
	s_delay_alu instid0(VALU_DEP_3) | instskip(NEXT) | instid1(VALU_DEP_1)
	v_mad_co_i64_i32 v[2:3], null, 0xb0, v2, s[8:9]
	v_add_co_u32 v12, s2, v2, v8
	s_wait_alu 0xf1ff
	s_delay_alu instid0(VALU_DEP_2)
	v_add_co_ci_u32_e64 v13, null, 0, v3, s2
	v_add_co_u32 v23, s2, v2, v9
	s_wait_alu 0xf1ff
	v_add_co_ci_u32_e64 v24, null, 0, v3, s2
	v_add_co_u32 v25, s2, v12, v9
	s_wait_alu 0xf1ff
	v_add_co_ci_u32_e64 v26, null, 0, v13, s2
	s_clause 0x5
	global_load_b32 v12, v[0:1], off offset:-36
	global_load_b32 v17, v[19:20], off offset:-32
	;; [unrolled: 1-line block ×3, first 2 shown]
	global_load_b32 v13, v[0:1], off
	global_load_b32 v15, v[19:20], off offset:4
	global_load_b32 v16, v[19:20], off offset:20
	s_clause 0x4
	global_load_b32 v21, v[25:26], off offset:48
	global_load_b32 v20, v[25:26], off offset:64
	;; [unrolled: 1-line block ×4, first 2 shown]
	global_load_b32 v14, v[2:3], off
	v_add_co_u32 v2, s2, v2, v11
	s_wait_alu 0xf1ff
	v_add_co_ci_u32_e64 v3, null, 0, v3, s2
                                        ; implicit-def: $vgpr19
	s_and_saveexec_b32 s2, vcc_lo
	s_wait_alu 0xfffe
	s_xor_b32 s2, exec_lo, s2
	s_cbranch_execz .LBB134_10
; %bb.9:                                ;   in Loop: Header=BB134_8 Depth=1
	s_clause 0x1
	global_load_u16 v19, v[2:3], off
	global_load_u16 v24, v[2:3], off offset:8
	s_wait_loadcnt 0x1
	global_load_d16_hi_b16 v19, v[2:3], off offset:4
	s_wait_loadcnt 0x1
	v_pk_lshrrev_b16 v2, 4, v24 op_sel:[1,0] op_sel_hi:[0,0]
	s_delay_alu instid0(VALU_DEP_1) | instskip(SKIP_2) | instid1(VALU_DEP_1)
	v_and_b32_e32 v2, 0xf0f0f0f, v2
	s_wait_loadcnt 0x0
	v_pk_lshrrev_b16 v3, 2, v19 op_sel_hi:[0,1]
	v_and_or_b32 v19, 0x30303030, v3, v2
                                        ; implicit-def: $vgpr2_vgpr3
.LBB134_10:                             ;   in Loop: Header=BB134_8 Depth=1
	s_wait_alu 0xfffe
	s_and_not1_saveexec_b32 s2, s2
	s_cbranch_execz .LBB134_7
; %bb.11:                               ;   in Loop: Header=BB134_8 Depth=1
	global_load_u16 v19, v[2:3], off offset:4
	s_wait_loadcnt 0x0
	global_load_d16_hi_b16 v19, v[2:3], off offset:8
	s_wait_loadcnt 0x0
	v_and_b32_e32 v19, 0x3f3f3f3f, v19
	s_branch .LBB134_7
.LBB134_12:
	s_or_b32 exec_lo, exec_lo, s13
.LBB134_13:
	s_delay_alu instid0(SALU_CYCLE_1)
	s_or_b32 exec_lo, exec_lo, s17
	v_lshlrev_b32_e32 v0, 2, v4
	s_wait_kmcnt 0x0
	s_mov_b32 s3, exec_lo
	v_cmp_eq_u32_e32 vcc_lo, 0, v5
	v_cmpx_ne_u32_e32 0, v5
; %bb.14:
	v_lshlrev_b32_e32 v1, 7, v5
	s_delay_alu instid0(VALU_DEP_1)
	v_add3_u32 v1, v1, v0, 0xffffff80
	ds_store_b32 v1, v6
; %bb.15:
	s_wait_alu 0xfffe
	s_or_b32 exec_lo, exec_lo, s3
	s_wait_dscnt 0x0
	s_barrier_signal -1
	s_barrier_wait -1
	global_inv scope:SCOPE_SE
	s_and_saveexec_b32 s2, vcc_lo
	s_cbranch_execz .LBB134_18
; %bb.16:
	ds_load_2addr_b32 v[1:2], v0 offset1:32
	ds_load_2addr_b32 v[7:8], v0 offset0:64 offset1:96
	ds_load_2addr_b32 v[9:10], v0 offset0:128 offset1:160
	ds_load_b32 v0, v0 offset:768
	s_mov_b32 s3, 0
	s_wait_dscnt 0x3
	v_add_f32_e32 v1, v6, v1
	s_delay_alu instid0(VALU_DEP_1) | instskip(SKIP_2) | instid1(VALU_DEP_2)
	v_add_f32_e32 v1, v1, v2
	v_mbcnt_lo_u32_b32 v2, -1, 0
	s_wait_dscnt 0x2
	v_add_f32_e32 v1, v1, v7
	s_delay_alu instid0(VALU_DEP_2) | instskip(NEXT) | instid1(VALU_DEP_2)
	v_xor_b32_e32 v3, 16, v2
	v_add_f32_e32 v1, v1, v8
	s_delay_alu instid0(VALU_DEP_2) | instskip(SKIP_1) | instid1(VALU_DEP_2)
	v_cmp_gt_i32_e32 vcc_lo, 32, v3
	s_wait_dscnt 0x1
	v_add_f32_e32 v1, v1, v9
	s_delay_alu instid0(VALU_DEP_1) | instskip(SKIP_1) | instid1(VALU_DEP_1)
	v_add_f32_e32 v1, v1, v10
	s_wait_dscnt 0x0
	v_dual_cndmask_b32 v3, v2, v3 :: v_dual_add_f32 v0, v1, v0
	s_delay_alu instid0(VALU_DEP_1)
	v_lshlrev_b32_e32 v1, 2, v3
	v_xor_b32_e32 v3, 8, v2
	ds_bpermute_b32 v1, v1, v0
	v_cmp_gt_i32_e32 vcc_lo, 32, v3
	s_wait_dscnt 0x0
	s_wait_alu 0xfffd
	v_dual_cndmask_b32 v3, v2, v3 :: v_dual_add_f32 v0, v0, v1
	s_delay_alu instid0(VALU_DEP_1) | instskip(SKIP_2) | instid1(VALU_DEP_1)
	v_lshlrev_b32_e32 v3, 2, v3
	ds_bpermute_b32 v1, v3, v0
	v_xor_b32_e32 v3, 4, v2
	v_cmp_gt_i32_e32 vcc_lo, 32, v3
	s_wait_dscnt 0x0
	s_wait_alu 0xfffd
	v_dual_add_f32 v0, v0, v1 :: v_dual_cndmask_b32 v3, v2, v3
	s_delay_alu instid0(VALU_DEP_1) | instskip(SKIP_2) | instid1(VALU_DEP_1)
	v_lshlrev_b32_e32 v3, 2, v3
	ds_bpermute_b32 v1, v3, v0
	v_xor_b32_e32 v3, 2, v2
	v_cmp_gt_i32_e32 vcc_lo, 32, v3
	s_wait_alu 0xfffd
	v_cndmask_b32_e32 v3, v2, v3, vcc_lo
	s_wait_dscnt 0x0
	s_delay_alu instid0(VALU_DEP_1) | instskip(SKIP_2) | instid1(VALU_DEP_1)
	v_dual_add_f32 v0, v0, v1 :: v_dual_lshlrev_b32 v3, 2, v3
	ds_bpermute_b32 v1, v3, v0
	v_xor_b32_e32 v3, 1, v2
	v_cmp_gt_i32_e32 vcc_lo, 32, v3
	s_wait_alu 0xfffd
	v_cndmask_b32_e32 v2, v2, v3, vcc_lo
	v_cmp_eq_u32_e32 vcc_lo, 0, v4
	s_delay_alu instid0(VALU_DEP_2)
	v_lshlrev_b32_e32 v2, 2, v2
	s_wait_dscnt 0x0
	v_add_f32_e32 v0, v0, v1
	ds_bpermute_b32 v1, v2, v0
	s_and_b32 exec_lo, exec_lo, vcc_lo
	s_cbranch_execz .LBB134_18
; %bb.17:
	s_load_b64 s[0:1], s[0:1], 0x38
	s_mul_i32 s2, s6, s15
	s_mul_i32 s4, s14, s16
	s_wait_alu 0xfffe
	s_add_co_i32 s2, s2, ttmp9
	v_mov_b32_e32 v2, 0
	s_wait_alu 0xfffe
	s_add_co_i32 s2, s2, s4
	s_wait_dscnt 0x0
	v_add_f32_e32 v0, v0, v1
	s_wait_alu 0xfffe
	s_lshl_b64 s[2:3], s[2:3], 2
	s_wait_kmcnt 0x0
	s_wait_alu 0xfffe
	s_add_nc_u64 s[0:1], s[0:1], s[2:3]
	global_store_b32 v2, v0, s[0:1]
.LBB134_18:
	s_endpgm
.LBB134_19:
                                        ; implicit-def: $sgpr2
	s_clause 0x1
	s_load_b128 s[4:7], s[0:1], 0x68
	s_load_b32 s3, s[0:1], 0x50
	s_branch .LBB134_2
	.section	.rodata,"a",@progbits
	.p2align	6, 0x0
	.amdhsa_kernel _ZL13mul_mat_vec_qIL9ggml_type13ELi1ELb0ELb1EEvPKvS2_PKi31ggml_cuda_mm_fusion_args_devicePfj15HIP_vector_typeIjLj3EEjjjS8_jjjS8_jjjj
		.amdhsa_group_segment_fixed_size 896
		.amdhsa_private_segment_fixed_size 0
		.amdhsa_kernarg_size 144
		.amdhsa_user_sgpr_count 2
		.amdhsa_user_sgpr_dispatch_ptr 0
		.amdhsa_user_sgpr_queue_ptr 0
		.amdhsa_user_sgpr_kernarg_segment_ptr 1
		.amdhsa_user_sgpr_dispatch_id 0
		.amdhsa_user_sgpr_private_segment_size 0
		.amdhsa_wavefront_size32 1
		.amdhsa_uses_dynamic_stack 0
		.amdhsa_enable_private_segment 0
		.amdhsa_system_sgpr_workgroup_id_x 1
		.amdhsa_system_sgpr_workgroup_id_y 1
		.amdhsa_system_sgpr_workgroup_id_z 1
		.amdhsa_system_sgpr_workgroup_info 0
		.amdhsa_system_vgpr_workitem_id 1
		.amdhsa_next_free_vgpr 27
		.amdhsa_next_free_sgpr 22
		.amdhsa_reserve_vcc 1
		.amdhsa_float_round_mode_32 0
		.amdhsa_float_round_mode_16_64 0
		.amdhsa_float_denorm_mode_32 3
		.amdhsa_float_denorm_mode_16_64 3
		.amdhsa_fp16_overflow 0
		.amdhsa_workgroup_processor_mode 1
		.amdhsa_memory_ordered 1
		.amdhsa_forward_progress 1
		.amdhsa_inst_pref_size 14
		.amdhsa_round_robin_scheduling 0
		.amdhsa_exception_fp_ieee_invalid_op 0
		.amdhsa_exception_fp_denorm_src 0
		.amdhsa_exception_fp_ieee_div_zero 0
		.amdhsa_exception_fp_ieee_overflow 0
		.amdhsa_exception_fp_ieee_underflow 0
		.amdhsa_exception_fp_ieee_inexact 0
		.amdhsa_exception_int_div_zero 0
	.end_amdhsa_kernel
	.section	.text._ZL13mul_mat_vec_qIL9ggml_type13ELi1ELb0ELb1EEvPKvS2_PKi31ggml_cuda_mm_fusion_args_devicePfj15HIP_vector_typeIjLj3EEjjjS8_jjjS8_jjjj,"axG",@progbits,_ZL13mul_mat_vec_qIL9ggml_type13ELi1ELb0ELb1EEvPKvS2_PKi31ggml_cuda_mm_fusion_args_devicePfj15HIP_vector_typeIjLj3EEjjjS8_jjjS8_jjjj,comdat
.Lfunc_end134:
	.size	_ZL13mul_mat_vec_qIL9ggml_type13ELi1ELb0ELb1EEvPKvS2_PKi31ggml_cuda_mm_fusion_args_devicePfj15HIP_vector_typeIjLj3EEjjjS8_jjjS8_jjjj, .Lfunc_end134-_ZL13mul_mat_vec_qIL9ggml_type13ELi1ELb0ELb1EEvPKvS2_PKi31ggml_cuda_mm_fusion_args_devicePfj15HIP_vector_typeIjLj3EEjjjS8_jjjS8_jjjj
                                        ; -- End function
	.set _ZL13mul_mat_vec_qIL9ggml_type13ELi1ELb0ELb1EEvPKvS2_PKi31ggml_cuda_mm_fusion_args_devicePfj15HIP_vector_typeIjLj3EEjjjS8_jjjS8_jjjj.num_vgpr, 27
	.set _ZL13mul_mat_vec_qIL9ggml_type13ELi1ELb0ELb1EEvPKvS2_PKi31ggml_cuda_mm_fusion_args_devicePfj15HIP_vector_typeIjLj3EEjjjS8_jjjS8_jjjj.num_agpr, 0
	.set _ZL13mul_mat_vec_qIL9ggml_type13ELi1ELb0ELb1EEvPKvS2_PKi31ggml_cuda_mm_fusion_args_devicePfj15HIP_vector_typeIjLj3EEjjjS8_jjjS8_jjjj.numbered_sgpr, 22
	.set _ZL13mul_mat_vec_qIL9ggml_type13ELi1ELb0ELb1EEvPKvS2_PKi31ggml_cuda_mm_fusion_args_devicePfj15HIP_vector_typeIjLj3EEjjjS8_jjjS8_jjjj.num_named_barrier, 0
	.set _ZL13mul_mat_vec_qIL9ggml_type13ELi1ELb0ELb1EEvPKvS2_PKi31ggml_cuda_mm_fusion_args_devicePfj15HIP_vector_typeIjLj3EEjjjS8_jjjS8_jjjj.private_seg_size, 0
	.set _ZL13mul_mat_vec_qIL9ggml_type13ELi1ELb0ELb1EEvPKvS2_PKi31ggml_cuda_mm_fusion_args_devicePfj15HIP_vector_typeIjLj3EEjjjS8_jjjS8_jjjj.uses_vcc, 1
	.set _ZL13mul_mat_vec_qIL9ggml_type13ELi1ELb0ELb1EEvPKvS2_PKi31ggml_cuda_mm_fusion_args_devicePfj15HIP_vector_typeIjLj3EEjjjS8_jjjS8_jjjj.uses_flat_scratch, 0
	.set _ZL13mul_mat_vec_qIL9ggml_type13ELi1ELb0ELb1EEvPKvS2_PKi31ggml_cuda_mm_fusion_args_devicePfj15HIP_vector_typeIjLj3EEjjjS8_jjjS8_jjjj.has_dyn_sized_stack, 0
	.set _ZL13mul_mat_vec_qIL9ggml_type13ELi1ELb0ELb1EEvPKvS2_PKi31ggml_cuda_mm_fusion_args_devicePfj15HIP_vector_typeIjLj3EEjjjS8_jjjS8_jjjj.has_recursion, 0
	.set _ZL13mul_mat_vec_qIL9ggml_type13ELi1ELb0ELb1EEvPKvS2_PKi31ggml_cuda_mm_fusion_args_devicePfj15HIP_vector_typeIjLj3EEjjjS8_jjjS8_jjjj.has_indirect_call, 0
	.section	.AMDGPU.csdata,"",@progbits
; Kernel info:
; codeLenInByte = 1784
; TotalNumSgprs: 24
; NumVgprs: 27
; ScratchSize: 0
; MemoryBound: 0
; FloatMode: 240
; IeeeMode: 1
; LDSByteSize: 896 bytes/workgroup (compile time only)
; SGPRBlocks: 0
; VGPRBlocks: 3
; NumSGPRsForWavesPerEU: 24
; NumVGPRsForWavesPerEU: 27
; Occupancy: 16
; WaveLimiterHint : 0
; COMPUTE_PGM_RSRC2:SCRATCH_EN: 0
; COMPUTE_PGM_RSRC2:USER_SGPR: 2
; COMPUTE_PGM_RSRC2:TRAP_HANDLER: 0
; COMPUTE_PGM_RSRC2:TGID_X_EN: 1
; COMPUTE_PGM_RSRC2:TGID_Y_EN: 1
; COMPUTE_PGM_RSRC2:TGID_Z_EN: 1
; COMPUTE_PGM_RSRC2:TIDIG_COMP_CNT: 1
	.section	.text._ZL13mul_mat_vec_qIL9ggml_type13ELi1ELb1ELb0EEvPKvS2_PKi31ggml_cuda_mm_fusion_args_devicePfj15HIP_vector_typeIjLj3EEjjjS8_jjjS8_jjjj,"axG",@progbits,_ZL13mul_mat_vec_qIL9ggml_type13ELi1ELb1ELb0EEvPKvS2_PKi31ggml_cuda_mm_fusion_args_devicePfj15HIP_vector_typeIjLj3EEjjjS8_jjjS8_jjjj,comdat
	.globl	_ZL13mul_mat_vec_qIL9ggml_type13ELi1ELb1ELb0EEvPKvS2_PKi31ggml_cuda_mm_fusion_args_devicePfj15HIP_vector_typeIjLj3EEjjjS8_jjjS8_jjjj ; -- Begin function _ZL13mul_mat_vec_qIL9ggml_type13ELi1ELb1ELb0EEvPKvS2_PKi31ggml_cuda_mm_fusion_args_devicePfj15HIP_vector_typeIjLj3EEjjjS8_jjjS8_jjjj
	.p2align	8
	.type	_ZL13mul_mat_vec_qIL9ggml_type13ELi1ELb1ELb0EEvPKvS2_PKi31ggml_cuda_mm_fusion_args_devicePfj15HIP_vector_typeIjLj3EEjjjS8_jjjS8_jjjj,@function
_ZL13mul_mat_vec_qIL9ggml_type13ELi1ELb1ELb0EEvPKvS2_PKi31ggml_cuda_mm_fusion_args_devicePfj15HIP_vector_typeIjLj3EEjjjS8_jjjS8_jjjj: ; @_ZL13mul_mat_vec_qIL9ggml_type13ELi1ELb1ELb0EEvPKvS2_PKi31ggml_cuda_mm_fusion_args_devicePfj15HIP_vector_typeIjLj3EEjjjS8_jjjS8_jjjj
; %bb.0:
	s_clause 0x3
	s_load_b256 s[8:15], s[0:1], 0x0
	s_load_b128 s[16:19], s[0:1], 0x20
	s_load_b128 s[20:23], s[0:1], 0x40
	;; [unrolled: 1-line block ×3, first 2 shown]
	s_and_b32 s27, ttmp7, 0xffff
	s_wait_kmcnt 0x0
	s_cmp_lg_u64 s[12:13], 0
	s_cselect_b32 s2, -1, 0
	s_cmp_eq_u64 s[12:13], 0
	s_cbranch_scc1 .LBB135_50
; %bb.1:
	s_lshl_b32 s3, s27, 2
	s_load_b32 s28, s[12:13], s3 offset:0x0
	s_clause 0x1
	s_load_b32 s30, s[0:1], 0x50
	s_load_b32 s29, s[0:1], 0x78
	s_cbranch_execnz .LBB135_3
.LBB135_2:
	s_load_b64 s[12:13], s[0:1], 0x5c
	s_wait_kmcnt 0x0
	s_mul_hi_u32 s3, s12, s27
	s_delay_alu instid0(SALU_CYCLE_1) | instskip(NEXT) | instid1(SALU_CYCLE_1)
	s_add_co_i32 s3, s27, s3
	s_lshr_b32 s28, s3, s13
.LBB135_3:
	s_and_not1_b32 vcc_lo, exec_lo, s2
	s_mov_b32 s3, s27
	s_mov_b32 s31, s27
	s_cbranch_vccnz .LBB135_5
; %bb.4:
	s_mul_hi_u32 s2, s21, s27
	s_wait_kmcnt 0x0
	s_mov_b32 s3, s28
	s_add_co_i32 s2, s27, s2
	s_delay_alu instid0(SALU_CYCLE_1) | instskip(NEXT) | instid1(SALU_CYCLE_1)
	s_lshr_b32 s2, s2, s22
	s_mul_i32 s2, s2, s23
	s_delay_alu instid0(SALU_CYCLE_1)
	s_sub_co_i32 s31, s27, s2
.LBB135_5:
	s_load_b96 s[24:26], s[0:1], 0x80
	v_bfe_u32 v12, v0, 10, 10
	v_dual_mov_b32 v8, 0 :: v_dual_and_b32 v7, 0x3ff, v0
	s_lshr_b32 s21, ttmp7, 16
	s_cmp_lg_u64 s[14:15], 0
	s_delay_alu instid0(VALU_DEP_1) | instskip(SKIP_4) | instid1(VALU_DEP_1)
	v_dual_mov_b32 v9, 0 :: v_dual_lshlrev_b32 v6, 2, v7
	v_or_b32_e32 v0, v7, v12
	s_cselect_b32 s2, -1, 0
	s_mov_b32 s23, 0
	s_mul_i32 s12, s3, s6
	v_cmp_eq_u32_e32 vcc_lo, 0, v0
	s_and_b32 s13, s2, vcc_lo
	s_delay_alu instid0(SALU_CYCLE_1)
	s_and_saveexec_b32 s3, s13
	s_cbranch_execz .LBB135_7
; %bb.6:
	s_wait_kmcnt 0x0
	s_mul_i32 s22, s26, s21
	s_mov_b32 s13, s23
	s_lshl_b64 s[36:37], s[22:23], 2
	s_mov_b32 s34, ttmp9
	s_add_nc_u64 s[14:15], s[14:15], s[36:37]
	s_lshl_b64 s[22:23], s[12:13], 2
	s_ashr_i32 s35, ttmp9, 31
	s_add_nc_u64 s[14:15], s[14:15], s[22:23]
	s_lshl_b64 s[22:23], s[34:35], 2
	s_delay_alu instid0(SALU_CYCLE_1)
	s_add_nc_u64 s[14:15], s[14:15], s[22:23]
	global_load_b32 v9, v6, s[14:15]
.LBB135_7:
	s_or_b32 exec_lo, exec_lo, s3
	s_cmp_lg_u64 s[16:17], 0
	s_cselect_b32 s14, -1, 0
	s_cmp_lg_u64 s[18:19], 0
	s_cselect_b32 s3, -1, 0
	s_delay_alu instid0(SALU_CYCLE_1) | instskip(NEXT) | instid1(SALU_CYCLE_1)
	s_and_b32 s13, s3, s14
	s_and_b32 s13, s13, vcc_lo
	s_delay_alu instid0(SALU_CYCLE_1)
	s_and_saveexec_b32 s15, s13
	s_cbranch_execz .LBB135_9
; %bb.8:
	s_wait_kmcnt 0x0
	s_mul_i32 s34, s26, s21
	s_mov_b32 s35, 0
	s_mov_b32 s22, ttmp9
	s_lshl_b64 s[36:37], s[34:35], 2
	s_mov_b32 s13, s35
	s_add_nc_u64 s[18:19], s[18:19], s[36:37]
	s_lshl_b64 s[12:13], s[12:13], 2
	s_ashr_i32 s23, ttmp9, 31
	s_add_nc_u64 s[12:13], s[18:19], s[12:13]
	s_lshl_b64 s[18:19], s[22:23], 2
	s_delay_alu instid0(SALU_CYCLE_1)
	s_add_nc_u64 s[12:13], s[12:13], s[18:19]
	global_load_b32 v8, v6, s[12:13]
.LBB135_9:
	s_or_b32 exec_lo, exec_lo, s15
	v_lshl_add_u32 v0, v12, 5, v7
	v_mov_b32_e32 v13, 0
	v_cndmask_b32_e64 v10, 0, 1, s14
	v_mov_b32_e32 v11, 0
	s_lshr_b32 s15, s20, 8
	v_lshrrev_b32_e32 v14, 4, v0
	s_mov_b32 s18, exec_lo
	s_wait_alu 0xfffe
	s_delay_alu instid0(VALU_DEP_1)
	v_cmpx_gt_u32_e64 s15, v14
	s_cbranch_execz .LBB135_23
; %bb.10:
	v_lshlrev_b32_e32 v1, 1, v7
	v_bfe_u32 v2, v7, 2, 2
	v_lshrrev_b32_e32 v5, 4, v0
	s_mul_hi_u32 s7, s7, s21
	s_wait_kmcnt 0x0
	s_mul_i32 s19, s28, s4
	v_bfe_u32 v3, v1, 3, 2
	v_dual_mov_b32 v13, 0 :: v_dual_and_b32 v4, 30, v1
	v_mul_hi_u32_u24_e32 v1, 0x48, v2
	v_mul_u32_u24_e32 v0, 0x48, v2
	s_add_co_i32 s7, s21, s7
	s_mul_i32 s12, s25, s21
	s_lshr_b32 s4, s7, s29
	s_mov_b32 s13, 0
	v_mad_co_u64_u32 v[0:1], null, 0x120, v5, v[0:1]
	s_mul_i32 s7, s4, s24
	s_mul_i32 s4, s31, s5
	s_mov_b32 s5, s13
	s_mul_u64 s[22:23], s[12:13], 36
	s_mul_u64 s[24:25], s[4:5], 36
	s_add_nc_u64 s[10:11], s[10:11], s[22:23]
	v_dual_mov_b32 v11, 0 :: v_dual_and_b32 v2, 3, v7
	s_add_nc_u64 s[10:11], s[10:11], s[24:25]
	s_mul_i32 s30, s30, ttmp9
	v_add_co_u32 v0, vcc_lo, s10, v0
	s_delay_alu instid0(VALU_DEP_1) | instskip(SKIP_1) | instid1(VALU_DEP_3)
	v_add_co_ci_u32_e64 v1, null, s11, v1, vcc_lo
	v_lshlrev_b32_e32 v15, 5, v3
	v_add_co_u32 v0, vcc_lo, v0, 36
	v_lshlrev_b32_e32 v16, 2, v2
	v_cmp_lt_u32_e64 s4, 15, v4
	v_lshlrev_b32_e32 v17, 1, v3
	s_wait_alu 0xfffd
	v_add_co_ci_u32_e64 v1, null, 0, v1, vcc_lo
	v_lshlrev_b32_e32 v18, 1, v3
	s_add_co_i32 s7, s7, s30
	s_delay_alu instid0(SALU_CYCLE_1)
	s_add_co_i32 s7, s19, s7
	s_branch .LBB135_13
.LBB135_11:                             ;   in Loop: Header=BB135_13 Depth=1
	s_wait_alu 0xfffe
	s_or_b32 exec_lo, exec_lo, s5
	global_load_b32 v2, v[2:3], off
	s_wait_loadcnt 0x1
	v_ashrrev_i32_e32 v3, v17, v37
	v_ashrrev_i32_e32 v4, v17, v36
	v_and_b32_e32 v36, 0xf0f0f0f, v35
	v_lshrrev_b32_e32 v35, 4, v35
	v_and_b32_e32 v5, 0xf0f0f0f, v34
	v_lshlrev_b32_e32 v37, 4, v3
	v_lshlrev_b32_e32 v38, 4, v4
	v_lshrrev_b32_e32 v34, 4, v34
	v_and_b32_e32 v35, 0xf0f0f0f, v35
	v_lshlrev_b32_e32 v3, 3, v3
	v_and_or_b32 v36, 0x10101010, v37, v36
	v_and_or_b32 v5, 0x10101010, v38, v5
	v_lshrrev_b16 v37, 8, v33
	v_and_b32_e32 v34, 0xf0f0f0f, v34
	v_lshlrev_b32_e32 v4, 3, v4
	v_dot4_i32_iu8 v36, v36, v23, 0 neg_lo:[1,1,0]
	v_and_or_b32 v3, 0x10101010, v3, v35
	v_and_b32_e32 v35, 0xff, v33
	s_delay_alu instid0(VALU_DEP_4) | instskip(NEXT) | instid1(VALU_DEP_4)
	v_and_or_b32 v4, 0x10101010, v4, v34
	v_dot4_i32_iu8 v5, v5, v21, v36 neg_lo:[1,1,0]
	v_bfe_u32 v36, v33, 16, 8
	v_dot4_i32_iu8 v3, v3, v22, 0 neg_lo:[1,1,0]
	v_and_b32_e32 v34, 0xffff, v37
	v_mul_lo_u32 v35, v32, v35
	v_lshrrev_b32_e32 v33, 24, v33
	v_mul_lo_u32 v5, v5, v36
	v_dot4_i32_iu8 v3, v4, v20, v3 neg_lo:[1,1,0]
	v_mul_lo_u32 v4, v31, v34
	v_cvt_f32_i32_e32 v34, v35
	s_delay_alu instid0(VALU_DEP_3) | instskip(SKIP_1) | instid1(VALU_DEP_4)
	v_mul_lo_u32 v3, v3, v33
	v_cvt_f32_i32_e32 v5, v5
	v_cvt_f32_i32_e32 v4, v4
	s_delay_alu instid0(VALU_DEP_4) | instskip(NEXT) | instid1(VALU_DEP_3)
	v_fma_f32 v33, v27, v34, 0
	v_fma_f32 v5, v27, v5, 0
	v_cvt_f32_i32_e32 v3, v3
	s_delay_alu instid0(VALU_DEP_3) | instskip(NEXT) | instid1(VALU_DEP_2)
	v_fmac_f32_e32 v33, v28, v4
	v_fmac_f32_e32 v5, v28, v3
	s_wait_loadcnt 0x0
	v_lshrrev_b32_e32 v34, 16, v2
	s_delay_alu instid0(VALU_DEP_1) | instskip(NEXT) | instid1(VALU_DEP_1)
	v_cvt_f32_f16_e32 v4, v34
	v_mul_f32_e32 v3, v33, v4
	s_delay_alu instid0(VALU_DEP_1) | instskip(NEXT) | instid1(VALU_DEP_1)
	v_fma_mix_f32 v2, v5, v2, -v3 op_sel_hi:[0,1,0]
	v_add_f32_e32 v11, v11, v2
.LBB135_12:                             ;   in Loop: Header=BB135_13 Depth=1
	s_wait_loadcnt 0x1
	v_ashrrev_i32_e32 v2, v17, v30
	v_ashrrev_i32_e32 v3, v17, v29
	v_lshrrev_b32_e32 v5, 4, v26
	v_and_b32_e32 v26, 0xf0f0f0f, v26
	v_and_b32_e32 v4, 0xf0f0f0f, v25
	v_lshlrev_b32_e32 v29, 4, v2
	v_lshrrev_b32_e32 v25, 4, v25
	v_lshlrev_b32_e32 v30, 4, v3
	v_and_b32_e32 v5, 0xf0f0f0f, v5
	v_lshlrev_b32_e32 v2, 3, v2
	v_and_or_b32 v26, 0x10101010, v29, v26
	v_and_b32_e32 v25, 0xf0f0f0f, v25
	v_lshlrev_b32_e32 v3, 3, v3
	v_and_or_b32 v4, 0x10101010, v30, v4
	v_and_or_b32 v2, 0x10101010, v2, v5
	v_dot4_i32_iu8 v5, v26, v23, 0 neg_lo:[1,1,0]
	v_and_b32_e32 v23, 0xff, v24
	v_lshrrev_b16 v26, 8, v24
	v_and_or_b32 v3, 0x10101010, v3, v25
	v_dot4_i32_iu8 v2, v2, v22, 0 neg_lo:[1,1,0]
	v_dot4_i32_iu8 v4, v4, v21, v5 neg_lo:[1,1,0]
	v_mul_lo_u32 v5, v32, v23
	v_and_b32_e32 v21, 0xffff, v26
	v_bfe_u32 v22, v24, 16, 8
	v_dot4_i32_iu8 v2, v3, v20, v2 neg_lo:[1,1,0]
	v_lshrrev_b32_e32 v3, 24, v24
	v_add_nc_u32_e32 v14, 16, v14
	v_mul_lo_u32 v20, v31, v21
	v_mul_lo_u32 v4, v4, v22
	v_cvt_f32_i32_e32 v5, v5
	v_mul_lo_u32 v2, v2, v3
	s_wait_loadcnt 0x0
	v_lshrrev_b32_e32 v21, 16, v19
	v_cmp_le_u32_e32 vcc_lo, s15, v14
	v_add_co_u32 v0, s5, 0x1200, v0
	v_fma_f32 v3, v27, v5, 0
	v_cvt_f32_i32_e32 v5, v20
	v_cvt_f32_i32_e32 v4, v4
	v_cvt_f32_f16_e32 v20, v21
	v_cvt_f32_i32_e32 v2, v2
	s_wait_alu 0xf1ff
	v_add_co_ci_u32_e64 v1, null, 0, v1, s5
	v_fmac_f32_e32 v3, v28, v5
	v_fma_f32 v4, v27, v4, 0
	s_or_b32 s13, vcc_lo, s13
	s_delay_alu instid0(VALU_DEP_1) | instskip(NEXT) | instid1(VALU_DEP_1)
	v_dual_mul_f32 v3, v3, v20 :: v_dual_fmac_f32 v4, v28, v2
	v_fma_mix_f32 v2, v4, v19, -v3 op_sel_hi:[0,1,0]
	s_delay_alu instid0(VALU_DEP_1)
	v_add_f32_e32 v13, v13, v2
	s_and_not1_b32 exec_lo, exec_lo, s13
	s_cbranch_execz .LBB135_22
.LBB135_13:                             ; =>This Inner Loop Header: Depth=1
	v_add_nc_u32_e32 v4, s7, v14
	v_add_co_u32 v24, vcc_lo, v0, v16
	s_wait_alu 0xfffd
	v_add_co_ci_u32_e64 v25, null, 0, v1, vcc_lo
	s_delay_alu instid0(VALU_DEP_3) | instskip(NEXT) | instid1(VALU_DEP_1)
	v_mad_co_i64_i32 v[2:3], null, 0xb0, v4, s[8:9]
	v_add_co_u32 v5, vcc_lo, v2, v15
	s_wait_alu 0xfffd
	s_delay_alu instid0(VALU_DEP_2)
	v_add_co_ci_u32_e64 v19, null, 0, v3, vcc_lo
	v_add_co_u32 v30, vcc_lo, v2, v16
	s_wait_alu 0xfffd
	v_add_co_ci_u32_e64 v31, null, 0, v3, vcc_lo
	v_add_co_u32 v26, vcc_lo, v5, v16
	s_wait_alu 0xfffd
	v_add_co_ci_u32_e64 v27, null, 0, v19, vcc_lo
	s_clause 0x5
	global_load_b32 v5, v[0:1], off offset:-36
	global_load_b32 v21, v[24:25], off offset:-32
	;; [unrolled: 1-line block ×3, first 2 shown]
	global_load_b32 v28, v[0:1], off
	global_load_b32 v20, v[24:25], off offset:4
	global_load_b32 v22, v[24:25], off offset:20
	s_clause 0x4
	global_load_b32 v25, v[26:27], off offset:48
	global_load_b32 v26, v[26:27], off offset:64
	;; [unrolled: 1-line block ×4, first 2 shown]
	global_load_b32 v19, v[2:3], off
	v_add_co_u32 v2, vcc_lo, v2, v18
	s_wait_alu 0xfffd
	v_add_co_ci_u32_e64 v3, null, 0, v3, vcc_lo
                                        ; implicit-def: $vgpr24
	s_and_saveexec_b32 s5, s4
	s_wait_alu 0xfffe
	s_xor_b32 s5, exec_lo, s5
	s_cbranch_execz .LBB135_15
; %bb.14:                               ;   in Loop: Header=BB135_13 Depth=1
	s_clause 0x1
	global_load_u16 v24, v[2:3], off offset:8
	global_load_u16 v27, v[2:3], off offset:4
	s_wait_loadcnt 0x1
	v_mov_b32_e32 v31, v24
	global_load_d16_hi_b16 v31, v[2:3], off
	s_wait_loadcnt 0x1
	v_perm_b32 v2, v24, v27, 0x5040100
	s_delay_alu instid0(VALU_DEP_1) | instskip(NEXT) | instid1(VALU_DEP_1)
	v_pk_lshrrev_b16 v2, 2, v2
	v_and_b32_e32 v2, 0xf0f3030, v2
	s_wait_loadcnt 0x0
	v_pk_lshrrev_b16 v3, 0x20004, v31
	s_delay_alu instid0(VALU_DEP_1)
	v_and_or_b32 v24, 0x30300f0f, v3, v2
                                        ; implicit-def: $vgpr2_vgpr3
.LBB135_15:                             ;   in Loop: Header=BB135_13 Depth=1
	s_wait_alu 0xfffe
	s_and_not1_saveexec_b32 s5, s5
	s_cbranch_execz .LBB135_17
; %bb.16:                               ;   in Loop: Header=BB135_13 Depth=1
	global_load_u16 v24, v[2:3], off offset:8
	s_wait_loadcnt 0x0
	global_load_d16_hi_b16 v24, v[2:3], off offset:4
	s_wait_loadcnt 0x0
	v_and_b32_e32 v24, 0x3f3f3f3f, v24
.LBB135_17:                             ;   in Loop: Header=BB135_13 Depth=1
	s_wait_alu 0xfffe
	s_or_b32 exec_lo, exec_lo, s5
	s_wait_loadcnt 0x8
	v_dot4_i32_iu8 v2, 0x1010101, v23, 0 neg_lo:[1,1,0]
	s_wait_loadcnt 0x5
	v_dot4_i32_iu8 v3, 0x1010101, v22, 0 neg_lo:[1,1,0]
	v_cvt_f32_f16_e32 v27, v5
	v_cvt_f32_f16_e32 v28, v28
	s_and_not1_b32 vcc_lo, exec_lo, s14
	v_dot4_i32_iu8 v32, 0x1010101, v21, v2 neg_lo:[1,1,0]
	v_dot4_i32_iu8 v31, 0x1010101, v20, v3 neg_lo:[1,1,0]
	s_wait_alu 0xfffe
	s_cbranch_vccnz .LBB135_12
; %bb.18:                               ;   in Loop: Header=BB135_13 Depth=1
	v_mad_co_i64_i32 v[2:3], null, 0xb0, v4, s[16:17]
                                        ; implicit-def: $vgpr33
	s_delay_alu instid0(VALU_DEP_1) | instskip(SKIP_1) | instid1(VALU_DEP_2)
	v_add_co_u32 v4, vcc_lo, v2, v15
	s_wait_alu 0xfffd
	v_add_co_ci_u32_e64 v5, null, 0, v3, vcc_lo
	s_delay_alu instid0(VALU_DEP_2) | instskip(SKIP_1) | instid1(VALU_DEP_2)
	v_add_co_u32 v4, vcc_lo, v4, v16
	s_wait_alu 0xfffd
	v_add_co_ci_u32_e64 v5, null, 0, v5, vcc_lo
	v_add_co_u32 v37, vcc_lo, v2, v16
	s_wait_alu 0xfffd
	v_add_co_ci_u32_e64 v38, null, 0, v3, vcc_lo
	s_clause 0x3
	global_load_b32 v34, v[4:5], off offset:48
	global_load_b32 v35, v[4:5], off offset:64
	;; [unrolled: 1-line block ×4, first 2 shown]
	v_add_co_u32 v4, vcc_lo, v2, v18
	s_wait_alu 0xfffd
	v_add_co_ci_u32_e64 v5, null, 0, v3, vcc_lo
	s_and_saveexec_b32 s5, s4
	s_wait_alu 0xfffe
	s_xor_b32 s5, exec_lo, s5
	s_cbranch_execz .LBB135_20
; %bb.19:                               ;   in Loop: Header=BB135_13 Depth=1
	s_clause 0x1
	global_load_u16 v33, v[4:5], off offset:8
	global_load_u16 v38, v[4:5], off offset:4
	s_wait_loadcnt 0x1
	v_mov_b32_e32 v39, v33
	global_load_d16_hi_b16 v39, v[4:5], off
	s_wait_loadcnt 0x1
	v_perm_b32 v4, v33, v38, 0x5040100
	s_delay_alu instid0(VALU_DEP_1) | instskip(NEXT) | instid1(VALU_DEP_1)
	v_pk_lshrrev_b16 v4, 2, v4
	v_and_b32_e32 v4, 0xf0f3030, v4
	s_wait_loadcnt 0x0
	v_pk_lshrrev_b16 v5, 0x20004, v39
	s_delay_alu instid0(VALU_DEP_1)
	v_and_or_b32 v33, 0x30300f0f, v5, v4
                                        ; implicit-def: $vgpr4_vgpr5
.LBB135_20:                             ;   in Loop: Header=BB135_13 Depth=1
	s_wait_alu 0xfffe
	s_and_not1_saveexec_b32 s5, s5
	s_cbranch_execz .LBB135_11
; %bb.21:                               ;   in Loop: Header=BB135_13 Depth=1
	global_load_u16 v33, v[4:5], off offset:8
	s_wait_loadcnt 0x0
	global_load_d16_hi_b16 v33, v[4:5], off offset:4
	s_wait_loadcnt 0x0
	v_and_b32_e32 v33, 0x3f3f3f3f, v33
	s_branch .LBB135_11
.LBB135_22:
	s_or_b32 exec_lo, exec_lo, s13
.LBB135_23:
	s_delay_alu instid0(SALU_CYCLE_1)
	s_or_b32 exec_lo, exec_lo, s18
	s_load_b32 s5, s[0:1], 0x30
	v_cmp_eq_u32_e64 s4, 0, v12
	s_mov_b32 s7, exec_lo
	v_cmpx_ne_u32_e32 0, v12
	s_cbranch_execz .LBB135_27
; %bb.24:
	v_add_nc_u32_e32 v0, -1, v12
	s_and_b32 vcc_lo, exec_lo, s14
	s_delay_alu instid0(VALU_DEP_1)
	v_lshlrev_b32_e32 v0, 7, v0
	s_wait_alu 0xfffe
	s_cbranch_vccz .LBB135_26
; %bb.25:
	s_delay_alu instid0(VALU_DEP_1)
	v_lshl_add_u32 v1, v7, 2, v0
	ds_store_b32 v1, v11 offset:896
.LBB135_26:
	s_delay_alu instid0(VALU_DEP_1)
	v_lshl_add_u32 v0, v7, 2, v0
	ds_store_b32 v0, v13
.LBB135_27:
	s_wait_alu 0xfffe
	s_or_b32 exec_lo, exec_lo, s7
	s_wait_loadcnt_dscnt 0x0
	s_barrier_signal -1
	s_barrier_wait -1
	global_inv scope:SCOPE_SE
	s_and_saveexec_b32 s7, s4
	s_cbranch_execz .LBB135_69
; %bb.28:
	ds_load_b32 v0, v6
	v_cmp_ne_u32_e32 vcc_lo, 1, v10
	v_add_nc_u32_e32 v1, 0x380, v6
	s_cbranch_vccnz .LBB135_30
; %bb.29:
	ds_load_b32 v2, v1
	s_wait_dscnt 0x0
	v_add_f32_e32 v11, v11, v2
.LBB135_30:
	ds_load_b32 v2, v6 offset:128
	v_cmp_ne_u32_e32 vcc_lo, 1, v10
	s_cbranch_vccnz .LBB135_32
; %bb.31:
	ds_load_b32 v3, v1 offset:128
	s_wait_dscnt 0x0
	v_add_f32_e32 v11, v11, v3
.LBB135_32:
	ds_load_b32 v3, v6 offset:256
	v_cmp_ne_u32_e32 vcc_lo, 1, v10
	s_cbranch_vccnz .LBB135_34
; %bb.33:
	ds_load_b32 v4, v1 offset:256
	s_wait_dscnt 0x0
	v_add_f32_e32 v11, v11, v4
.LBB135_34:
	;; [unrolled: 8-line block ×6, first 2 shown]
	s_wait_dscnt 0x6
	v_add_f32_e32 v0, v13, v0
	v_mbcnt_lo_u32_b32 v1, -1, 0
	s_wait_dscnt 0x5
	s_delay_alu instid0(VALU_DEP_2) | instskip(NEXT) | instid1(VALU_DEP_2)
	v_add_f32_e32 v0, v0, v2
	v_xor_b32_e32 v2, 16, v1
	s_wait_dscnt 0x4
	s_delay_alu instid0(VALU_DEP_2) | instskip(NEXT) | instid1(VALU_DEP_2)
	v_add_f32_e32 v0, v0, v3
	v_cmp_gt_i32_e32 vcc_lo, 32, v2
	v_xor_b32_e32 v3, 8, v1
	s_wait_dscnt 0x3
	s_delay_alu instid0(VALU_DEP_3)
	v_add_f32_e32 v0, v0, v4
	s_wait_alu 0xfffd
	v_cndmask_b32_e32 v2, v1, v2, vcc_lo
	v_cmp_gt_i32_e32 vcc_lo, 32, v3
	s_wait_dscnt 0x2
	s_wait_alu 0xfffd
	v_dual_add_f32 v0, v0, v5 :: v_dual_cndmask_b32 v3, v1, v3
	s_wait_dscnt 0x1
	s_delay_alu instid0(VALU_DEP_1) | instskip(SKIP_1) | instid1(VALU_DEP_1)
	v_dual_add_f32 v0, v0, v12 :: v_dual_lshlrev_b32 v3, 2, v3
	s_wait_dscnt 0x0
	v_add_f32_e32 v4, v0, v14
	v_lshlrev_b32_e32 v0, 2, v2
	ds_bpermute_b32 v2, v0, v4
	s_wait_dscnt 0x0
	v_add_f32_e32 v2, v4, v2
	v_xor_b32_e32 v4, 4, v1
	ds_bpermute_b32 v5, v3, v2
	v_cmp_gt_i32_e32 vcc_lo, 32, v4
	s_wait_alu 0xfffd
	v_cndmask_b32_e32 v4, v1, v4, vcc_lo
	s_delay_alu instid0(VALU_DEP_1)
	v_lshlrev_b32_e32 v4, 2, v4
	s_wait_dscnt 0x0
	v_add_f32_e32 v2, v2, v5
	v_xor_b32_e32 v5, 2, v1
	ds_bpermute_b32 v12, v4, v2
	v_cmp_gt_i32_e32 vcc_lo, 32, v5
	s_wait_alu 0xfffd
	v_cndmask_b32_e32 v5, v1, v5, vcc_lo
	s_wait_dscnt 0x0
	s_delay_alu instid0(VALU_DEP_1)
	v_dual_add_f32 v2, v2, v12 :: v_dual_lshlrev_b32 v5, 2, v5
	v_xor_b32_e32 v12, 1, v1
	ds_bpermute_b32 v13, v5, v2
	v_cmp_gt_i32_e32 vcc_lo, 32, v12
	s_wait_alu 0xfffd
	v_cndmask_b32_e32 v1, v1, v12, vcc_lo
	v_cmp_ne_u32_e32 vcc_lo, 1, v10
	s_delay_alu instid0(VALU_DEP_2)
	v_lshlrev_b32_e32 v12, 2, v1
	s_wait_dscnt 0x0
	v_add_f32_e32 v1, v2, v13
	ds_bpermute_b32 v2, v12, v1
	s_cbranch_vccnz .LBB135_44
; %bb.43:
	ds_bpermute_b32 v0, v0, v11
	s_wait_dscnt 0x0
	v_add_f32_e32 v0, v11, v0
	ds_bpermute_b32 v3, v3, v0
	s_wait_dscnt 0x0
	v_add_f32_e32 v0, v0, v3
	;; [unrolled: 3-line block ×5, first 2 shown]
.LBB135_44:
	v_cmp_eq_u32_e32 vcc_lo, 0, v7
	s_and_b32 exec_lo, exec_lo, vcc_lo
	s_cbranch_execz .LBB135_69
; %bb.45:
	s_wait_dscnt 0x0
	v_add_f32_e32 v0, v1, v2
	v_cmp_ne_u32_e32 vcc_lo, 1, v10
	s_delay_alu instid0(VALU_DEP_2) | instskip(NEXT) | instid1(VALU_DEP_1)
	v_add_f32_e32 v1, v9, v0
	v_cndmask_b32_e64 v0, v0, v1, s2
	s_cbranch_vccnz .LBB135_68
; %bb.46:
	v_add_f32_e32 v1, v8, v11
	s_wait_kmcnt 0x0
	s_cmp_lt_i32 s5, 2
	s_mov_b32 s2, 0
	s_delay_alu instid0(VALU_DEP_1)
	v_cndmask_b32_e64 v1, v11, v1, s3
	s_cbranch_scc1 .LBB135_51
; %bb.47:
	s_cmp_gt_i32 s5, 2
	s_cbranch_scc0 .LBB135_52
; %bb.48:
	s_cmp_eq_u32 s5, 3
	s_cbranch_scc0 .LBB135_53
; %bb.49:
	v_max_num_f32_e32 v2, v1, v1
	s_mov_b32 s3, 0xc0e00000
	s_delay_alu instid0(VALU_DEP_1) | instskip(NEXT) | instid1(VALU_DEP_1)
	v_min_num_f32_e32 v2, 0x40e00000, v2
	v_mul_f32_e32 v3, 0xbfd9db23, v2
	s_delay_alu instid0(VALU_DEP_1) | instskip(NEXT) | instid1(VALU_DEP_1)
	v_mul_f32_e32 v4, 0x3fb8aa3b, v3
	v_fma_f32 v5, 0x3fb8aa3b, v3, -v4
	v_rndne_f32_e32 v7, v4
	s_delay_alu instid0(VALU_DEP_1) | instskip(SKIP_1) | instid1(VALU_DEP_2)
	v_dual_sub_f32 v4, v4, v7 :: v_dual_fmamk_f32 v5, v3, 0x32a5705f, v5
	v_cmp_ngt_f32_e32 vcc_lo, 0xc2ce8ed0, v3
	v_add_f32_e32 v4, v4, v5
	v_cvt_i32_f32_e32 v5, v7
	s_delay_alu instid0(VALU_DEP_2) | instskip(NEXT) | instid1(TRANS32_DEP_1)
	v_exp_f32_e32 v4, v4
	v_ldexp_f32 v4, v4, v5
	s_wait_alu 0xfffd
	s_delay_alu instid0(VALU_DEP_1) | instskip(SKIP_2) | instid1(VALU_DEP_2)
	v_cndmask_b32_e32 v4, 0, v4, vcc_lo
	v_cmp_nlt_f32_e32 vcc_lo, 0x42b17218, v3
	s_wait_alu 0xfffd
	v_cndmask_b32_e32 v3, 0x7f800000, v4, vcc_lo
	s_delay_alu instid0(VALU_DEP_1) | instskip(NEXT) | instid1(VALU_DEP_1)
	v_add_f32_e32 v3, 1.0, v3
	v_div_scale_f32 v4, null, v3, v3, v2
	v_div_scale_f32 v8, vcc_lo, v2, v3, v2
	s_delay_alu instid0(VALU_DEP_2) | instskip(NEXT) | instid1(TRANS32_DEP_1)
	v_rcp_f32_e32 v5, v4
	v_fma_f32 v7, -v4, v5, 1.0
	s_delay_alu instid0(VALU_DEP_1) | instskip(NEXT) | instid1(VALU_DEP_1)
	v_fmac_f32_e32 v5, v7, v5
	v_mul_f32_e32 v7, v8, v5
	s_delay_alu instid0(VALU_DEP_1) | instskip(NEXT) | instid1(VALU_DEP_1)
	v_fma_f32 v9, -v4, v7, v8
	v_fmac_f32_e32 v7, v9, v5
	s_delay_alu instid0(VALU_DEP_1) | instskip(SKIP_2) | instid1(VALU_DEP_2)
	v_fma_f32 v4, -v4, v7, v8
	v_max_num_f32_e32 v8, v0, v0
	s_wait_alu 0xfffd
	v_div_fmas_f32 v4, v4, v5, v7
	s_wait_alu 0xfffe
	s_delay_alu instid0(VALU_DEP_2) | instskip(SKIP_1) | instid1(VALU_DEP_2)
	v_minmax_num_f32 v5, v8, 0x40e00000, s3
	s_mov_b32 s3, 0
	v_div_fixup_f32 v2, v4, v3, v2
	s_delay_alu instid0(VALU_DEP_2) | instskip(NEXT) | instid1(VALU_DEP_1)
	v_add_f32_e32 v3, 1.0, v5
	v_mul_f32_e32 v2, v3, v2
	s_branch .LBB135_54
.LBB135_50:
                                        ; implicit-def: $sgpr28
	s_clause 0x1
	s_load_b32 s30, s[0:1], 0x50
	s_load_b32 s29, s[0:1], 0x78
	s_branch .LBB135_2
.LBB135_51:
	s_mov_b32 s3, 0
                                        ; implicit-def: $vgpr2
	s_cbranch_execnz .LBB135_58
	s_branch .LBB135_59
.LBB135_52:
	s_mov_b32 s4, -1
	s_mov_b32 s3, 0
                                        ; implicit-def: $vgpr2
	s_branch .LBB135_55
.LBB135_53:
	s_mov_b32 s3, -1
                                        ; implicit-def: $vgpr2
.LBB135_54:
	s_mov_b32 s4, 0
.LBB135_55:
	s_wait_alu 0xfffe
	s_and_b32 vcc_lo, exec_lo, s4
	s_wait_alu 0xfffe
	s_cbranch_vccz .LBB135_57
; %bb.56:
	v_mul_f32_e32 v2, 0xbfb8aa3b, v1
	v_cmp_nlt_f32_e32 vcc_lo, 0x42ce8ed0, v1
	s_delay_alu instid0(VALU_DEP_2) | instskip(SKIP_1) | instid1(VALU_DEP_2)
	v_rndne_f32_e32 v3, v2
	v_fma_f32 v4, 0xbfb8aa3b, v1, -v2
	v_sub_f32_e32 v2, v2, v3
	s_delay_alu instid0(VALU_DEP_2) | instskip(SKIP_1) | instid1(VALU_DEP_2)
	v_fmamk_f32 v4, v1, 0xb2a5705f, v4
	v_cvt_i32_f32_e32 v3, v3
	v_add_f32_e32 v2, v2, v4
	s_delay_alu instid0(VALU_DEP_1) | instskip(NEXT) | instid1(TRANS32_DEP_1)
	v_exp_f32_e32 v2, v2
	v_ldexp_f32 v2, v2, v3
	s_wait_alu 0xfffd
	s_delay_alu instid0(VALU_DEP_1) | instskip(SKIP_2) | instid1(VALU_DEP_2)
	v_cndmask_b32_e32 v2, 0, v2, vcc_lo
	v_cmp_ngt_f32_e32 vcc_lo, 0xc2b17218, v1
	s_wait_alu 0xfffd
	v_cndmask_b32_e32 v2, 0x7f800000, v2, vcc_lo
	s_delay_alu instid0(VALU_DEP_1) | instskip(NEXT) | instid1(VALU_DEP_1)
	v_add_f32_e32 v2, 1.0, v2
	v_div_scale_f32 v3, null, v2, v2, v1
	s_delay_alu instid0(VALU_DEP_1) | instskip(NEXT) | instid1(TRANS32_DEP_1)
	v_rcp_f32_e32 v4, v3
	v_fma_f32 v5, -v3, v4, 1.0
	s_delay_alu instid0(VALU_DEP_1) | instskip(SKIP_1) | instid1(VALU_DEP_1)
	v_fmac_f32_e32 v4, v5, v4
	v_div_scale_f32 v5, vcc_lo, v1, v2, v1
	v_mul_f32_e32 v7, v5, v4
	s_delay_alu instid0(VALU_DEP_1) | instskip(NEXT) | instid1(VALU_DEP_1)
	v_fma_f32 v8, -v3, v7, v5
	v_fmac_f32_e32 v7, v8, v4
	s_delay_alu instid0(VALU_DEP_1) | instskip(SKIP_1) | instid1(VALU_DEP_1)
	v_fma_f32 v3, -v3, v7, v5
	s_wait_alu 0xfffd
	v_div_fmas_f32 v3, v3, v4, v7
	s_delay_alu instid0(VALU_DEP_1) | instskip(NEXT) | instid1(VALU_DEP_1)
	v_div_fixup_f32 v2, v3, v2, v1
	v_mul_f32_e32 v2, v0, v2
.LBB135_57:
	s_branch .LBB135_59
.LBB135_58:
	s_cmp_lg_u32 s5, 1
	s_mov_b32 s2, -1
	s_cselect_b32 s3, -1, 0
.LBB135_59:
	s_wait_alu 0xfffe
	s_and_not1_b32 vcc_lo, exec_lo, s3
	s_wait_alu 0xfffe
	s_cbranch_vccz .LBB135_61
; %bb.60:
	s_and_not1_b32 vcc_lo, exec_lo, s2
	s_wait_alu 0xfffe
	s_cbranch_vccz .LBB135_62
	s_branch .LBB135_67
.LBB135_61:
	v_mul_f32_e32 v2, v1, v0
	s_cbranch_execnz .LBB135_67
.LBB135_62:
	v_mul_f32_e32 v2, 0x3d372713, v1
	v_mul_f32_e32 v3, 0x3f4c422a, v1
	s_delay_alu instid0(VALU_DEP_2) | instskip(NEXT) | instid1(VALU_DEP_1)
	v_fma_f32 v2, v1, v2, 1.0
	v_mul_f32_e32 v2, v3, v2
                                        ; implicit-def: $vgpr3
	s_delay_alu instid0(VALU_DEP_1)
	v_cmp_ngt_f32_e64 s2, 0x3f200000, |v2|
	s_and_saveexec_b32 s3, s2
	s_wait_alu 0xfffe
	s_xor_b32 s2, exec_lo, s3
	s_cbranch_execz .LBB135_64
; %bb.63:
	v_add_f32_e64 v3, |v2|, |v2|
	s_delay_alu instid0(VALU_DEP_1) | instskip(SKIP_1) | instid1(VALU_DEP_2)
	v_mul_f32_e32 v4, 0x3fb8aa3b, v3
	v_cmp_ngt_f32_e32 vcc_lo, 0xc2ce8ed0, v3
	v_rndne_f32_e32 v5, v4
	v_fma_f32 v7, 0x3fb8aa3b, v3, -v4
	s_delay_alu instid0(VALU_DEP_1) | instskip(SKIP_1) | instid1(VALU_DEP_2)
	v_dual_sub_f32 v4, v4, v5 :: v_dual_fmamk_f32 v7, v3, 0x32a5705f, v7
	v_cvt_i32_f32_e32 v5, v5
	v_add_f32_e32 v4, v4, v7
	s_delay_alu instid0(VALU_DEP_1) | instskip(NEXT) | instid1(TRANS32_DEP_1)
	v_exp_f32_e32 v4, v4
	v_ldexp_f32 v4, v4, v5
	s_wait_alu 0xfffd
	s_delay_alu instid0(VALU_DEP_1) | instskip(SKIP_2) | instid1(VALU_DEP_2)
	v_cndmask_b32_e32 v4, 0, v4, vcc_lo
	v_cmp_nlt_f32_e32 vcc_lo, 0x42b17218, v3
	s_wait_alu 0xfffd
	v_cndmask_b32_e32 v3, 0x7f800000, v4, vcc_lo
	s_delay_alu instid0(VALU_DEP_1) | instskip(NEXT) | instid1(VALU_DEP_1)
	v_add_f32_e32 v3, 1.0, v3
	v_rcp_f32_e32 v3, v3
	s_delay_alu instid0(TRANS32_DEP_1)
	v_fma_f32 v3, v3, -2.0, 1.0
.LBB135_64:
	s_wait_alu 0xfffe
	s_and_not1_saveexec_b32 s2, s2
	s_cbranch_execz .LBB135_66
; %bb.65:
	v_mul_f32_e32 v3, v2, v2
	s_mov_b32 s3, 0xbbbac73d
	s_wait_alu 0xfffe
	s_delay_alu instid0(VALU_DEP_1) | instskip(NEXT) | instid1(VALU_DEP_1)
	v_fmaak_f32 v4, s3, v3, 0x3ca908c9
	v_fmaak_f32 v4, v3, v4, 0xbd5c1c4e
	s_delay_alu instid0(VALU_DEP_1) | instskip(NEXT) | instid1(VALU_DEP_1)
	v_fmaak_f32 v4, v3, v4, 0x3e088382
	v_fmaak_f32 v4, v3, v4, 0xbeaaaa99
	s_delay_alu instid0(VALU_DEP_1) | instskip(NEXT) | instid1(VALU_DEP_1)
	v_mul_f32_e64 v4, |v2|, v4
	v_fma_f32 v3, v3, v4, |v2|
.LBB135_66:
	s_wait_alu 0xfffe
	s_or_b32 exec_lo, exec_lo, s2
	s_delay_alu instid0(VALU_DEP_1) | instskip(NEXT) | instid1(VALU_DEP_1)
	v_bfi_b32 v2, 0x7fffffff, v3, v2
	v_dual_mul_f32 v1, 0.5, v1 :: v_dual_add_f32 v2, 1.0, v2
	s_delay_alu instid0(VALU_DEP_1) | instskip(NEXT) | instid1(VALU_DEP_1)
	v_mul_f32_e32 v1, v1, v2
	v_mul_f32_e32 v2, v0, v1
.LBB135_67:
	s_delay_alu instid0(VALU_DEP_1)
	v_mov_b32_e32 v0, v2
.LBB135_68:
	s_load_b64 s[0:1], s[0:1], 0x38
	s_mul_i32 s2, s6, s27
	s_wait_kmcnt 0x0
	s_mul_i32 s3, s26, s21
	s_wait_alu 0xfffe
	s_add_co_i32 s2, s2, ttmp9
	s_wait_alu 0xfffe
	s_add_co_i32 s2, s2, s3
	s_mov_b32 s3, 0
	s_wait_alu 0xfffe
	s_lshl_b64 s[2:3], s[2:3], 2
	s_wait_alu 0xfffe
	s_add_nc_u64 s[0:1], s[0:1], s[2:3]
	global_store_b32 v6, v0, s[0:1]
.LBB135_69:
	s_endpgm
	.section	.rodata,"a",@progbits
	.p2align	6, 0x0
	.amdhsa_kernel _ZL13mul_mat_vec_qIL9ggml_type13ELi1ELb1ELb0EEvPKvS2_PKi31ggml_cuda_mm_fusion_args_devicePfj15HIP_vector_typeIjLj3EEjjjS8_jjjS8_jjjj
		.amdhsa_group_segment_fixed_size 1792
		.amdhsa_private_segment_fixed_size 0
		.amdhsa_kernarg_size 144
		.amdhsa_user_sgpr_count 2
		.amdhsa_user_sgpr_dispatch_ptr 0
		.amdhsa_user_sgpr_queue_ptr 0
		.amdhsa_user_sgpr_kernarg_segment_ptr 1
		.amdhsa_user_sgpr_dispatch_id 0
		.amdhsa_user_sgpr_private_segment_size 0
		.amdhsa_wavefront_size32 1
		.amdhsa_uses_dynamic_stack 0
		.amdhsa_enable_private_segment 0
		.amdhsa_system_sgpr_workgroup_id_x 1
		.amdhsa_system_sgpr_workgroup_id_y 1
		.amdhsa_system_sgpr_workgroup_id_z 1
		.amdhsa_system_sgpr_workgroup_info 0
		.amdhsa_system_vgpr_workitem_id 1
		.amdhsa_next_free_vgpr 40
		.amdhsa_next_free_sgpr 38
		.amdhsa_reserve_vcc 1
		.amdhsa_float_round_mode_32 0
		.amdhsa_float_round_mode_16_64 0
		.amdhsa_float_denorm_mode_32 3
		.amdhsa_float_denorm_mode_16_64 3
		.amdhsa_fp16_overflow 0
		.amdhsa_workgroup_processor_mode 1
		.amdhsa_memory_ordered 1
		.amdhsa_forward_progress 1
		.amdhsa_inst_pref_size 33
		.amdhsa_round_robin_scheduling 0
		.amdhsa_exception_fp_ieee_invalid_op 0
		.amdhsa_exception_fp_denorm_src 0
		.amdhsa_exception_fp_ieee_div_zero 0
		.amdhsa_exception_fp_ieee_overflow 0
		.amdhsa_exception_fp_ieee_underflow 0
		.amdhsa_exception_fp_ieee_inexact 0
		.amdhsa_exception_int_div_zero 0
	.end_amdhsa_kernel
	.section	.text._ZL13mul_mat_vec_qIL9ggml_type13ELi1ELb1ELb0EEvPKvS2_PKi31ggml_cuda_mm_fusion_args_devicePfj15HIP_vector_typeIjLj3EEjjjS8_jjjS8_jjjj,"axG",@progbits,_ZL13mul_mat_vec_qIL9ggml_type13ELi1ELb1ELb0EEvPKvS2_PKi31ggml_cuda_mm_fusion_args_devicePfj15HIP_vector_typeIjLj3EEjjjS8_jjjS8_jjjj,comdat
.Lfunc_end135:
	.size	_ZL13mul_mat_vec_qIL9ggml_type13ELi1ELb1ELb0EEvPKvS2_PKi31ggml_cuda_mm_fusion_args_devicePfj15HIP_vector_typeIjLj3EEjjjS8_jjjS8_jjjj, .Lfunc_end135-_ZL13mul_mat_vec_qIL9ggml_type13ELi1ELb1ELb0EEvPKvS2_PKi31ggml_cuda_mm_fusion_args_devicePfj15HIP_vector_typeIjLj3EEjjjS8_jjjS8_jjjj
                                        ; -- End function
	.set _ZL13mul_mat_vec_qIL9ggml_type13ELi1ELb1ELb0EEvPKvS2_PKi31ggml_cuda_mm_fusion_args_devicePfj15HIP_vector_typeIjLj3EEjjjS8_jjjS8_jjjj.num_vgpr, 40
	.set _ZL13mul_mat_vec_qIL9ggml_type13ELi1ELb1ELb0EEvPKvS2_PKi31ggml_cuda_mm_fusion_args_devicePfj15HIP_vector_typeIjLj3EEjjjS8_jjjS8_jjjj.num_agpr, 0
	.set _ZL13mul_mat_vec_qIL9ggml_type13ELi1ELb1ELb0EEvPKvS2_PKi31ggml_cuda_mm_fusion_args_devicePfj15HIP_vector_typeIjLj3EEjjjS8_jjjS8_jjjj.numbered_sgpr, 38
	.set _ZL13mul_mat_vec_qIL9ggml_type13ELi1ELb1ELb0EEvPKvS2_PKi31ggml_cuda_mm_fusion_args_devicePfj15HIP_vector_typeIjLj3EEjjjS8_jjjS8_jjjj.num_named_barrier, 0
	.set _ZL13mul_mat_vec_qIL9ggml_type13ELi1ELb1ELb0EEvPKvS2_PKi31ggml_cuda_mm_fusion_args_devicePfj15HIP_vector_typeIjLj3EEjjjS8_jjjS8_jjjj.private_seg_size, 0
	.set _ZL13mul_mat_vec_qIL9ggml_type13ELi1ELb1ELb0EEvPKvS2_PKi31ggml_cuda_mm_fusion_args_devicePfj15HIP_vector_typeIjLj3EEjjjS8_jjjS8_jjjj.uses_vcc, 1
	.set _ZL13mul_mat_vec_qIL9ggml_type13ELi1ELb1ELb0EEvPKvS2_PKi31ggml_cuda_mm_fusion_args_devicePfj15HIP_vector_typeIjLj3EEjjjS8_jjjS8_jjjj.uses_flat_scratch, 0
	.set _ZL13mul_mat_vec_qIL9ggml_type13ELi1ELb1ELb0EEvPKvS2_PKi31ggml_cuda_mm_fusion_args_devicePfj15HIP_vector_typeIjLj3EEjjjS8_jjjS8_jjjj.has_dyn_sized_stack, 0
	.set _ZL13mul_mat_vec_qIL9ggml_type13ELi1ELb1ELb0EEvPKvS2_PKi31ggml_cuda_mm_fusion_args_devicePfj15HIP_vector_typeIjLj3EEjjjS8_jjjS8_jjjj.has_recursion, 0
	.set _ZL13mul_mat_vec_qIL9ggml_type13ELi1ELb1ELb0EEvPKvS2_PKi31ggml_cuda_mm_fusion_args_devicePfj15HIP_vector_typeIjLj3EEjjjS8_jjjS8_jjjj.has_indirect_call, 0
	.section	.AMDGPU.csdata,"",@progbits
; Kernel info:
; codeLenInByte = 4100
; TotalNumSgprs: 40
; NumVgprs: 40
; ScratchSize: 0
; MemoryBound: 0
; FloatMode: 240
; IeeeMode: 1
; LDSByteSize: 1792 bytes/workgroup (compile time only)
; SGPRBlocks: 0
; VGPRBlocks: 4
; NumSGPRsForWavesPerEU: 40
; NumVGPRsForWavesPerEU: 40
; Occupancy: 16
; WaveLimiterHint : 0
; COMPUTE_PGM_RSRC2:SCRATCH_EN: 0
; COMPUTE_PGM_RSRC2:USER_SGPR: 2
; COMPUTE_PGM_RSRC2:TRAP_HANDLER: 0
; COMPUTE_PGM_RSRC2:TGID_X_EN: 1
; COMPUTE_PGM_RSRC2:TGID_Y_EN: 1
; COMPUTE_PGM_RSRC2:TGID_Z_EN: 1
; COMPUTE_PGM_RSRC2:TIDIG_COMP_CNT: 1
	.section	.text._ZL13mul_mat_vec_qIL9ggml_type13ELi1ELb0ELb0EEvPKvS2_PKi31ggml_cuda_mm_fusion_args_devicePfj15HIP_vector_typeIjLj3EEjjjS8_jjjS8_jjjj,"axG",@progbits,_ZL13mul_mat_vec_qIL9ggml_type13ELi1ELb0ELb0EEvPKvS2_PKi31ggml_cuda_mm_fusion_args_devicePfj15HIP_vector_typeIjLj3EEjjjS8_jjjS8_jjjj,comdat
	.globl	_ZL13mul_mat_vec_qIL9ggml_type13ELi1ELb0ELb0EEvPKvS2_PKi31ggml_cuda_mm_fusion_args_devicePfj15HIP_vector_typeIjLj3EEjjjS8_jjjS8_jjjj ; -- Begin function _ZL13mul_mat_vec_qIL9ggml_type13ELi1ELb0ELb0EEvPKvS2_PKi31ggml_cuda_mm_fusion_args_devicePfj15HIP_vector_typeIjLj3EEjjjS8_jjjS8_jjjj
	.p2align	8
	.type	_ZL13mul_mat_vec_qIL9ggml_type13ELi1ELb0ELb0EEvPKvS2_PKi31ggml_cuda_mm_fusion_args_devicePfj15HIP_vector_typeIjLj3EEjjjS8_jjjS8_jjjj,@function
_ZL13mul_mat_vec_qIL9ggml_type13ELi1ELb0ELb0EEvPKvS2_PKi31ggml_cuda_mm_fusion_args_devicePfj15HIP_vector_typeIjLj3EEjjjS8_jjjS8_jjjj: ; @_ZL13mul_mat_vec_qIL9ggml_type13ELi1ELb0ELb0EEvPKvS2_PKi31ggml_cuda_mm_fusion_args_devicePfj15HIP_vector_typeIjLj3EEjjjS8_jjjS8_jjjj
; %bb.0:
	s_clause 0x1
	s_load_b64 s[2:3], s[0:1], 0x10
	s_load_b128 s[8:11], s[0:1], 0x40
	s_and_b32 s15, ttmp7, 0xffff
	s_wait_kmcnt 0x0
	s_cmp_lg_u64 s[2:3], 0
	s_cselect_b32 s12, -1, 0
	s_cmp_eq_u64 s[2:3], 0
	s_cbranch_scc1 .LBB136_19
; %bb.1:
	s_lshl_b32 s4, s15, 2
	s_load_b32 s2, s[2:3], s4 offset:0x0
	s_clause 0x1
	s_load_b128 s[4:7], s[0:1], 0x68
	s_load_b32 s3, s[0:1], 0x50
	s_cbranch_execnz .LBB136_3
.LBB136_2:
	s_load_b64 s[16:17], s[0:1], 0x5c
	s_wait_kmcnt 0x0
	s_mul_hi_u32 s2, s16, s15
	s_delay_alu instid0(SALU_CYCLE_1) | instskip(NEXT) | instid1(SALU_CYCLE_1)
	s_add_co_i32 s2, s15, s2
	s_lshr_b32 s2, s2, s17
.LBB136_3:
	s_load_b32 s20, s[0:1], 0x78
	s_and_not1_b32 vcc_lo, exec_lo, s12
	s_mov_b32 s19, s15
	s_cbranch_vccnz .LBB136_5
; %bb.4:
	s_mul_hi_u32 s9, s9, s15
	s_delay_alu instid0(SALU_CYCLE_1) | instskip(NEXT) | instid1(SALU_CYCLE_1)
	s_add_co_i32 s9, s15, s9
	s_lshr_b32 s9, s9, s10
	s_delay_alu instid0(SALU_CYCLE_1) | instskip(NEXT) | instid1(SALU_CYCLE_1)
	s_mul_i32 s9, s9, s11
	s_sub_co_i32 s19, s15, s9
.LBB136_5:
	s_load_b96 s[12:14], s[0:1], 0x80
	v_bfe_u32 v5, v0, 10, 10
	v_and_b32_e32 v4, 0x3ff, v0
	v_mov_b32_e32 v6, 0
	s_lshr_b32 s18, s8, 8
	s_lshr_b32 s16, ttmp7, 16
	s_mov_b32 s17, exec_lo
	v_lshl_add_u32 v0, v5, 5, v4
	s_delay_alu instid0(VALU_DEP_1) | instskip(NEXT) | instid1(VALU_DEP_1)
	v_lshrrev_b32_e32 v7, 4, v0
	v_cmpx_gt_u32_e64 s18, v7
	s_cbranch_execz .LBB136_13
; %bb.6:
	s_load_b128 s[8:11], s[0:1], 0x0
	v_lshlrev_b32_e32 v1, 1, v4
	v_bfe_u32 v2, v4, 2, 2
	s_wait_kmcnt 0x0
	s_mul_hi_u32 s7, s7, s16
	v_lshrrev_b32_e32 v6, 4, v0
	s_add_co_i32 s7, s16, s7
	v_bfe_u32 v3, v1, 3, 2
	v_and_b32_e32 v10, 30, v1
	v_mul_hi_u32_u24_e32 v1, 0x48, v2
	v_mul_u32_u24_e32 v0, 0x48, v2
	s_mul_i32 s21, s3, ttmp9
	s_lshr_b32 s3, s7, s20
	s_mul_i32 s7, s2, s4
	s_mul_i32 s20, s3, s12
	;; [unrolled: 1-line block ×3, first 2 shown]
	s_mov_b32 s13, 0
	v_mad_co_u64_u32 v[0:1], null, 0x120, v6, v[0:1]
	s_mul_i32 s2, s19, s5
	s_mov_b32 s3, s13
	s_mul_u64 s[4:5], s[12:13], 36
	s_mul_u64 s[2:3], s[2:3], 36
	s_add_nc_u64 s[4:5], s[10:11], s[4:5]
	v_and_b32_e32 v2, 3, v4
	s_add_nc_u64 s[2:3], s[4:5], s[2:3]
	v_lshlrev_b32_e32 v8, 5, v3
	v_add_co_u32 v0, s2, s2, v0
	s_wait_alu 0xf1ff
	v_add_co_ci_u32_e64 v1, null, s3, v1, s2
	v_mov_b32_e32 v6, 0
	s_delay_alu instid0(VALU_DEP_3)
	v_add_co_u32 v0, s2, v0, 36
	v_lshlrev_b32_e32 v9, 2, v2
	v_cmp_lt_u32_e32 vcc_lo, 15, v10
	v_lshlrev_b32_e32 v10, 1, v3
	s_wait_alu 0xf1ff
	v_add_co_ci_u32_e64 v1, null, 0, v1, s2
	v_lshlrev_b32_e32 v11, 1, v3
	s_add_co_i32 s20, s20, s21
	s_delay_alu instid0(SALU_CYCLE_1)
	s_add_co_i32 s4, s7, s20
	s_branch .LBB136_8
.LBB136_7:                              ;   in Loop: Header=BB136_8 Depth=1
	s_wait_alu 0xfffe
	s_or_b32 exec_lo, exec_lo, s2
	s_wait_loadcnt 0x1
	v_ashrrev_i32_e32 v2, v10, v23
	v_ashrrev_i32_e32 v3, v10, v22
	v_and_b32_e32 v23, 0xf0f0f0f, v20
	v_and_b32_e32 v22, 0xf0f0f0f, v21
	v_lshrrev_b32_e32 v20, 4, v20
	v_lshlrev_b32_e32 v24, 4, v2
	v_lshlrev_b32_e32 v26, 4, v3
	v_lshrrev_b32_e32 v21, 4, v21
	v_dot4_i32_iu8 v25, 0x1010101, v18, 0 neg_lo:[1,1,0]
	v_and_b32_e32 v20, 0xf0f0f0f, v20
	v_and_or_b32 v23, 0x10101010, v24, v23
	v_lshlrev_b32_e32 v2, 3, v2
	v_and_or_b32 v22, 0x10101010, v26, v22
	v_and_b32_e32 v21, 0xf0f0f0f, v21
	v_lshlrev_b32_e32 v3, 3, v3
	v_dot4_i32_iu8 v18, v23, v18, 0 neg_lo:[1,1,0]
	v_and_b32_e32 v23, 0xff00ff, v19
	v_dot4_i32_iu8 v24, 0x1010101, v17, v25 neg_lo:[1,1,0]
	v_and_or_b32 v2, 0x10101010, v2, v20
	v_pk_lshrrev_b16 v19, 8, v19 op_sel_hi:[0,1]
	v_dot4_i32_iu8 v17, v22, v17, v18 neg_lo:[1,1,0]
	v_dot4_i32_iu8 v18, 0x1010101, v16, 0 neg_lo:[1,1,0]
	v_lshrrev_b32_e32 v20, 16, v23
	v_and_or_b32 v3, 0x10101010, v3, v21
	v_dot4_i32_iu8 v2, v2, v16, 0 neg_lo:[1,1,0]
	v_and_b32_e32 v16, 0xff, v23
	v_dot4_i32_iu8 v18, 0x1010101, v15, v18 neg_lo:[1,1,0]
	v_mul_lo_u32 v20, v24, v20
	v_lshrrev_b32_e32 v21, 16, v19
	v_dot4_i32_iu8 v2, v3, v15, v2 neg_lo:[1,1,0]
	v_mul_lo_u32 v16, v17, v16
	v_and_b32_e32 v15, 0xff, v19
	v_add_nc_u32_e32 v7, 16, v7
	v_mul_lo_u32 v3, v18, v21
	s_wait_loadcnt 0x0
	v_lshrrev_b32_e32 v18, 16, v14
	v_cvt_f32_i32_e32 v17, v20
	v_mul_lo_u32 v2, v2, v15
	v_cmp_le_u32_e64 s2, s18, v7
	v_cvt_f32_i32_e32 v16, v16
	v_add_co_u32 v0, s3, 0x1200, v0
	v_fma_mix_f32 v15, v12, v17, 0 op_sel_hi:[1,0,0]
	v_cvt_f32_i32_e32 v3, v3
	v_cvt_f32_f16_e32 v17, v18
	v_fma_mix_f32 v12, v12, v16, 0 op_sel_hi:[1,0,0]
	v_cvt_f32_i32_e32 v2, v2
	s_wait_alu 0xf1ff
	v_add_co_ci_u32_e64 v1, null, 0, v1, s3
	v_fma_mix_f32 v3, v13, v3, v15 op_sel_hi:[1,0,0]
	s_or_b32 s13, s2, s13
	v_fma_mix_f32 v2, v13, v2, v12 op_sel_hi:[1,0,0]
	s_delay_alu instid0(VALU_DEP_2) | instskip(NEXT) | instid1(VALU_DEP_1)
	v_mul_f32_e32 v3, v3, v17
	v_fma_mix_f32 v2, v2, v14, -v3 op_sel_hi:[0,1,0]
	s_delay_alu instid0(VALU_DEP_1)
	v_add_f32_e32 v6, v6, v2
	s_and_not1_b32 exec_lo, exec_lo, s13
	s_cbranch_execz .LBB136_12
.LBB136_8:                              ; =>This Inner Loop Header: Depth=1
	v_add_nc_u32_e32 v2, s4, v7
	v_add_co_u32 v19, s2, v0, v9
	s_wait_alu 0xf1ff
	v_add_co_ci_u32_e64 v20, null, 0, v1, s2
	s_delay_alu instid0(VALU_DEP_3) | instskip(NEXT) | instid1(VALU_DEP_1)
	v_mad_co_i64_i32 v[2:3], null, 0xb0, v2, s[8:9]
	v_add_co_u32 v12, s2, v2, v8
	s_wait_alu 0xf1ff
	s_delay_alu instid0(VALU_DEP_2)
	v_add_co_ci_u32_e64 v13, null, 0, v3, s2
	v_add_co_u32 v23, s2, v2, v9
	s_wait_alu 0xf1ff
	v_add_co_ci_u32_e64 v24, null, 0, v3, s2
	v_add_co_u32 v25, s2, v12, v9
	s_wait_alu 0xf1ff
	v_add_co_ci_u32_e64 v26, null, 0, v13, s2
	s_clause 0x5
	global_load_b32 v12, v[0:1], off offset:-36
	global_load_b32 v17, v[19:20], off offset:-32
	;; [unrolled: 1-line block ×3, first 2 shown]
	global_load_b32 v13, v[0:1], off
	global_load_b32 v15, v[19:20], off offset:4
	global_load_b32 v16, v[19:20], off offset:20
	s_clause 0x4
	global_load_b32 v21, v[25:26], off offset:48
	global_load_b32 v20, v[25:26], off offset:64
	;; [unrolled: 1-line block ×4, first 2 shown]
	global_load_b32 v14, v[2:3], off
	v_add_co_u32 v2, s2, v2, v11
	s_wait_alu 0xf1ff
	v_add_co_ci_u32_e64 v3, null, 0, v3, s2
                                        ; implicit-def: $vgpr19
	s_and_saveexec_b32 s2, vcc_lo
	s_wait_alu 0xfffe
	s_xor_b32 s2, exec_lo, s2
	s_cbranch_execz .LBB136_10
; %bb.9:                                ;   in Loop: Header=BB136_8 Depth=1
	s_clause 0x1
	global_load_u16 v19, v[2:3], off
	global_load_u16 v24, v[2:3], off offset:8
	s_wait_loadcnt 0x1
	global_load_d16_hi_b16 v19, v[2:3], off offset:4
	s_wait_loadcnt 0x1
	v_pk_lshrrev_b16 v2, 4, v24 op_sel:[1,0] op_sel_hi:[0,0]
	s_delay_alu instid0(VALU_DEP_1) | instskip(SKIP_2) | instid1(VALU_DEP_1)
	v_and_b32_e32 v2, 0xf0f0f0f, v2
	s_wait_loadcnt 0x0
	v_pk_lshrrev_b16 v3, 2, v19 op_sel_hi:[0,1]
	v_and_or_b32 v19, 0x30303030, v3, v2
                                        ; implicit-def: $vgpr2_vgpr3
.LBB136_10:                             ;   in Loop: Header=BB136_8 Depth=1
	s_wait_alu 0xfffe
	s_and_not1_saveexec_b32 s2, s2
	s_cbranch_execz .LBB136_7
; %bb.11:                               ;   in Loop: Header=BB136_8 Depth=1
	global_load_u16 v19, v[2:3], off offset:4
	s_wait_loadcnt 0x0
	global_load_d16_hi_b16 v19, v[2:3], off offset:8
	s_wait_loadcnt 0x0
	v_and_b32_e32 v19, 0x3f3f3f3f, v19
	s_branch .LBB136_7
.LBB136_12:
	s_or_b32 exec_lo, exec_lo, s13
.LBB136_13:
	s_delay_alu instid0(SALU_CYCLE_1)
	s_or_b32 exec_lo, exec_lo, s17
	v_lshlrev_b32_e32 v0, 2, v4
	s_wait_kmcnt 0x0
	s_mov_b32 s3, exec_lo
	v_cmp_eq_u32_e32 vcc_lo, 0, v5
	v_cmpx_ne_u32_e32 0, v5
; %bb.14:
	v_lshlrev_b32_e32 v1, 7, v5
	s_delay_alu instid0(VALU_DEP_1)
	v_add3_u32 v1, v1, v0, 0xffffff80
	ds_store_b32 v1, v6
; %bb.15:
	s_wait_alu 0xfffe
	s_or_b32 exec_lo, exec_lo, s3
	s_wait_dscnt 0x0
	s_barrier_signal -1
	s_barrier_wait -1
	global_inv scope:SCOPE_SE
	s_and_saveexec_b32 s2, vcc_lo
	s_cbranch_execz .LBB136_18
; %bb.16:
	ds_load_2addr_b32 v[1:2], v0 offset1:32
	ds_load_2addr_b32 v[7:8], v0 offset0:64 offset1:96
	ds_load_2addr_b32 v[9:10], v0 offset0:128 offset1:160
	ds_load_b32 v0, v0 offset:768
	s_mov_b32 s3, 0
	s_wait_dscnt 0x3
	v_add_f32_e32 v1, v6, v1
	s_delay_alu instid0(VALU_DEP_1) | instskip(SKIP_2) | instid1(VALU_DEP_2)
	v_add_f32_e32 v1, v1, v2
	v_mbcnt_lo_u32_b32 v2, -1, 0
	s_wait_dscnt 0x2
	v_add_f32_e32 v1, v1, v7
	s_delay_alu instid0(VALU_DEP_2) | instskip(NEXT) | instid1(VALU_DEP_2)
	v_xor_b32_e32 v3, 16, v2
	v_add_f32_e32 v1, v1, v8
	s_delay_alu instid0(VALU_DEP_2) | instskip(SKIP_1) | instid1(VALU_DEP_2)
	v_cmp_gt_i32_e32 vcc_lo, 32, v3
	s_wait_dscnt 0x1
	v_add_f32_e32 v1, v1, v9
	s_delay_alu instid0(VALU_DEP_1) | instskip(SKIP_1) | instid1(VALU_DEP_1)
	v_add_f32_e32 v1, v1, v10
	s_wait_dscnt 0x0
	v_dual_cndmask_b32 v3, v2, v3 :: v_dual_add_f32 v0, v1, v0
	s_delay_alu instid0(VALU_DEP_1)
	v_lshlrev_b32_e32 v1, 2, v3
	v_xor_b32_e32 v3, 8, v2
	ds_bpermute_b32 v1, v1, v0
	v_cmp_gt_i32_e32 vcc_lo, 32, v3
	s_wait_dscnt 0x0
	s_wait_alu 0xfffd
	v_dual_cndmask_b32 v3, v2, v3 :: v_dual_add_f32 v0, v0, v1
	s_delay_alu instid0(VALU_DEP_1) | instskip(SKIP_2) | instid1(VALU_DEP_1)
	v_lshlrev_b32_e32 v3, 2, v3
	ds_bpermute_b32 v1, v3, v0
	v_xor_b32_e32 v3, 4, v2
	v_cmp_gt_i32_e32 vcc_lo, 32, v3
	s_wait_dscnt 0x0
	s_wait_alu 0xfffd
	v_dual_add_f32 v0, v0, v1 :: v_dual_cndmask_b32 v3, v2, v3
	s_delay_alu instid0(VALU_DEP_1) | instskip(SKIP_2) | instid1(VALU_DEP_1)
	v_lshlrev_b32_e32 v3, 2, v3
	ds_bpermute_b32 v1, v3, v0
	v_xor_b32_e32 v3, 2, v2
	v_cmp_gt_i32_e32 vcc_lo, 32, v3
	s_wait_alu 0xfffd
	v_cndmask_b32_e32 v3, v2, v3, vcc_lo
	s_wait_dscnt 0x0
	s_delay_alu instid0(VALU_DEP_1) | instskip(SKIP_2) | instid1(VALU_DEP_1)
	v_dual_add_f32 v0, v0, v1 :: v_dual_lshlrev_b32 v3, 2, v3
	ds_bpermute_b32 v1, v3, v0
	v_xor_b32_e32 v3, 1, v2
	v_cmp_gt_i32_e32 vcc_lo, 32, v3
	s_wait_alu 0xfffd
	v_cndmask_b32_e32 v2, v2, v3, vcc_lo
	v_cmp_eq_u32_e32 vcc_lo, 0, v4
	s_delay_alu instid0(VALU_DEP_2)
	v_lshlrev_b32_e32 v2, 2, v2
	s_wait_dscnt 0x0
	v_add_f32_e32 v0, v0, v1
	ds_bpermute_b32 v1, v2, v0
	s_and_b32 exec_lo, exec_lo, vcc_lo
	s_cbranch_execz .LBB136_18
; %bb.17:
	s_load_b64 s[0:1], s[0:1], 0x38
	s_mul_i32 s2, s6, s15
	s_mul_i32 s4, s14, s16
	s_wait_alu 0xfffe
	s_add_co_i32 s2, s2, ttmp9
	v_mov_b32_e32 v2, 0
	s_wait_alu 0xfffe
	s_add_co_i32 s2, s2, s4
	s_wait_dscnt 0x0
	v_add_f32_e32 v0, v0, v1
	s_wait_alu 0xfffe
	s_lshl_b64 s[2:3], s[2:3], 2
	s_wait_kmcnt 0x0
	s_wait_alu 0xfffe
	s_add_nc_u64 s[0:1], s[0:1], s[2:3]
	global_store_b32 v2, v0, s[0:1]
.LBB136_18:
	s_endpgm
.LBB136_19:
                                        ; implicit-def: $sgpr2
	s_clause 0x1
	s_load_b128 s[4:7], s[0:1], 0x68
	s_load_b32 s3, s[0:1], 0x50
	s_branch .LBB136_2
	.section	.rodata,"a",@progbits
	.p2align	6, 0x0
	.amdhsa_kernel _ZL13mul_mat_vec_qIL9ggml_type13ELi1ELb0ELb0EEvPKvS2_PKi31ggml_cuda_mm_fusion_args_devicePfj15HIP_vector_typeIjLj3EEjjjS8_jjjS8_jjjj
		.amdhsa_group_segment_fixed_size 896
		.amdhsa_private_segment_fixed_size 0
		.amdhsa_kernarg_size 144
		.amdhsa_user_sgpr_count 2
		.amdhsa_user_sgpr_dispatch_ptr 0
		.amdhsa_user_sgpr_queue_ptr 0
		.amdhsa_user_sgpr_kernarg_segment_ptr 1
		.amdhsa_user_sgpr_dispatch_id 0
		.amdhsa_user_sgpr_private_segment_size 0
		.amdhsa_wavefront_size32 1
		.amdhsa_uses_dynamic_stack 0
		.amdhsa_enable_private_segment 0
		.amdhsa_system_sgpr_workgroup_id_x 1
		.amdhsa_system_sgpr_workgroup_id_y 1
		.amdhsa_system_sgpr_workgroup_id_z 1
		.amdhsa_system_sgpr_workgroup_info 0
		.amdhsa_system_vgpr_workitem_id 1
		.amdhsa_next_free_vgpr 27
		.amdhsa_next_free_sgpr 22
		.amdhsa_reserve_vcc 1
		.amdhsa_float_round_mode_32 0
		.amdhsa_float_round_mode_16_64 0
		.amdhsa_float_denorm_mode_32 3
		.amdhsa_float_denorm_mode_16_64 3
		.amdhsa_fp16_overflow 0
		.amdhsa_workgroup_processor_mode 1
		.amdhsa_memory_ordered 1
		.amdhsa_forward_progress 1
		.amdhsa_inst_pref_size 14
		.amdhsa_round_robin_scheduling 0
		.amdhsa_exception_fp_ieee_invalid_op 0
		.amdhsa_exception_fp_denorm_src 0
		.amdhsa_exception_fp_ieee_div_zero 0
		.amdhsa_exception_fp_ieee_overflow 0
		.amdhsa_exception_fp_ieee_underflow 0
		.amdhsa_exception_fp_ieee_inexact 0
		.amdhsa_exception_int_div_zero 0
	.end_amdhsa_kernel
	.section	.text._ZL13mul_mat_vec_qIL9ggml_type13ELi1ELb0ELb0EEvPKvS2_PKi31ggml_cuda_mm_fusion_args_devicePfj15HIP_vector_typeIjLj3EEjjjS8_jjjS8_jjjj,"axG",@progbits,_ZL13mul_mat_vec_qIL9ggml_type13ELi1ELb0ELb0EEvPKvS2_PKi31ggml_cuda_mm_fusion_args_devicePfj15HIP_vector_typeIjLj3EEjjjS8_jjjS8_jjjj,comdat
.Lfunc_end136:
	.size	_ZL13mul_mat_vec_qIL9ggml_type13ELi1ELb0ELb0EEvPKvS2_PKi31ggml_cuda_mm_fusion_args_devicePfj15HIP_vector_typeIjLj3EEjjjS8_jjjS8_jjjj, .Lfunc_end136-_ZL13mul_mat_vec_qIL9ggml_type13ELi1ELb0ELb0EEvPKvS2_PKi31ggml_cuda_mm_fusion_args_devicePfj15HIP_vector_typeIjLj3EEjjjS8_jjjS8_jjjj
                                        ; -- End function
	.set _ZL13mul_mat_vec_qIL9ggml_type13ELi1ELb0ELb0EEvPKvS2_PKi31ggml_cuda_mm_fusion_args_devicePfj15HIP_vector_typeIjLj3EEjjjS8_jjjS8_jjjj.num_vgpr, 27
	.set _ZL13mul_mat_vec_qIL9ggml_type13ELi1ELb0ELb0EEvPKvS2_PKi31ggml_cuda_mm_fusion_args_devicePfj15HIP_vector_typeIjLj3EEjjjS8_jjjS8_jjjj.num_agpr, 0
	.set _ZL13mul_mat_vec_qIL9ggml_type13ELi1ELb0ELb0EEvPKvS2_PKi31ggml_cuda_mm_fusion_args_devicePfj15HIP_vector_typeIjLj3EEjjjS8_jjjS8_jjjj.numbered_sgpr, 22
	.set _ZL13mul_mat_vec_qIL9ggml_type13ELi1ELb0ELb0EEvPKvS2_PKi31ggml_cuda_mm_fusion_args_devicePfj15HIP_vector_typeIjLj3EEjjjS8_jjjS8_jjjj.num_named_barrier, 0
	.set _ZL13mul_mat_vec_qIL9ggml_type13ELi1ELb0ELb0EEvPKvS2_PKi31ggml_cuda_mm_fusion_args_devicePfj15HIP_vector_typeIjLj3EEjjjS8_jjjS8_jjjj.private_seg_size, 0
	.set _ZL13mul_mat_vec_qIL9ggml_type13ELi1ELb0ELb0EEvPKvS2_PKi31ggml_cuda_mm_fusion_args_devicePfj15HIP_vector_typeIjLj3EEjjjS8_jjjS8_jjjj.uses_vcc, 1
	.set _ZL13mul_mat_vec_qIL9ggml_type13ELi1ELb0ELb0EEvPKvS2_PKi31ggml_cuda_mm_fusion_args_devicePfj15HIP_vector_typeIjLj3EEjjjS8_jjjS8_jjjj.uses_flat_scratch, 0
	.set _ZL13mul_mat_vec_qIL9ggml_type13ELi1ELb0ELb0EEvPKvS2_PKi31ggml_cuda_mm_fusion_args_devicePfj15HIP_vector_typeIjLj3EEjjjS8_jjjS8_jjjj.has_dyn_sized_stack, 0
	.set _ZL13mul_mat_vec_qIL9ggml_type13ELi1ELb0ELb0EEvPKvS2_PKi31ggml_cuda_mm_fusion_args_devicePfj15HIP_vector_typeIjLj3EEjjjS8_jjjS8_jjjj.has_recursion, 0
	.set _ZL13mul_mat_vec_qIL9ggml_type13ELi1ELb0ELb0EEvPKvS2_PKi31ggml_cuda_mm_fusion_args_devicePfj15HIP_vector_typeIjLj3EEjjjS8_jjjS8_jjjj.has_indirect_call, 0
	.section	.AMDGPU.csdata,"",@progbits
; Kernel info:
; codeLenInByte = 1784
; TotalNumSgprs: 24
; NumVgprs: 27
; ScratchSize: 0
; MemoryBound: 0
; FloatMode: 240
; IeeeMode: 1
; LDSByteSize: 896 bytes/workgroup (compile time only)
; SGPRBlocks: 0
; VGPRBlocks: 3
; NumSGPRsForWavesPerEU: 24
; NumVGPRsForWavesPerEU: 27
; Occupancy: 16
; WaveLimiterHint : 0
; COMPUTE_PGM_RSRC2:SCRATCH_EN: 0
; COMPUTE_PGM_RSRC2:USER_SGPR: 2
; COMPUTE_PGM_RSRC2:TRAP_HANDLER: 0
; COMPUTE_PGM_RSRC2:TGID_X_EN: 1
; COMPUTE_PGM_RSRC2:TGID_Y_EN: 1
; COMPUTE_PGM_RSRC2:TGID_Z_EN: 1
; COMPUTE_PGM_RSRC2:TIDIG_COMP_CNT: 1
	.section	.text._ZL13mul_mat_vec_qIL9ggml_type13ELi2ELb0ELb0EEvPKvS2_PKi31ggml_cuda_mm_fusion_args_devicePfj15HIP_vector_typeIjLj3EEjjjS8_jjjS8_jjjj,"axG",@progbits,_ZL13mul_mat_vec_qIL9ggml_type13ELi2ELb0ELb0EEvPKvS2_PKi31ggml_cuda_mm_fusion_args_devicePfj15HIP_vector_typeIjLj3EEjjjS8_jjjS8_jjjj,comdat
	.globl	_ZL13mul_mat_vec_qIL9ggml_type13ELi2ELb0ELb0EEvPKvS2_PKi31ggml_cuda_mm_fusion_args_devicePfj15HIP_vector_typeIjLj3EEjjjS8_jjjS8_jjjj ; -- Begin function _ZL13mul_mat_vec_qIL9ggml_type13ELi2ELb0ELb0EEvPKvS2_PKi31ggml_cuda_mm_fusion_args_devicePfj15HIP_vector_typeIjLj3EEjjjS8_jjjS8_jjjj
	.p2align	8
	.type	_ZL13mul_mat_vec_qIL9ggml_type13ELi2ELb0ELb0EEvPKvS2_PKi31ggml_cuda_mm_fusion_args_devicePfj15HIP_vector_typeIjLj3EEjjjS8_jjjS8_jjjj,@function
_ZL13mul_mat_vec_qIL9ggml_type13ELi2ELb0ELb0EEvPKvS2_PKi31ggml_cuda_mm_fusion_args_devicePfj15HIP_vector_typeIjLj3EEjjjS8_jjjS8_jjjj: ; @_ZL13mul_mat_vec_qIL9ggml_type13ELi2ELb0ELb0EEvPKvS2_PKi31ggml_cuda_mm_fusion_args_devicePfj15HIP_vector_typeIjLj3EEjjjS8_jjjS8_jjjj
; %bb.0:
	s_clause 0x5
	s_load_b96 s[16:18], s[0:1], 0x80
	s_load_b32 s12, s[0:1], 0x40
	s_load_b128 s[4:7], s[0:1], 0x50
	s_load_b32 s2, s[0:1], 0x60
	s_load_b128 s[8:11], s[0:1], 0x68
	s_load_b32 s3, s[0:1], 0x78
	v_bfe_u32 v8, v0, 10, 10
	v_dual_mov_b32 v7, 0 :: v_dual_and_b32 v6, 0x3ff, v0
	v_mov_b32_e32 v10, 0
	s_and_b32 s19, ttmp7, 0xffff
	s_lshr_b32 s22, ttmp7, 16
	s_delay_alu instid0(VALU_DEP_2) | instskip(SKIP_1) | instid1(VALU_DEP_1)
	v_lshl_or_b32 v0, v8, 5, v6
	s_mov_b32 s24, exec_lo
	v_lshrrev_b32_e32 v9, 4, v0
	s_wait_kmcnt 0x0
	s_lshr_b32 s23, s12, 8
	s_delay_alu instid0(VALU_DEP_1) | instid1(SALU_CYCLE_1)
	v_cmpx_gt_u32_e64 s23, v9
	s_cbranch_execz .LBB137_12
; %bb.1:
	s_load_b128 s[12:15], s[0:1], 0x0
	v_lshl_add_u32 v0, v8, 5, v6
	v_bfe_u32 v3, v6, 2, 2
	v_dual_mov_b32 v7, 0 :: v_dual_lshlrev_b32 v2, 1, v6
	s_mul_hi_u32 s7, s7, s19
	s_delay_alu instid0(VALU_DEP_3) | instskip(NEXT) | instid1(VALU_DEP_3)
	v_lshrrev_b32_e32 v4, 4, v0
	v_mul_hi_u32_u24_e32 v1, 0x48, v3
	v_mul_u32_u24_e32 v0, 0x48, v3
	s_mul_hi_u32 s11, s11, s22
	s_mul_i32 s20, s17, s22
	s_mov_b32 s21, 0
	s_add_co_i32 s7, s19, s7
	s_add_co_i32 s11, s22, s11
	v_mad_co_u64_u32 v[0:1], null, 0x120, v4, v[0:1]
	s_mul_u64 s[26:27], s[20:21], 36
	s_mul_i32 s20, s9, s19
	s_lshr_b32 s7, s7, s2
	s_lshr_b32 s9, s11, s3
	v_bfe_u32 v5, v2, 3, 2
	s_mul_u64 s[2:3], s[20:21], 36
	s_mul_i32 s7, s7, s8
	s_mul_i32 s11, s9, s16
	s_wait_kmcnt 0x0
	s_add_nc_u64 s[8:9], s[14:15], s[26:27]
	v_and_b32_e32 v3, 30, v2
	v_and_b32_e32 v10, 3, v6
	s_add_nc_u64 s[8:9], s[8:9], s[2:3]
	v_lshlrev_b32_e32 v13, 1, v5
	v_add_co_u32 v2, s2, s8, v0
	s_delay_alu instid0(VALU_DEP_3)
	v_lshlrev_b32_e32 v12, 2, v10
	v_lshlrev_b32_e32 v16, 2, v10
	v_mov_b32_e32 v10, 0
	v_cmp_lt_u32_e32 vcc_lo, 15, v3
	v_add_co_ci_u32_e64 v3, null, s9, v1, s2
	v_mad_co_u64_u32 v[0:1], null, v13, 36, s[8:9]
	v_add_co_u32 v2, s2, v2, 36
	s_mul_i32 s4, s4, ttmp9
	v_lshlrev_b32_e32 v11, 5, v5
	s_wait_alu 0xf1ff
	v_add_co_ci_u32_e64 v3, null, 0, v3, s2
	v_lshl_add_u32 v14, v9, 3, s5
	v_lshlrev_b32_e32 v15, 1, v5
	s_add_co_i32 s7, s7, s4
	s_delay_alu instid0(SALU_CYCLE_1)
	s_add_co_i32 s4, s11, s7
	s_branch .LBB137_3
.LBB137_2:                              ;   in Loop: Header=BB137_3 Depth=1
	s_wait_alu 0xfffe
	s_or_b32 exec_lo, exec_lo, s2
	s_wait_loadcnt 0xd
	v_ashrrev_i32_e32 v4, v13, v35
	v_and_b32_e32 v35, 0xf0f0f0f, v29
	v_lshrrev_b32_e32 v29, 4, v29
	v_ashrrev_i32_e32 v5, v13, v34
	s_wait_loadcnt 0xc
	v_lshrrev_b32_e32 v37, 16, v17
	v_lshlrev_b32_e32 v36, 4, v4
	v_lshlrev_b32_e32 v4, 3, v4
	v_and_b32_e32 v29, 0xf0f0f0f, v29
	v_lshlrev_b32_e32 v39, 4, v5
	s_wait_loadcnt 0x9
	v_dot4_i32_iu8 v38, 0x1010101, v25, 0 neg_lo:[1,1,0]
	v_and_or_b32 v35, 0x10101010, v36, v35
	v_lshlrev_b32_e32 v5, 3, v5
	v_and_or_b32 v4, 0x10101010, v4, v29
	v_cvt_f32_f16_e32 v29, v37
	v_and_b32_e32 v34, 0xf0f0f0f, v30
	v_dot4_i32_iu8 v25, v35, v25, 0 neg_lo:[1,1,0]
	v_lshrrev_b32_e32 v30, 4, v30
	s_wait_loadcnt 0x6
	v_dot4_i32_iu8 v36, 0x1010101, v21, 0 neg_lo:[1,1,0]
	v_lshrrev_b16 v40, 8, v32
	v_and_or_b32 v34, 0x10101010, v39, v34
	v_bfe_u32 v39, v32, 16, 8
	v_and_b32_e32 v30, 0xf0f0f0f, v30
	v_lshrrev_b32_e32 v41, 24, v32
	v_and_b32_e32 v32, 0xff, v32
	v_dot4_i32_iu8 v25, v34, v22, v25 neg_lo:[1,1,0]
	s_wait_loadcnt 0x3
	v_dot4_i32_iu8 v42, 0x1010101, v31, 0 neg_lo:[1,1,0]
	v_and_b32_e32 v43, 0xff00ff, v33
	v_dot4_i32_iu8 v22, 0x1010101, v22, v38 neg_lo:[1,1,0]
	v_and_or_b32 v5, 0x10101010, v5, v30
	v_mul_lo_u32 v25, v25, v39
	v_dot4_i32_iu8 v21, v4, v21, 0 neg_lo:[1,1,0]
	v_dot4_i32_iu8 v30, v35, v31, 0 neg_lo:[1,1,0]
	v_mul_lo_u32 v22, v22, v32
	v_dot4_i32_iu8 v32, 0x1010101, v20, v36 neg_lo:[1,1,0]
	v_pk_lshrrev_b16 v33, 8, v33 op_sel_hi:[0,1]
	v_dot4_i32_iu8 v20, v5, v20, v21 neg_lo:[1,1,0]
	v_and_b32_e32 v31, 0xffff, v40
	v_cvt_f32_i32_e32 v25, v25
	s_wait_loadcnt 0x1
	v_dot4_i32_iu8 v4, v4, v28, 0 neg_lo:[1,1,0]
	v_add_nc_u32_e32 v9, 2, v9
	v_cvt_f32_i32_e32 v22, v22
	v_mul_lo_u32 v31, v32, v31
	v_fma_mix_f32 v21, v19, v25, 0 op_sel_hi:[1,0,0]
	v_dot4_i32_iu8 v25, v34, v27, v30 neg_lo:[1,1,0]
	v_dot4_i32_iu8 v30, 0x1010101, v28, 0 neg_lo:[1,1,0]
	;; [unrolled: 1-line block ×3, first 2 shown]
	v_lshrrev_b32_e32 v34, 16, v43
	v_dot4_i32_iu8 v4, v5, v26, v4 neg_lo:[1,1,0]
	v_mul_lo_u32 v20, v20, v41
	v_dot4_i32_iu8 v28, 0x1010101, v26, v30 neg_lo:[1,1,0]
	v_and_b32_e32 v30, 0xff, v43
	v_mul_lo_u32 v27, v27, v34
	v_lshrrev_b32_e32 v34, 16, v33
	v_fma_mix_f32 v19, v19, v22, 0 op_sel_hi:[1,0,0]
	v_cvt_f32_i32_e32 v22, v31
	v_mul_lo_u32 v5, v25, v30
	v_and_b32_e32 v25, 0xff, v33
	v_mul_lo_u32 v26, v28, v34
	v_cvt_f32_i32_e32 v20, v20
	v_cvt_f32_i32_e32 v27, v27
	v_fma_mix_f32 v19, v18, v22, v19 op_sel_hi:[1,0,0]
	v_mul_lo_u32 v4, v4, v25
	v_cmp_le_u32_e64 s2, s23, v9
	v_cvt_f32_i32_e32 v5, v5
	v_fma_mix_f32 v25, v23, v27, 0 op_sel_hi:[1,0,0]
	v_cvt_f32_i32_e32 v26, v26
	v_fma_mix_f32 v18, v18, v20, v21 op_sel_hi:[1,0,0]
	v_mul_f32_e32 v19, v19, v29
	v_fma_mix_f32 v5, v23, v5, 0 op_sel_hi:[1,0,0]
	v_cvt_f32_i32_e32 v4, v4
	s_wait_loadcnt 0x0
	v_fma_mix_f32 v22, v24, v26, v25 op_sel_hi:[1,0,0]
	v_add_co_u32 v2, s3, 0x240, v2
	v_fma_mix_f32 v18, v18, v17, -v19 op_sel_hi:[0,1,0]
	v_fma_mix_f32 v4, v24, v4, v5 op_sel_hi:[1,0,0]
	s_delay_alu instid0(VALU_DEP_4)
	v_mul_f32_e32 v5, v22, v29
	s_wait_alu 0xf1ff
	v_add_co_ci_u32_e64 v3, null, 0, v3, s3
	v_add_f32_e32 v10, v10, v18
	v_add_nc_u32_e32 v14, 16, v14
	v_fma_mix_f32 v4, v4, v17, -v5 op_sel_hi:[0,1,0]
	s_or_b32 s21, s2, s21
	s_delay_alu instid0(VALU_DEP_1)
	v_add_f32_e32 v7, v7, v4
	s_and_not1_b32 exec_lo, exec_lo, s21
	s_cbranch_execz .LBB137_11
.LBB137_3:                              ; =>This Inner Loop Header: Depth=1
	s_wait_alu 0xfffe
	v_add_nc_u32_e32 v4, s4, v9
                                        ; implicit-def: $vgpr32
                                        ; implicit-def: $vgpr36
	s_delay_alu instid0(VALU_DEP_1) | instskip(NEXT) | instid1(VALU_DEP_1)
	v_mad_co_i64_i32 v[4:5], null, 0xb0, v4, s[12:13]
	v_add_co_u32 v19, s2, v4, v11
	s_wait_alu 0xf1ff
	s_delay_alu instid0(VALU_DEP_2)
	v_add_co_ci_u32_e64 v20, null, 0, v5, s2
	v_add_co_u32 v17, s2, v4, v12
	s_wait_alu 0xf1ff
	v_add_co_ci_u32_e64 v18, null, 0, v5, s2
	v_add_co_u32 v19, s2, v19, v12
	s_wait_alu 0xf1ff
	;; [unrolled: 3-line block ×3, first 2 shown]
	v_add_co_ci_u32_e64 v24, null, 0, v3, s2
	s_clause 0x4
	global_load_b32 v30, v[19:20], off offset:48
	global_load_b32 v29, v[19:20], off offset:64
	;; [unrolled: 1-line block ×4, first 2 shown]
	global_load_b32 v17, v[4:5], off
	s_clause 0x5
	global_load_b32 v19, v[2:3], off offset:-36
	global_load_b32 v22, v[23:24], off offset:-32
	;; [unrolled: 1-line block ×3, first 2 shown]
	global_load_b32 v18, v[2:3], off
	global_load_b32 v20, v[23:24], off offset:4
	global_load_b32 v21, v[23:24], off offset:20
	v_add_co_u32 v4, s2, v4, v15
	s_wait_alu 0xf1ff
	v_add_co_ci_u32_e64 v5, null, 0, v5, s2
	s_and_saveexec_b32 s2, vcc_lo
	s_wait_alu 0xfffe
	s_xor_b32 s2, exec_lo, s2
	s_cbranch_execz .LBB137_5
; %bb.4:                                ;   in Loop: Header=BB137_3 Depth=1
	s_clause 0x1
	global_load_u16 v23, v[4:5], off offset:8
	global_load_u16 v24, v[4:5], off offset:4
	s_wait_loadcnt 0x1
	v_mov_b32_e32 v26, v23
	s_wait_loadcnt 0x0
	v_perm_b32 v36, v23, v24, 0x5040100
	s_delay_alu instid0(VALU_DEP_1) | instskip(NEXT) | instid1(VALU_DEP_1)
	v_pk_lshrrev_b16 v23, 2, v36
	v_and_b32_e32 v23, 0xf0f3030, v23
	global_load_d16_hi_b16 v26, v[4:5], off
	s_wait_loadcnt 0x0
	v_pk_lshrrev_b16 v24, 0x20004, v26
	s_delay_alu instid0(VALU_DEP_1)
	v_and_or_b32 v32, 0x30300f0f, v24, v23
.LBB137_5:                              ;   in Loop: Header=BB137_3 Depth=1
	s_wait_alu 0xfffe
	s_and_not1_saveexec_b32 s2, s2
	s_cbranch_execz .LBB137_7
; %bb.6:                                ;   in Loop: Header=BB137_3 Depth=1
	s_clause 0x1
	global_load_u16 v23, v[4:5], off offset:4
	global_load_u16 v24, v[4:5], off offset:8
	s_wait_loadcnt 0x0
	v_perm_b32 v26, v23, v24, 0x5040100
	v_perm_b32 v36, v24, v23, 0x5040100
	s_delay_alu instid0(VALU_DEP_2)
	v_and_b32_e32 v32, 0x3f3f3f3f, v26
.LBB137_7:                              ;   in Loop: Header=BB137_3 Depth=1
	s_wait_alu 0xfffe
	s_or_b32 exec_lo, exec_lo, s2
	v_mad_co_u64_u32 v[37:38], null, v14, 36, v[0:1]
                                        ; implicit-def: $vgpr33
	s_delay_alu instid0(VALU_DEP_1) | instskip(SKIP_1) | instid1(VALU_DEP_2)
	v_add_co_u32 v39, s2, v37, v16
	s_wait_alu 0xf1ff
	v_add_co_ci_u32_e64 v40, null, 0, v38, s2
	s_clause 0x5
	global_load_b32 v23, v[37:38], off
	global_load_b32 v27, v[39:40], off offset:4
	global_load_b32 v31, v[39:40], off offset:20
	;; [unrolled: 1-line block ×5, first 2 shown]
	s_and_saveexec_b32 s2, vcc_lo
	s_wait_alu 0xfffe
	s_xor_b32 s2, exec_lo, s2
	s_cbranch_execz .LBB137_9
; %bb.8:                                ;   in Loop: Header=BB137_3 Depth=1
	v_mov_b32_e32 v33, v36
	global_load_d16_b16 v33, v[4:5], off
	v_lshrrev_b16 v4, 2, v36
	s_delay_alu instid0(VALU_DEP_1) | instskip(NEXT) | instid1(VALU_DEP_1)
	v_alignbit_b32 v4, v4, v36, 16
                                        ; implicit-def: $vgpr36
	v_and_b32_e32 v4, 0x30300f0f, v4
	s_wait_loadcnt 0x0
	v_pk_lshrrev_b16 v5, 0x40002, v33
	s_delay_alu instid0(VALU_DEP_1)
	v_and_or_b32 v33, 0xf0f3030, v5, v4
.LBB137_9:                              ;   in Loop: Header=BB137_3 Depth=1
	s_wait_alu 0xfffe
	s_and_not1_saveexec_b32 s2, s2
	s_cbranch_execz .LBB137_2
; %bb.10:                               ;   in Loop: Header=BB137_3 Depth=1
	v_and_b32_e32 v33, 0x3f3f3f3f, v36
	s_branch .LBB137_2
.LBB137_11:
	s_or_b32 exec_lo, exec_lo, s21
.LBB137_12:
	s_delay_alu instid0(SALU_CYCLE_1)
	s_or_b32 exec_lo, exec_lo, s24
	s_mov_b32 s3, 0
	; wave barrier
	global_inv scope:SCOPE_SE
	s_mov_b32 s2, exec_lo
	v_cmpx_eq_u32_e32 0, v8
	s_cbranch_execz .LBB137_17
; %bb.13:
	v_mbcnt_lo_u32_b32 v4, -1, 0
	s_load_b64 s[0:1], s[0:1], 0x38
	s_mul_i32 s2, s10, s19
	s_mul_i32 s4, s18, s22
	s_wait_alu 0xfffe
	s_add_co_i32 s2, s2, ttmp9
	v_xor_b32_e32 v0, 16, v4
	v_xor_b32_e32 v1, 8, v4
	;; [unrolled: 1-line block ×3, first 2 shown]
	s_wait_alu 0xfffe
	s_add_co_i32 s2, s2, s4
	s_wait_alu 0xfffe
	s_lshl_b64 s[2:3], s[2:3], 2
	v_cmp_gt_i32_e32 vcc_lo, 32, v0
	v_cndmask_b32_e32 v0, v4, v0, vcc_lo
	v_cmp_gt_i32_e32 vcc_lo, 32, v1
	s_wait_kmcnt 0x0
	s_wait_alu 0xfffe
	s_add_nc_u64 s[0:1], s[0:1], s[2:3]
	s_wait_alu 0xfffd
	v_cndmask_b32_e32 v1, v4, v1, vcc_lo
	s_delay_alu instid0(VALU_DEP_1)
	v_lshlrev_b32_e32 v1, 2, v1
	v_lshlrev_b32_e32 v0, 2, v0
	ds_bpermute_b32 v2, v0, v10
	s_wait_dscnt 0x0
	v_add_f32_e32 v3, v10, v2
	v_xor_b32_e32 v2, 4, v4
	ds_bpermute_b32 v5, v1, v3
	v_cmp_gt_i32_e32 vcc_lo, 32, v2
	s_wait_dscnt 0x0
	s_wait_alu 0xfffd
	v_dual_cndmask_b32 v2, v4, v2 :: v_dual_add_f32 v5, v3, v5
	s_delay_alu instid0(VALU_DEP_1)
	v_lshlrev_b32_e32 v2, 2, v2
	v_xor_b32_e32 v3, 2, v4
	ds_bpermute_b32 v8, v2, v5
	v_cmp_gt_i32_e32 vcc_lo, 32, v3
	s_wait_alu 0xfffd
	v_cndmask_b32_e32 v3, v4, v3, vcc_lo
	v_cmp_gt_i32_e32 vcc_lo, 32, v9
	s_wait_alu 0xfffd
	v_cndmask_b32_e32 v4, v4, v9, vcc_lo
	v_cmp_eq_u32_e32 vcc_lo, 0, v6
	s_delay_alu instid0(VALU_DEP_2)
	v_lshlrev_b32_e32 v4, 2, v4
	v_lshlrev_b32_e32 v3, 2, v3
	s_wait_dscnt 0x0
	v_add_f32_e32 v5, v5, v8
	ds_bpermute_b32 v8, v3, v5
	s_wait_dscnt 0x0
	v_add_f32_e32 v5, v5, v8
	ds_bpermute_b32 v8, v4, v5
	s_and_saveexec_b32 s2, vcc_lo
	s_cbranch_execz .LBB137_15
; %bb.14:
	s_wait_dscnt 0x0
	v_dual_add_f32 v5, v5, v8 :: v_dual_mov_b32 v6, 0
	global_store_b32 v6, v5, s[0:1]
.LBB137_15:
	s_wait_alu 0xfffe
	s_or_b32 exec_lo, exec_lo, s2
	ds_bpermute_b32 v0, v0, v7
	s_wait_dscnt 0x0
	v_add_f32_e32 v0, v7, v0
	ds_bpermute_b32 v1, v1, v0
	s_wait_dscnt 0x0
	v_add_f32_e32 v0, v0, v1
	;; [unrolled: 3-line block ×4, first 2 shown]
	ds_bpermute_b32 v1, v4, v0
	s_and_b32 exec_lo, exec_lo, vcc_lo
	s_cbranch_execz .LBB137_17
; %bb.16:
	s_mov_b32 s7, 0
	s_wait_dscnt 0x0
	v_dual_add_f32 v0, v0, v1 :: v_dual_mov_b32 v1, 0
	s_lshl_b64 s[2:3], s[6:7], 2
	s_wait_alu 0xfffe
	s_add_nc_u64 s[0:1], s[0:1], s[2:3]
	global_store_b32 v1, v0, s[0:1]
.LBB137_17:
	s_endpgm
	.section	.rodata,"a",@progbits
	.p2align	6, 0x0
	.amdhsa_kernel _ZL13mul_mat_vec_qIL9ggml_type13ELi2ELb0ELb0EEvPKvS2_PKi31ggml_cuda_mm_fusion_args_devicePfj15HIP_vector_typeIjLj3EEjjjS8_jjjS8_jjjj
		.amdhsa_group_segment_fixed_size 0
		.amdhsa_private_segment_fixed_size 0
		.amdhsa_kernarg_size 144
		.amdhsa_user_sgpr_count 2
		.amdhsa_user_sgpr_dispatch_ptr 0
		.amdhsa_user_sgpr_queue_ptr 0
		.amdhsa_user_sgpr_kernarg_segment_ptr 1
		.amdhsa_user_sgpr_dispatch_id 0
		.amdhsa_user_sgpr_private_segment_size 0
		.amdhsa_wavefront_size32 1
		.amdhsa_uses_dynamic_stack 0
		.amdhsa_enable_private_segment 0
		.amdhsa_system_sgpr_workgroup_id_x 1
		.amdhsa_system_sgpr_workgroup_id_y 1
		.amdhsa_system_sgpr_workgroup_id_z 1
		.amdhsa_system_sgpr_workgroup_info 0
		.amdhsa_system_vgpr_workitem_id 1
		.amdhsa_next_free_vgpr 44
		.amdhsa_next_free_sgpr 28
		.amdhsa_reserve_vcc 1
		.amdhsa_float_round_mode_32 0
		.amdhsa_float_round_mode_16_64 0
		.amdhsa_float_denorm_mode_32 3
		.amdhsa_float_denorm_mode_16_64 3
		.amdhsa_fp16_overflow 0
		.amdhsa_workgroup_processor_mode 1
		.amdhsa_memory_ordered 1
		.amdhsa_forward_progress 1
		.amdhsa_inst_pref_size 18
		.amdhsa_round_robin_scheduling 0
		.amdhsa_exception_fp_ieee_invalid_op 0
		.amdhsa_exception_fp_denorm_src 0
		.amdhsa_exception_fp_ieee_div_zero 0
		.amdhsa_exception_fp_ieee_overflow 0
		.amdhsa_exception_fp_ieee_underflow 0
		.amdhsa_exception_fp_ieee_inexact 0
		.amdhsa_exception_int_div_zero 0
	.end_amdhsa_kernel
	.section	.text._ZL13mul_mat_vec_qIL9ggml_type13ELi2ELb0ELb0EEvPKvS2_PKi31ggml_cuda_mm_fusion_args_devicePfj15HIP_vector_typeIjLj3EEjjjS8_jjjS8_jjjj,"axG",@progbits,_ZL13mul_mat_vec_qIL9ggml_type13ELi2ELb0ELb0EEvPKvS2_PKi31ggml_cuda_mm_fusion_args_devicePfj15HIP_vector_typeIjLj3EEjjjS8_jjjS8_jjjj,comdat
.Lfunc_end137:
	.size	_ZL13mul_mat_vec_qIL9ggml_type13ELi2ELb0ELb0EEvPKvS2_PKi31ggml_cuda_mm_fusion_args_devicePfj15HIP_vector_typeIjLj3EEjjjS8_jjjS8_jjjj, .Lfunc_end137-_ZL13mul_mat_vec_qIL9ggml_type13ELi2ELb0ELb0EEvPKvS2_PKi31ggml_cuda_mm_fusion_args_devicePfj15HIP_vector_typeIjLj3EEjjjS8_jjjS8_jjjj
                                        ; -- End function
	.set _ZL13mul_mat_vec_qIL9ggml_type13ELi2ELb0ELb0EEvPKvS2_PKi31ggml_cuda_mm_fusion_args_devicePfj15HIP_vector_typeIjLj3EEjjjS8_jjjS8_jjjj.num_vgpr, 44
	.set _ZL13mul_mat_vec_qIL9ggml_type13ELi2ELb0ELb0EEvPKvS2_PKi31ggml_cuda_mm_fusion_args_devicePfj15HIP_vector_typeIjLj3EEjjjS8_jjjS8_jjjj.num_agpr, 0
	.set _ZL13mul_mat_vec_qIL9ggml_type13ELi2ELb0ELb0EEvPKvS2_PKi31ggml_cuda_mm_fusion_args_devicePfj15HIP_vector_typeIjLj3EEjjjS8_jjjS8_jjjj.numbered_sgpr, 28
	.set _ZL13mul_mat_vec_qIL9ggml_type13ELi2ELb0ELb0EEvPKvS2_PKi31ggml_cuda_mm_fusion_args_devicePfj15HIP_vector_typeIjLj3EEjjjS8_jjjS8_jjjj.num_named_barrier, 0
	.set _ZL13mul_mat_vec_qIL9ggml_type13ELi2ELb0ELb0EEvPKvS2_PKi31ggml_cuda_mm_fusion_args_devicePfj15HIP_vector_typeIjLj3EEjjjS8_jjjS8_jjjj.private_seg_size, 0
	.set _ZL13mul_mat_vec_qIL9ggml_type13ELi2ELb0ELb0EEvPKvS2_PKi31ggml_cuda_mm_fusion_args_devicePfj15HIP_vector_typeIjLj3EEjjjS8_jjjS8_jjjj.uses_vcc, 1
	.set _ZL13mul_mat_vec_qIL9ggml_type13ELi2ELb0ELb0EEvPKvS2_PKi31ggml_cuda_mm_fusion_args_devicePfj15HIP_vector_typeIjLj3EEjjjS8_jjjS8_jjjj.uses_flat_scratch, 0
	.set _ZL13mul_mat_vec_qIL9ggml_type13ELi2ELb0ELb0EEvPKvS2_PKi31ggml_cuda_mm_fusion_args_devicePfj15HIP_vector_typeIjLj3EEjjjS8_jjjS8_jjjj.has_dyn_sized_stack, 0
	.set _ZL13mul_mat_vec_qIL9ggml_type13ELi2ELb0ELb0EEvPKvS2_PKi31ggml_cuda_mm_fusion_args_devicePfj15HIP_vector_typeIjLj3EEjjjS8_jjjS8_jjjj.has_recursion, 0
	.set _ZL13mul_mat_vec_qIL9ggml_type13ELi2ELb0ELb0EEvPKvS2_PKi31ggml_cuda_mm_fusion_args_devicePfj15HIP_vector_typeIjLj3EEjjjS8_jjjS8_jjjj.has_indirect_call, 0
	.section	.AMDGPU.csdata,"",@progbits
; Kernel info:
; codeLenInByte = 2188
; TotalNumSgprs: 30
; NumVgprs: 44
; ScratchSize: 0
; MemoryBound: 0
; FloatMode: 240
; IeeeMode: 1
; LDSByteSize: 0 bytes/workgroup (compile time only)
; SGPRBlocks: 0
; VGPRBlocks: 5
; NumSGPRsForWavesPerEU: 30
; NumVGPRsForWavesPerEU: 44
; Occupancy: 16
; WaveLimiterHint : 0
; COMPUTE_PGM_RSRC2:SCRATCH_EN: 0
; COMPUTE_PGM_RSRC2:USER_SGPR: 2
; COMPUTE_PGM_RSRC2:TRAP_HANDLER: 0
; COMPUTE_PGM_RSRC2:TGID_X_EN: 1
; COMPUTE_PGM_RSRC2:TGID_Y_EN: 1
; COMPUTE_PGM_RSRC2:TGID_Z_EN: 1
; COMPUTE_PGM_RSRC2:TIDIG_COMP_CNT: 1
	.section	.text._ZL13mul_mat_vec_qIL9ggml_type13ELi3ELb0ELb0EEvPKvS2_PKi31ggml_cuda_mm_fusion_args_devicePfj15HIP_vector_typeIjLj3EEjjjS8_jjjS8_jjjj,"axG",@progbits,_ZL13mul_mat_vec_qIL9ggml_type13ELi3ELb0ELb0EEvPKvS2_PKi31ggml_cuda_mm_fusion_args_devicePfj15HIP_vector_typeIjLj3EEjjjS8_jjjS8_jjjj,comdat
	.globl	_ZL13mul_mat_vec_qIL9ggml_type13ELi3ELb0ELb0EEvPKvS2_PKi31ggml_cuda_mm_fusion_args_devicePfj15HIP_vector_typeIjLj3EEjjjS8_jjjS8_jjjj ; -- Begin function _ZL13mul_mat_vec_qIL9ggml_type13ELi3ELb0ELb0EEvPKvS2_PKi31ggml_cuda_mm_fusion_args_devicePfj15HIP_vector_typeIjLj3EEjjjS8_jjjS8_jjjj
	.p2align	8
	.type	_ZL13mul_mat_vec_qIL9ggml_type13ELi3ELb0ELb0EEvPKvS2_PKi31ggml_cuda_mm_fusion_args_devicePfj15HIP_vector_typeIjLj3EEjjjS8_jjjS8_jjjj,@function
_ZL13mul_mat_vec_qIL9ggml_type13ELi3ELb0ELb0EEvPKvS2_PKi31ggml_cuda_mm_fusion_args_devicePfj15HIP_vector_typeIjLj3EEjjjS8_jjjS8_jjjj: ; @_ZL13mul_mat_vec_qIL9ggml_type13ELi3ELb0ELb0EEvPKvS2_PKi31ggml_cuda_mm_fusion_args_devicePfj15HIP_vector_typeIjLj3EEjjjS8_jjjS8_jjjj
; %bb.0:
	s_clause 0x5
	s_load_b96 s[16:18], s[0:1], 0x80
	s_load_b32 s12, s[0:1], 0x40
	s_load_b128 s[4:7], s[0:1], 0x50
	s_load_b32 s2, s[0:1], 0x60
	s_load_b128 s[8:11], s[0:1], 0x68
	s_load_b32 s3, s[0:1], 0x78
	v_bfe_u32 v8, v0, 10, 10
	v_dual_mov_b32 v7, 0 :: v_dual_and_b32 v6, 0x3ff, v0
	v_mov_b32_e32 v9, 0
	v_mov_b32_e32 v11, 0
	s_and_b32 s19, ttmp7, 0xffff
	s_delay_alu instid0(VALU_DEP_3) | instskip(SKIP_2) | instid1(VALU_DEP_1)
	v_lshl_or_b32 v0, v8, 5, v6
	s_lshr_b32 s22, ttmp7, 16
	s_mov_b32 s23, exec_lo
	v_lshrrev_b32_e32 v10, 4, v0
	s_wait_kmcnt 0x0
	s_lshr_b32 s24, s12, 8
	s_delay_alu instid0(VALU_DEP_1) | instid1(SALU_CYCLE_1)
	v_cmpx_gt_u32_e64 s24, v10
	s_cbranch_execz .LBB138_16
; %bb.1:
	s_load_b128 s[12:15], s[0:1], 0x0
	v_lshl_add_u32 v0, v8, 5, v6
	v_bfe_u32 v3, v6, 2, 2
	v_dual_mov_b32 v7, 0 :: v_dual_lshlrev_b32 v2, 1, v6
	s_mul_hi_u32 s7, s7, s19
	s_delay_alu instid0(VALU_DEP_3) | instskip(NEXT) | instid1(VALU_DEP_3)
	v_lshrrev_b32_e32 v5, 4, v0
	v_mul_hi_u32_u24_e32 v1, 0x48, v3
	v_mul_u32_u24_e32 v0, 0x48, v3
	v_bfe_u32 v4, v2, 3, 2
	s_mul_hi_u32 s11, s11, s22
	s_mul_i32 s20, s17, s22
	s_mov_b32 s21, 0
	s_add_co_i32 s7, s19, s7
	v_and_b32_e32 v9, 30, v2
	v_mad_co_u64_u32 v[2:3], null, 0x120, v5, v[0:1]
	s_add_co_i32 s11, s22, s11
	s_mul_u64 s[26:27], s[20:21], 36
	s_mul_i32 s20, s9, s19
	s_lshr_b32 s7, s7, s2
	v_lshlrev_b32_e32 v13, 1, v4
	s_lshr_b32 s11, s11, s3
	s_mul_u64 s[2:3], s[20:21], 36
	s_mul_i32 s7, s7, s8
	s_wait_kmcnt 0x0
	s_add_nc_u64 s[8:9], s[14:15], s[26:27]
	v_and_b32_e32 v11, 3, v6
	s_add_nc_u64 s[2:3], s[8:9], s[2:3]
	v_lshlrev_b32_e32 v5, 3, v10
	v_mad_co_u64_u32 v[0:1], null, v13, 36, s[2:3]
	v_add_co_u32 v2, s2, s2, v2
	s_wait_alu 0xf1ff
	v_add_co_ci_u32_e64 v3, null, s3, v3, s2
	s_mul_i32 s4, s4, ttmp9
	v_add_co_u32 v2, s2, v2, 36
	v_lshlrev_b32_e32 v12, 5, v4
	v_lshlrev_b32_e32 v14, 2, v11
	v_cmp_lt_u32_e32 vcc_lo, 15, v9
	s_wait_alu 0xf1ff
	v_add_co_ci_u32_e64 v3, null, 0, v3, s2
	v_lshl_add_u32 v15, s5, 1, v5
	v_add_nc_u32_e32 v16, s5, v5
	v_lshlrev_b32_e32 v17, 1, v4
	v_dual_mov_b32 v9, 0 :: v_dual_lshlrev_b32 v18, 2, v11
	v_mov_b32_e32 v11, 0
	s_mul_i32 s11, s11, s16
	s_add_co_i32 s7, s7, s4
	s_delay_alu instid0(SALU_CYCLE_1)
	s_add_co_i32 s4, s11, s7
	s_branch .LBB138_3
.LBB138_2:                              ;   in Loop: Header=BB138_3 Depth=1
	s_wait_alu 0xfffe
	s_or_b32 exec_lo, exec_lo, s2
	s_wait_loadcnt 0x13
	v_ashrrev_i32_e32 v4, v13, v34
	v_ashrrev_i32_e32 v5, v13, v33
	v_and_b32_e32 v34, 0xf0f0f0f, v29
	v_and_b32_e32 v33, 0xf0f0f0f, v31
	v_lshrrev_b32_e32 v31, 4, v31
	v_lshlrev_b32_e32 v41, 4, v4
	v_lshrrev_b32_e32 v29, 4, v29
	v_lshlrev_b32_e32 v48, 4, v5
	s_wait_loadcnt 0x9
	v_dot4_i32_iu8 v47, 0x1010101, v43, 0 neg_lo:[1,1,0]
	v_and_b32_e32 v31, 0xf0f0f0f, v31
	v_and_or_b32 v34, 0x10101010, v41, v34
	v_and_b32_e32 v29, 0xf0f0f0f, v29
	v_lshlrev_b32_e32 v4, 3, v4
	v_lshlrev_b32_e32 v5, 3, v5
	v_and_or_b32 v33, 0x10101010, v48, v33
	v_dot4_i32_iu8 v41, v34, v43, 0 neg_lo:[1,1,0]
	v_and_b32_e32 v43, 0xff, v40
	v_and_or_b32 v4, 0x10101010, v4, v29
	v_dot4_i32_iu8 v29, 0x1010101, v38, v47 neg_lo:[1,1,0]
	v_and_or_b32 v5, 0x10101010, v5, v31
	v_dot4_i32_iu8 v31, v33, v38, v41 neg_lo:[1,1,0]
	v_and_b32_e32 v38, 0xff, v45
	s_wait_loadcnt 0x7
	v_dot4_i32_iu8 v41, v4, v37, 0 neg_lo:[1,1,0]
	v_and_b32_e32 v43, 0xffff, v43
	v_dot4_i32_iu8 v37, 0x1010101, v37, 0 neg_lo:[1,1,0]
	v_lshrrev_b16 v45, 8, v45
	v_and_b32_e32 v38, 0xffff, v38
	v_lshrrev_b16 v40, 8, v40
	v_mul_lo_u32 v31, v31, v43
	v_dot4_i32_iu8 v41, v5, v36, v41 neg_lo:[1,1,0]
	v_dot4_i32_iu8 v36, 0x1010101, v36, v37 neg_lo:[1,1,0]
	v_mul_lo_u32 v29, v29, v38
	v_and_b32_e32 v37, 0xffff, v40
	v_and_b32_e32 v38, 0xffff, v45
	s_wait_loadcnt 0x3
	v_dot4_i32_iu8 v40, 0x1010101, v46, 0 neg_lo:[1,1,0]
	v_add_nc_u32_e32 v10, 2, v10
	v_cvt_f32_i32_e32 v31, v31
	v_mul_lo_u32 v37, v41, v37
	v_mul_lo_u32 v36, v36, v38
	v_cvt_f32_i32_e32 v29, v29
	v_lshrrev_b32_e32 v38, 16, v19
	v_fma_mix_f32 v31, v32, v31, 0 op_sel_hi:[1,0,0]
	v_cmp_le_u32_e64 s2, s24, v10
	v_add_co_u32 v2, s3, 0x240, v2
	v_fma_mix_f32 v29, v32, v29, 0 op_sel_hi:[1,0,0]
	v_cvt_f32_i32_e32 v32, v37
	v_cvt_f32_i32_e32 v36, v36
	v_cvt_f32_f16_e32 v37, v38
	v_dot4_i32_iu8 v38, v34, v46, 0 neg_lo:[1,1,0]
	s_wait_alu 0xf1ff
	v_add_co_ci_u32_e64 v3, null, 0, v3, s3
	v_fma_mix_f32 v31, v30, v32, v31 op_sel_hi:[1,0,0]
	v_fma_mix_f32 v29, v30, v36, v29 op_sel_hi:[1,0,0]
	v_dot4_i32_iu8 v30, v34, v26, 0 neg_lo:[1,1,0]
	v_dot4_i32_iu8 v32, v33, v42, v38 neg_lo:[1,1,0]
	s_wait_loadcnt 0x1
	v_dot4_i32_iu8 v36, v4, v44, 0 neg_lo:[1,1,0]
	v_dot4_i32_iu8 v26, 0x1010101, v26, 0 neg_lo:[1,1,0]
	;; [unrolled: 1-line block ×4, first 2 shown]
	v_bfe_u32 v33, v23, 16, 8
	v_dot4_i32_iu8 v36, v5, v39, v36 neg_lo:[1,1,0]
	v_dot4_i32_iu8 v24, 0x1010101, v24, v26 neg_lo:[1,1,0]
	;; [unrolled: 1-line block ×4, first 2 shown]
	v_mul_lo_u32 v26, v30, v33
	v_lshrrev_b16 v30, 8, v23
	v_and_b32_e32 v5, 0xff, v23
	v_and_b32_e32 v33, 0xff00ff, v35
	v_dot4_i32_iu8 v34, 0x1010101, v42, v40 neg_lo:[1,1,0]
	v_dot4_i32_iu8 v38, 0x1010101, v44, 0 neg_lo:[1,1,0]
	;; [unrolled: 1-line block ×3, first 2 shown]
	v_and_b32_e32 v25, 0xffff, v30
	v_mul_lo_u32 v5, v24, v5
	v_lshrrev_b32_e32 v24, 16, v33
	v_pk_lshrrev_b16 v30, 8, v35 op_sel_hi:[0,1]
	v_dot4_i32_iu8 v38, 0x1010101, v39, v38 neg_lo:[1,1,0]
	v_and_b32_e32 v33, 0xff, v33
	v_lshrrev_b32_e32 v23, 24, v23
	v_mul_lo_u32 v24, v34, v24
	v_lshrrev_b32_e32 v34, 16, v30
	v_cvt_f32_i32_e32 v26, v26
	v_cvt_f32_i32_e32 v5, v5
	v_mul_lo_u32 v22, v22, v25
	v_mul_lo_u32 v25, v32, v33
	v_and_b32_e32 v30, 0xff, v30
	v_mul_lo_u32 v32, v38, v34
	v_mul_lo_u32 v4, v4, v23
	v_cvt_f32_i32_e32 v23, v24
	v_fma_mix_f32 v26, v21, v26, 0 op_sel_hi:[1,0,0]
	v_fma_mix_f32 v5, v21, v5, 0 op_sel_hi:[1,0,0]
	v_mul_lo_u32 v21, v36, v30
	v_cvt_f32_i32_e32 v22, v22
	v_cvt_f32_i32_e32 v24, v25
	v_fma_mix_f32 v23, v27, v23, 0 op_sel_hi:[1,0,0]
	v_cvt_f32_i32_e32 v25, v32
	v_cvt_f32_i32_e32 v4, v4
	v_fma_mix_f32 v5, v20, v22, v5 op_sel_hi:[1,0,0]
	v_fma_mix_f32 v22, v27, v24, 0 op_sel_hi:[1,0,0]
	v_cvt_f32_i32_e32 v21, v21
	s_wait_loadcnt 0x0
	v_fma_mix_f32 v23, v28, v25, v23 op_sel_hi:[1,0,0]
	v_mul_f32_e32 v24, v29, v37
	v_fma_mix_f32 v4, v20, v4, v26 op_sel_hi:[1,0,0]
	v_mul_f32_e32 v5, v5, v37
	;; [unrolled: 2-line block ×3, first 2 shown]
	v_fma_mix_f32 v22, v31, v19, -v24 op_sel_hi:[0,1,0]
	v_add_nc_u32_e32 v15, 16, v15
	v_fma_mix_f32 v4, v4, v19, -v5 op_sel_hi:[0,1,0]
	v_add_nc_u32_e32 v16, 16, v16
	v_fma_mix_f32 v5, v20, v19, -v21 op_sel_hi:[0,1,0]
	v_add_f32_e32 v9, v9, v22
	s_or_b32 s21, s2, s21
	v_add_f32_e32 v11, v11, v4
	s_delay_alu instid0(VALU_DEP_3)
	v_add_f32_e32 v7, v7, v5
	s_and_not1_b32 exec_lo, exec_lo, s21
	s_cbranch_execz .LBB138_15
.LBB138_3:                              ; =>This Inner Loop Header: Depth=1
	s_wait_alu 0xfffe
	v_add_nc_u32_e32 v4, s4, v10
                                        ; implicit-def: $vgpr41
                                        ; implicit-def: $vgpr23
	s_delay_alu instid0(VALU_DEP_1) | instskip(NEXT) | instid1(VALU_DEP_1)
	v_mad_co_i64_i32 v[4:5], null, 0xb0, v4, s[12:13]
	v_add_co_u32 v21, s2, v4, v12
	s_wait_alu 0xf1ff
	s_delay_alu instid0(VALU_DEP_2)
	v_add_co_ci_u32_e64 v22, null, 0, v5, s2
	v_add_co_u32 v19, s2, v4, v14
	s_wait_alu 0xf1ff
	v_add_co_ci_u32_e64 v20, null, 0, v5, s2
	v_add_co_u32 v21, s2, v21, v14
	s_wait_alu 0xf1ff
	;; [unrolled: 3-line block ×3, first 2 shown]
	v_add_co_ci_u32_e64 v28, null, 0, v3, s2
	s_clause 0x4
	global_load_b32 v31, v[21:22], off offset:48
	global_load_b32 v29, v[21:22], off offset:64
	;; [unrolled: 1-line block ×4, first 2 shown]
	global_load_b32 v19, v[4:5], off
	s_clause 0x5
	global_load_b32 v21, v[2:3], off offset:-36
	global_load_b32 v24, v[27:28], off offset:-32
	;; [unrolled: 1-line block ×3, first 2 shown]
	global_load_b32 v20, v[2:3], off
	global_load_b32 v22, v[27:28], off offset:4
	global_load_b32 v25, v[27:28], off offset:20
	v_add_co_u32 v4, s2, v4, v17
	s_wait_alu 0xf1ff
	v_add_co_ci_u32_e64 v5, null, 0, v5, s2
	s_and_saveexec_b32 s2, vcc_lo
	s_wait_alu 0xfffe
	s_xor_b32 s2, exec_lo, s2
	s_cbranch_execz .LBB138_5
; %bb.4:                                ;   in Loop: Header=BB138_3 Depth=1
	s_clause 0x1
	global_load_u16 v23, v[4:5], off offset:8
	global_load_u16 v27, v[4:5], off offset:4
	s_wait_loadcnt 0x1
	v_mov_b32_e32 v28, v23
	s_wait_loadcnt 0x0
	v_perm_b32 v41, v23, v27, 0x5040100
	s_delay_alu instid0(VALU_DEP_1) | instskip(NEXT) | instid1(VALU_DEP_1)
	v_pk_lshrrev_b16 v23, 2, v41
	v_and_b32_e32 v23, 0xf0f3030, v23
	global_load_d16_hi_b16 v28, v[4:5], off
	s_wait_loadcnt 0x0
	v_pk_lshrrev_b16 v27, 0x20004, v28
	s_delay_alu instid0(VALU_DEP_1)
	v_and_or_b32 v23, 0x30300f0f, v27, v23
.LBB138_5:                              ;   in Loop: Header=BB138_3 Depth=1
	s_wait_alu 0xfffe
	s_and_not1_saveexec_b32 s2, s2
	s_cbranch_execz .LBB138_7
; %bb.6:                                ;   in Loop: Header=BB138_3 Depth=1
	s_clause 0x1
	global_load_u16 v27, v[4:5], off offset:4
	global_load_u16 v28, v[4:5], off offset:8
	s_wait_loadcnt 0x0
	v_perm_b32 v23, v27, v28, 0x5040100
	v_perm_b32 v41, v28, v27, 0x5040100
	s_delay_alu instid0(VALU_DEP_2)
	v_and_b32_e32 v23, 0x3f3f3f3f, v23
.LBB138_7:                              ;   in Loop: Header=BB138_3 Depth=1
	s_wait_alu 0xfffe
	s_or_b32 exec_lo, exec_lo, s2
	v_mad_co_u64_u32 v[27:28], null, v16, 36, v[0:1]
                                        ; implicit-def: $vgpr45
	s_delay_alu instid0(VALU_DEP_1) | instskip(SKIP_1) | instid1(VALU_DEP_2)
	v_add_co_u32 v39, s2, v27, v18
	s_wait_alu 0xf1ff
	v_add_co_ci_u32_e64 v40, null, 0, v28, s2
	s_clause 0x5
	global_load_b32 v32, v[27:28], off
	global_load_b32 v38, v[39:40], off offset:4
	global_load_b32 v43, v[39:40], off offset:20
	;; [unrolled: 1-line block ×5, first 2 shown]
	v_lshrrev_b32_e32 v27, 16, v41
                                        ; implicit-def: $vgpr40
	s_and_saveexec_b32 s2, vcc_lo
	s_wait_alu 0xfffe
	s_xor_b32 s2, exec_lo, s2
	s_cbranch_execz .LBB138_9
; %bb.8:                                ;   in Loop: Header=BB138_3 Depth=1
	global_load_u16 v28, v[4:5], off
	v_lshrrev_b32_e32 v35, 20, v41
	v_lshrrev_b16 v39, 2, v41
	v_and_b32_e32 v27, 0xf0f, v27
	s_delay_alu instid0(VALU_DEP_3) | instskip(NEXT) | instid1(VALU_DEP_3)
	v_and_b32_e32 v35, 0xf0f, v35
	v_and_b32_e32 v39, 0x3030, v39
	s_delay_alu instid0(VALU_DEP_1) | instskip(SKIP_2) | instid1(VALU_DEP_1)
	v_or_b32_e32 v45, v39, v35
	s_wait_loadcnt 0x0
	v_lshrrev_b16 v28, 2, v28
	v_and_b32_e32 v28, 0x3030, v28
	s_delay_alu instid0(VALU_DEP_1)
	v_or_b32_e32 v40, v28, v27
                                        ; implicit-def: $vgpr27
.LBB138_9:                              ;   in Loop: Header=BB138_3 Depth=1
	s_wait_alu 0xfffe
	s_and_not1_saveexec_b32 s2, s2
; %bb.10:                               ;   in Loop: Header=BB138_3 Depth=1
	v_and_b32_e32 v40, 0x3f3f, v41
	v_and_b32_e32 v45, 0x3f3f, v27
; %bb.11:                               ;   in Loop: Header=BB138_3 Depth=1
	s_wait_alu 0xfffe
	s_or_b32 exec_lo, exec_lo, s2
	v_mad_co_u64_u32 v[47:48], null, v15, 36, v[0:1]
                                        ; implicit-def: $vgpr35
	s_delay_alu instid0(VALU_DEP_1) | instskip(SKIP_1) | instid1(VALU_DEP_2)
	v_add_co_u32 v49, s2, v47, v18
	s_wait_alu 0xf1ff
	v_add_co_ci_u32_e64 v50, null, 0, v48, s2
	s_clause 0x5
	global_load_b32 v27, v[47:48], off
	global_load_b32 v42, v[49:50], off offset:4
	global_load_b32 v46, v[49:50], off offset:20
	;; [unrolled: 1-line block ×5, first 2 shown]
	s_and_saveexec_b32 s2, vcc_lo
	s_wait_alu 0xfffe
	s_xor_b32 s2, exec_lo, s2
	s_cbranch_execz .LBB138_13
; %bb.12:                               ;   in Loop: Header=BB138_3 Depth=1
	global_load_u16 v4, v[4:5], off
	v_pk_lshrrev_b16 v5, 4, v41 op_sel:[1,1] op_sel_hi:[0,1]
	s_delay_alu instid0(VALU_DEP_1) | instskip(SKIP_2) | instid1(VALU_DEP_1)
	v_and_b32_e32 v5, 0xf0f0f0f, v5
	s_wait_loadcnt 0x0
	v_perm_b32 v4, v41, v4, 0x5040100
                                        ; implicit-def: $vgpr41
	v_pk_lshrrev_b16 v4, 2, v4 op_sel_hi:[0,1]
	s_delay_alu instid0(VALU_DEP_1)
	v_and_or_b32 v35, 0x30303030, v4, v5
.LBB138_13:                             ;   in Loop: Header=BB138_3 Depth=1
	s_wait_alu 0xfffe
	s_and_not1_saveexec_b32 s2, s2
	s_cbranch_execz .LBB138_2
; %bb.14:                               ;   in Loop: Header=BB138_3 Depth=1
	v_and_b32_e32 v35, 0x3f3f3f3f, v41
	s_branch .LBB138_2
.LBB138_15:
	s_or_b32 exec_lo, exec_lo, s21
.LBB138_16:
	s_delay_alu instid0(SALU_CYCLE_1)
	s_or_b32 exec_lo, exec_lo, s23
	s_mov_b32 s3, 0
	; wave barrier
	global_inv scope:SCOPE_SE
	s_mov_b32 s2, exec_lo
	v_cmpx_eq_u32_e32 0, v8
	s_cbranch_execz .LBB138_23
; %bb.17:
	v_mbcnt_lo_u32_b32 v4, -1, 0
	s_load_b64 s[0:1], s[0:1], 0x38
	s_mul_i32 s2, s10, s19
	s_mul_i32 s4, s18, s22
	s_wait_alu 0xfffe
	s_add_co_i32 s2, s2, ttmp9
	v_xor_b32_e32 v0, 16, v4
	v_xor_b32_e32 v1, 8, v4
	;; [unrolled: 1-line block ×3, first 2 shown]
	s_wait_alu 0xfffe
	s_add_co_i32 s2, s2, s4
	s_wait_alu 0xfffe
	s_lshl_b64 s[2:3], s[2:3], 2
	v_cmp_gt_i32_e32 vcc_lo, 32, v0
	v_cndmask_b32_e32 v0, v4, v0, vcc_lo
	v_cmp_gt_i32_e32 vcc_lo, 32, v1
	s_wait_kmcnt 0x0
	s_wait_alu 0xfffe
	s_add_nc_u64 s[0:1], s[0:1], s[2:3]
	s_wait_alu 0xfffd
	v_cndmask_b32_e32 v1, v4, v1, vcc_lo
	s_delay_alu instid0(VALU_DEP_1)
	v_lshlrev_b32_e32 v1, 2, v1
	v_lshlrev_b32_e32 v0, 2, v0
	ds_bpermute_b32 v2, v0, v11
	s_wait_dscnt 0x0
	v_add_f32_e32 v3, v11, v2
	v_xor_b32_e32 v2, 4, v4
	ds_bpermute_b32 v5, v1, v3
	v_cmp_gt_i32_e32 vcc_lo, 32, v2
	s_wait_dscnt 0x0
	s_wait_alu 0xfffd
	v_dual_cndmask_b32 v2, v4, v2 :: v_dual_add_f32 v5, v3, v5
	s_delay_alu instid0(VALU_DEP_1)
	v_lshlrev_b32_e32 v2, 2, v2
	v_xor_b32_e32 v3, 2, v4
	ds_bpermute_b32 v8, v2, v5
	v_cmp_gt_i32_e32 vcc_lo, 32, v3
	s_wait_alu 0xfffd
	v_cndmask_b32_e32 v3, v4, v3, vcc_lo
	v_cmp_gt_i32_e32 vcc_lo, 32, v10
	s_wait_alu 0xfffd
	v_cndmask_b32_e32 v4, v4, v10, vcc_lo
	v_cmp_eq_u32_e32 vcc_lo, 0, v6
	s_delay_alu instid0(VALU_DEP_2)
	v_lshlrev_b32_e32 v4, 2, v4
	v_lshlrev_b32_e32 v3, 2, v3
	s_wait_dscnt 0x0
	v_add_f32_e32 v5, v5, v8
	ds_bpermute_b32 v8, v3, v5
	s_wait_dscnt 0x0
	v_add_f32_e32 v5, v5, v8
	ds_bpermute_b32 v8, v4, v5
	s_and_saveexec_b32 s2, vcc_lo
	s_cbranch_execz .LBB138_19
; %bb.18:
	s_wait_dscnt 0x0
	v_dual_add_f32 v5, v5, v8 :: v_dual_mov_b32 v6, 0
	global_store_b32 v6, v5, s[0:1]
.LBB138_19:
	s_wait_alu 0xfffe
	s_or_b32 exec_lo, exec_lo, s2
	ds_bpermute_b32 v5, v0, v9
	s_wait_dscnt 0x0
	v_add_f32_e32 v5, v9, v5
	ds_bpermute_b32 v6, v1, v5
	s_wait_dscnt 0x0
	v_add_f32_e32 v5, v5, v6
	;; [unrolled: 3-line block ×4, first 2 shown]
	ds_bpermute_b32 v6, v4, v5
	s_and_saveexec_b32 s2, vcc_lo
	s_cbranch_execz .LBB138_21
; %bb.20:
	s_mov_b32 s7, 0
	s_wait_dscnt 0x0
	v_dual_add_f32 v5, v5, v6 :: v_dual_mov_b32 v6, 0
	s_lshl_b64 s[4:5], s[6:7], 2
	s_wait_alu 0xfffe
	s_add_nc_u64 s[4:5], s[0:1], s[4:5]
	global_store_b32 v6, v5, s[4:5]
.LBB138_21:
	s_wait_alu 0xfffe
	s_or_b32 exec_lo, exec_lo, s2
	ds_bpermute_b32 v0, v0, v7
	s_wait_dscnt 0x0
	v_add_f32_e32 v0, v7, v0
	ds_bpermute_b32 v1, v1, v0
	s_wait_dscnt 0x0
	v_add_f32_e32 v0, v0, v1
	;; [unrolled: 3-line block ×4, first 2 shown]
	ds_bpermute_b32 v1, v4, v0
	s_and_b32 exec_lo, exec_lo, vcc_lo
	s_cbranch_execz .LBB138_23
; %bb.22:
	s_lshl_b32 s2, s6, 1
	s_mov_b32 s3, 0
	s_wait_dscnt 0x0
	v_dual_add_f32 v0, v0, v1 :: v_dual_mov_b32 v1, 0
	s_wait_alu 0xfffe
	s_lshl_b64 s[2:3], s[2:3], 2
	s_wait_alu 0xfffe
	s_add_nc_u64 s[0:1], s[0:1], s[2:3]
	global_store_b32 v1, v0, s[0:1]
.LBB138_23:
	s_endpgm
	.section	.rodata,"a",@progbits
	.p2align	6, 0x0
	.amdhsa_kernel _ZL13mul_mat_vec_qIL9ggml_type13ELi3ELb0ELb0EEvPKvS2_PKi31ggml_cuda_mm_fusion_args_devicePfj15HIP_vector_typeIjLj3EEjjjS8_jjjS8_jjjj
		.amdhsa_group_segment_fixed_size 0
		.amdhsa_private_segment_fixed_size 0
		.amdhsa_kernarg_size 144
		.amdhsa_user_sgpr_count 2
		.amdhsa_user_sgpr_dispatch_ptr 0
		.amdhsa_user_sgpr_queue_ptr 0
		.amdhsa_user_sgpr_kernarg_segment_ptr 1
		.amdhsa_user_sgpr_dispatch_id 0
		.amdhsa_user_sgpr_private_segment_size 0
		.amdhsa_wavefront_size32 1
		.amdhsa_uses_dynamic_stack 0
		.amdhsa_enable_private_segment 0
		.amdhsa_system_sgpr_workgroup_id_x 1
		.amdhsa_system_sgpr_workgroup_id_y 1
		.amdhsa_system_sgpr_workgroup_id_z 1
		.amdhsa_system_sgpr_workgroup_info 0
		.amdhsa_system_vgpr_workitem_id 1
		.amdhsa_next_free_vgpr 51
		.amdhsa_next_free_sgpr 28
		.amdhsa_reserve_vcc 1
		.amdhsa_float_round_mode_32 0
		.amdhsa_float_round_mode_16_64 0
		.amdhsa_float_denorm_mode_32 3
		.amdhsa_float_denorm_mode_16_64 3
		.amdhsa_fp16_overflow 0
		.amdhsa_workgroup_processor_mode 1
		.amdhsa_memory_ordered 1
		.amdhsa_forward_progress 1
		.amdhsa_inst_pref_size 23
		.amdhsa_round_robin_scheduling 0
		.amdhsa_exception_fp_ieee_invalid_op 0
		.amdhsa_exception_fp_denorm_src 0
		.amdhsa_exception_fp_ieee_div_zero 0
		.amdhsa_exception_fp_ieee_overflow 0
		.amdhsa_exception_fp_ieee_underflow 0
		.amdhsa_exception_fp_ieee_inexact 0
		.amdhsa_exception_int_div_zero 0
	.end_amdhsa_kernel
	.section	.text._ZL13mul_mat_vec_qIL9ggml_type13ELi3ELb0ELb0EEvPKvS2_PKi31ggml_cuda_mm_fusion_args_devicePfj15HIP_vector_typeIjLj3EEjjjS8_jjjS8_jjjj,"axG",@progbits,_ZL13mul_mat_vec_qIL9ggml_type13ELi3ELb0ELb0EEvPKvS2_PKi31ggml_cuda_mm_fusion_args_devicePfj15HIP_vector_typeIjLj3EEjjjS8_jjjS8_jjjj,comdat
.Lfunc_end138:
	.size	_ZL13mul_mat_vec_qIL9ggml_type13ELi3ELb0ELb0EEvPKvS2_PKi31ggml_cuda_mm_fusion_args_devicePfj15HIP_vector_typeIjLj3EEjjjS8_jjjS8_jjjj, .Lfunc_end138-_ZL13mul_mat_vec_qIL9ggml_type13ELi3ELb0ELb0EEvPKvS2_PKi31ggml_cuda_mm_fusion_args_devicePfj15HIP_vector_typeIjLj3EEjjjS8_jjjS8_jjjj
                                        ; -- End function
	.set _ZL13mul_mat_vec_qIL9ggml_type13ELi3ELb0ELb0EEvPKvS2_PKi31ggml_cuda_mm_fusion_args_devicePfj15HIP_vector_typeIjLj3EEjjjS8_jjjS8_jjjj.num_vgpr, 51
	.set _ZL13mul_mat_vec_qIL9ggml_type13ELi3ELb0ELb0EEvPKvS2_PKi31ggml_cuda_mm_fusion_args_devicePfj15HIP_vector_typeIjLj3EEjjjS8_jjjS8_jjjj.num_agpr, 0
	.set _ZL13mul_mat_vec_qIL9ggml_type13ELi3ELb0ELb0EEvPKvS2_PKi31ggml_cuda_mm_fusion_args_devicePfj15HIP_vector_typeIjLj3EEjjjS8_jjjS8_jjjj.numbered_sgpr, 28
	.set _ZL13mul_mat_vec_qIL9ggml_type13ELi3ELb0ELb0EEvPKvS2_PKi31ggml_cuda_mm_fusion_args_devicePfj15HIP_vector_typeIjLj3EEjjjS8_jjjS8_jjjj.num_named_barrier, 0
	.set _ZL13mul_mat_vec_qIL9ggml_type13ELi3ELb0ELb0EEvPKvS2_PKi31ggml_cuda_mm_fusion_args_devicePfj15HIP_vector_typeIjLj3EEjjjS8_jjjS8_jjjj.private_seg_size, 0
	.set _ZL13mul_mat_vec_qIL9ggml_type13ELi3ELb0ELb0EEvPKvS2_PKi31ggml_cuda_mm_fusion_args_devicePfj15HIP_vector_typeIjLj3EEjjjS8_jjjS8_jjjj.uses_vcc, 1
	.set _ZL13mul_mat_vec_qIL9ggml_type13ELi3ELb0ELb0EEvPKvS2_PKi31ggml_cuda_mm_fusion_args_devicePfj15HIP_vector_typeIjLj3EEjjjS8_jjjS8_jjjj.uses_flat_scratch, 0
	.set _ZL13mul_mat_vec_qIL9ggml_type13ELi3ELb0ELb0EEvPKvS2_PKi31ggml_cuda_mm_fusion_args_devicePfj15HIP_vector_typeIjLj3EEjjjS8_jjjS8_jjjj.has_dyn_sized_stack, 0
	.set _ZL13mul_mat_vec_qIL9ggml_type13ELi3ELb0ELb0EEvPKvS2_PKi31ggml_cuda_mm_fusion_args_devicePfj15HIP_vector_typeIjLj3EEjjjS8_jjjS8_jjjj.has_recursion, 0
	.set _ZL13mul_mat_vec_qIL9ggml_type13ELi3ELb0ELb0EEvPKvS2_PKi31ggml_cuda_mm_fusion_args_devicePfj15HIP_vector_typeIjLj3EEjjjS8_jjjS8_jjjj.has_indirect_call, 0
	.section	.AMDGPU.csdata,"",@progbits
; Kernel info:
; codeLenInByte = 2820
; TotalNumSgprs: 30
; NumVgprs: 51
; ScratchSize: 0
; MemoryBound: 0
; FloatMode: 240
; IeeeMode: 1
; LDSByteSize: 0 bytes/workgroup (compile time only)
; SGPRBlocks: 0
; VGPRBlocks: 6
; NumSGPRsForWavesPerEU: 30
; NumVGPRsForWavesPerEU: 51
; Occupancy: 16
; WaveLimiterHint : 0
; COMPUTE_PGM_RSRC2:SCRATCH_EN: 0
; COMPUTE_PGM_RSRC2:USER_SGPR: 2
; COMPUTE_PGM_RSRC2:TRAP_HANDLER: 0
; COMPUTE_PGM_RSRC2:TGID_X_EN: 1
; COMPUTE_PGM_RSRC2:TGID_Y_EN: 1
; COMPUTE_PGM_RSRC2:TGID_Z_EN: 1
; COMPUTE_PGM_RSRC2:TIDIG_COMP_CNT: 1
	.section	.text._ZL13mul_mat_vec_qIL9ggml_type13ELi4ELb0ELb0EEvPKvS2_PKi31ggml_cuda_mm_fusion_args_devicePfj15HIP_vector_typeIjLj3EEjjjS8_jjjS8_jjjj,"axG",@progbits,_ZL13mul_mat_vec_qIL9ggml_type13ELi4ELb0ELb0EEvPKvS2_PKi31ggml_cuda_mm_fusion_args_devicePfj15HIP_vector_typeIjLj3EEjjjS8_jjjS8_jjjj,comdat
	.globl	_ZL13mul_mat_vec_qIL9ggml_type13ELi4ELb0ELb0EEvPKvS2_PKi31ggml_cuda_mm_fusion_args_devicePfj15HIP_vector_typeIjLj3EEjjjS8_jjjS8_jjjj ; -- Begin function _ZL13mul_mat_vec_qIL9ggml_type13ELi4ELb0ELb0EEvPKvS2_PKi31ggml_cuda_mm_fusion_args_devicePfj15HIP_vector_typeIjLj3EEjjjS8_jjjS8_jjjj
	.p2align	8
	.type	_ZL13mul_mat_vec_qIL9ggml_type13ELi4ELb0ELb0EEvPKvS2_PKi31ggml_cuda_mm_fusion_args_devicePfj15HIP_vector_typeIjLj3EEjjjS8_jjjS8_jjjj,@function
_ZL13mul_mat_vec_qIL9ggml_type13ELi4ELb0ELb0EEvPKvS2_PKi31ggml_cuda_mm_fusion_args_devicePfj15HIP_vector_typeIjLj3EEjjjS8_jjjS8_jjjj: ; @_ZL13mul_mat_vec_qIL9ggml_type13ELi4ELb0ELb0EEvPKvS2_PKi31ggml_cuda_mm_fusion_args_devicePfj15HIP_vector_typeIjLj3EEjjjS8_jjjS8_jjjj
; %bb.0:
	s_clause 0x5
	s_load_b96 s[16:18], s[0:1], 0x80
	s_load_b32 s2, s[0:1], 0x40
	s_load_b128 s[4:7], s[0:1], 0x50
	s_load_b32 s23, s[0:1], 0x60
	s_load_b128 s[8:11], s[0:1], 0x68
	s_load_b32 s24, s[0:1], 0x78
	v_bfe_u32 v10, v0, 10, 10
	v_dual_mov_b32 v8, 0 :: v_dual_and_b32 v7, 0x3ff, v0
	v_mov_b32_e32 v9, 0
	v_mov_b32_e32 v11, 0
	;; [unrolled: 1-line block ×3, first 2 shown]
	s_delay_alu instid0(VALU_DEP_4) | instskip(SKIP_3) | instid1(VALU_DEP_1)
	v_lshl_or_b32 v0, v10, 5, v7
	s_and_b32 s19, ttmp7, 0xffff
	s_lshr_b32 s20, ttmp7, 16
	s_mov_b32 s21, exec_lo
	v_lshrrev_b32_e32 v12, 4, v0
	s_wait_kmcnt 0x0
	s_lshr_b32 s22, s2, 8
	s_delay_alu instid0(VALU_DEP_1) | instid1(SALU_CYCLE_1)
	v_cmpx_gt_u32_e64 s22, v12
	s_cbranch_execz .LBB139_18
; %bb.1:
	s_load_b128 s[12:15], s[0:1], 0x0
	v_lshlrev_b32_e32 v2, 1, v7
	v_lshl_add_u32 v0, v10, 5, v7
	v_bfe_u32 v3, v7, 2, 2
	s_mul_hi_u32 s7, s7, s19
	s_mul_hi_u32 s11, s11, s20
	v_bfe_u32 v9, v2, 3, 2
	v_lshrrev_b32_e32 v4, 4, v0
	v_mul_hi_u32_u24_e32 v1, 0x48, v3
	v_mul_u32_u24_e32 v0, 0x48, v3
	s_mul_i32 s2, s17, s20
	s_mov_b32 s3, 0
	s_add_co_i32 s7, s19, s7
	v_lshlrev_b32_e32 v14, 5, v9
	v_lshlrev_b32_e32 v15, 1, v9
	;; [unrolled: 1-line block ×3, first 2 shown]
	v_mov_b32_e32 v9, 0
	v_dual_mov_b32 v8, 0 :: v_dual_and_b32 v5, 30, v2
	v_mad_co_u64_u32 v[2:3], null, 0x120, v4, v[0:1]
	s_add_co_i32 s11, s20, s11
	s_mul_u64 s[26:27], s[2:3], 36
	s_mul_i32 s2, s9, s19
	s_lshr_b32 s7, s7, s23
	s_lshr_b32 s11, s11, s24
	s_mul_u64 s[24:25], s[2:3], 36
	s_mul_i32 s7, s7, s8
	s_wait_kmcnt 0x0
	s_add_nc_u64 s[8:9], s[14:15], s[26:27]
	v_lshlrev_b32_e32 v6, 3, v12
	s_add_nc_u64 s[8:9], s[8:9], s[24:25]
	v_and_b32_e32 v11, 3, v7
	v_add_co_u32 v2, s2, s8, v2
	s_delay_alu instid0(VALU_DEP_1)
	v_add_co_ci_u32_e64 v3, null, s9, v3, s2
	v_cmp_lt_u32_e32 vcc_lo, 15, v5
	v_mad_co_u64_u32 v[0:1], null, v15, 36, s[8:9]
	v_mad_co_u64_u32 v[4:5], null, s5, 3, v[6:7]
	v_add_co_u32 v2, s2, v2, 36
	s_mul_i32 s4, s4, ttmp9
	v_dual_mov_b32 v13, 0 :: v_dual_lshlrev_b32 v16, 2, v11
	v_add_co_ci_u32_e64 v3, null, 0, v3, s2
	v_lshl_add_u32 v17, s5, 1, v6
	v_add_nc_u32_e32 v18, s5, v6
	v_dual_mov_b32 v11, 0 :: v_dual_lshlrev_b32 v20, 2, v11
	s_mul_i32 s11, s11, s16
	s_wait_alu 0xfffe
	s_add_co_i32 s7, s7, s4
	s_delay_alu instid0(SALU_CYCLE_1)
	s_add_co_i32 s4, s11, s7
	s_branch .LBB139_3
.LBB139_2:                              ;   in Loop: Header=BB139_3 Depth=1
	s_wait_alu 0xfffe
	s_or_b32 exec_lo, exec_lo, s2
	s_wait_loadcnt 0x19
	v_ashrrev_i32_e32 v5, v15, v42
	v_ashrrev_i32_e32 v6, v15, v41
	v_lshrrev_b32_e32 v41, 4, v40
	v_and_b32_e32 v40, 0xf0f0f0f, v40
	v_and_b32_e32 v42, 0xf0f0f0f, v39
	v_lshlrev_b32_e32 v44, 4, v5
	v_lshlrev_b32_e32 v5, 3, v5
	v_and_b32_e32 v41, 0xf0f0f0f, v41
	v_lshlrev_b32_e32 v57, 4, v6
	v_lshrrev_b32_e32 v39, 4, v39
	v_and_or_b32 v40, 0x10101010, v44, v40
	s_wait_loadcnt 0x9
	v_dot4_i32_iu8 v44, 0x1010101, v55, 0 neg_lo:[1,1,0]
	v_and_or_b32 v5, 0x10101010, v5, v41
	v_and_or_b32 v41, 0x10101010, v57, v42
	v_and_b32_e32 v39, 0xf0f0f0f, v39
	v_dot4_i32_iu8 v42, v40, v55, 0 neg_lo:[1,1,0]
	v_lshlrev_b32_e32 v6, 3, v6
	v_and_b32_e32 v55, 0xff, v49
	v_dot4_i32_iu8 v44, 0x1010101, v52, v44 neg_lo:[1,1,0]
	v_lshrrev_b16 v49, 8, v49
	v_dot4_i32_iu8 v42, v41, v52, v42 neg_lo:[1,1,0]
	v_and_b32_e32 v52, 0xff, v47
	v_and_or_b32 v6, 0x10101010, v6, v39
	s_wait_loadcnt 0x7
	v_dot4_i32_iu8 v39, v5, v53, 0 neg_lo:[1,1,0]
	v_and_b32_e32 v55, 0xffff, v55
	v_dot4_i32_iu8 v53, 0x1010101, v53, 0 neg_lo:[1,1,0]
	v_and_b32_e32 v52, 0xffff, v52
	v_lshrrev_b16 v47, 8, v47
	v_dot4_i32_iu8 v39, v6, v51, v39 neg_lo:[1,1,0]
	v_mul_lo_u32 v44, v44, v55
	v_dot4_i32_iu8 v51, 0x1010101, v51, v53 neg_lo:[1,1,0]
	v_and_b32_e32 v49, 0xffff, v49
	v_mul_lo_u32 v42, v42, v52
	v_and_b32_e32 v47, 0xffff, v47
	v_add_nc_u32_e32 v12, 2, v12
	v_add_co_u32 v2, s2, 0x240, v2
	v_mul_lo_u32 v49, v51, v49
	s_delay_alu instid0(VALU_DEP_4)
	v_mul_lo_u32 v39, v39, v47
	v_cvt_f32_i32_e32 v44, v44
	v_cvt_f32_i32_e32 v42, v42
	v_dot4_i32_iu8 v51, v5, v32, 0 neg_lo:[1,1,0]
	v_dot4_i32_iu8 v32, 0x1010101, v32, 0 neg_lo:[1,1,0]
	v_lshrrev_b32_e32 v47, 16, v21
	v_fma_mix_f32 v44, v46, v44, 0 op_sel_hi:[1,0,0]
	v_cvt_f32_i32_e32 v49, v49
	v_fma_mix_f32 v42, v46, v42, 0 op_sel_hi:[1,0,0]
	v_cvt_f32_i32_e32 v39, v39
	v_cvt_f32_f16_e32 v46, v47
	s_wait_loadcnt 0x3
	v_dot4_i32_iu8 v47, 0x1010101, v56, 0 neg_lo:[1,1,0]
	v_fma_mix_f32 v44, v48, v49, v44 op_sel_hi:[1,0,0]
	v_and_b32_e32 v49, 0xff, v36
	v_fma_mix_f32 v39, v48, v39, v42 op_sel_hi:[1,0,0]
	v_dot4_i32_iu8 v48, v40, v38, 0 neg_lo:[1,1,0]
	v_dot4_i32_iu8 v38, 0x1010101, v38, 0 neg_lo:[1,1,0]
	v_lshrrev_b16 v36, 8, v36
	v_and_b32_e32 v49, 0xffff, v49
	v_dot4_i32_iu8 v42, v40, v56, 0 neg_lo:[1,1,0]
	v_dot4_i32_iu8 v48, v41, v35, v48 neg_lo:[1,1,0]
	;; [unrolled: 1-line block ×3, first 2 shown]
	v_and_b32_e32 v38, 0xff, v37
	v_lshrrev_b16 v37, 8, v37
	v_dot4_i32_iu8 v47, 0x1010101, v54, v47 neg_lo:[1,1,0]
	v_mul_lo_u32 v48, v48, v49
	v_dot4_i32_iu8 v49, v6, v31, v51 neg_lo:[1,1,0]
	v_and_b32_e32 v38, 0xffff, v38
	v_dot4_i32_iu8 v31, 0x1010101, v31, v32 neg_lo:[1,1,0]
	v_dot4_i32_iu8 v42, v41, v54, v42 neg_lo:[1,1,0]
	v_mul_f32_e32 v44, v44, v46
	s_wait_alu 0xf1ff
	v_add_co_ci_u32_e64 v3, null, 0, v3, s2
	v_mul_lo_u32 v32, v35, v38
	v_and_b32_e32 v35, 0xffff, v36
	v_and_b32_e32 v36, 0xffff, v37
	s_wait_loadcnt 0x1
	v_dot4_i32_iu8 v37, v5, v50, 0 neg_lo:[1,1,0]
	v_dot4_i32_iu8 v38, 0x1010101, v50, 0 neg_lo:[1,1,0]
	v_cvt_f32_i32_e32 v48, v48
	v_mul_lo_u32 v35, v49, v35
	v_mul_lo_u32 v31, v31, v36
	v_cvt_f32_i32_e32 v32, v32
	v_dot4_i32_iu8 v36, v6, v45, v37 neg_lo:[1,1,0]
	v_dot4_i32_iu8 v37, 0x1010101, v45, v38 neg_lo:[1,1,0]
	;; [unrolled: 1-line block ×3, first 2 shown]
	v_fma_mix_f32 v40, v30, v48, 0 op_sel_hi:[1,0,0]
	v_fma_mix_f32 v30, v30, v32, 0 op_sel_hi:[1,0,0]
	v_cvt_f32_i32_e32 v32, v35
	v_cvt_f32_i32_e32 v31, v31
	v_dot4_i32_iu8 v28, 0x1010101, v28, 0 neg_lo:[1,1,0]
	v_dot4_i32_iu8 v5, v5, v27, 0 neg_lo:[1,1,0]
	;; [unrolled: 1-line block ×3, first 2 shown]
	v_fma_mix_f32 v32, v29, v32, v40 op_sel_hi:[1,0,0]
	v_fma_mix_f32 v29, v29, v31, v30 op_sel_hi:[1,0,0]
	v_dot4_i32_iu8 v26, 0x1010101, v26, v28 neg_lo:[1,1,0]
	v_dot4_i32_iu8 v27, 0x1010101, v27, 0 neg_lo:[1,1,0]
	v_lshrrev_b16 v30, 8, v25
	v_dot4_i32_iu8 v5, v6, v24, v5 neg_lo:[1,1,0]
	v_and_b32_e32 v6, 0xff, v25
	v_and_b32_e32 v31, 0xff00ff, v43
	v_bfe_u32 v38, v25, 16, 8
	v_dot4_i32_iu8 v24, 0x1010101, v24, v27 neg_lo:[1,1,0]
	v_and_b32_e32 v27, 0xffff, v30
	v_mul_lo_u32 v6, v26, v6
	v_lshrrev_b32_e32 v26, 16, v31
	v_pk_lshrrev_b16 v30, 8, v43 op_sel_hi:[0,1]
	v_mul_lo_u32 v28, v35, v38
	v_and_b32_e32 v31, 0xff, v31
	v_lshrrev_b32_e32 v25, 24, v25
	v_mul_lo_u32 v26, v47, v26
	v_lshrrev_b32_e32 v35, 16, v30
	v_cvt_f32_i32_e32 v6, v6
	v_mul_lo_u32 v24, v24, v27
	v_mul_lo_u32 v27, v42, v31
	v_cvt_f32_i32_e32 v28, v28
	v_and_b32_e32 v30, 0xff, v30
	v_mul_lo_u32 v31, v37, v35
	v_mul_lo_u32 v5, v5, v25
	v_cvt_f32_i32_e32 v25, v26
	v_fma_mix_f32 v28, v23, v28, 0 op_sel_hi:[1,0,0]
	v_fma_mix_f32 v6, v23, v6, 0 op_sel_hi:[1,0,0]
	v_mul_lo_u32 v23, v36, v30
	v_cvt_f32_i32_e32 v24, v24
	v_cvt_f32_i32_e32 v26, v27
	v_fma_mix_f32 v25, v33, v25, 0 op_sel_hi:[1,0,0]
	v_cvt_f32_i32_e32 v27, v31
	v_cvt_f32_i32_e32 v5, v5
	v_fma_mix_f32 v6, v22, v24, v6 op_sel_hi:[1,0,0]
	v_fma_mix_f32 v24, v33, v26, 0 op_sel_hi:[1,0,0]
	v_cvt_f32_i32_e32 v23, v23
	s_wait_loadcnt 0x0
	v_fma_mix_f32 v25, v34, v27, v25 op_sel_hi:[1,0,0]
	v_mul_f32_e32 v26, v29, v46
	v_fma_mix_f32 v5, v22, v5, v28 op_sel_hi:[1,0,0]
	v_mul_f32_e32 v6, v6, v46
	;; [unrolled: 2-line block ×3, first 2 shown]
	v_fma_mix_f32 v24, v39, v21, -v44 op_sel_hi:[0,1,0]
	v_fma_mix_f32 v25, v32, v21, -v26 op_sel_hi:[0,1,0]
	;; [unrolled: 1-line block ×3, first 2 shown]
	v_cmp_le_u32_e64 s2, s22, v12
	v_fma_mix_f32 v6, v22, v21, -v23 op_sel_hi:[0,1,0]
	v_add_f32_e32 v9, v9, v24
	v_add_f32_e32 v11, v11, v25
	v_add_f32_e32 v13, v13, v5
	s_delay_alu instid0(VALU_DEP_4)
	v_dual_add_f32 v8, v8, v6 :: v_dual_add_nc_u32 v17, 16, v17
	v_add_nc_u32_e32 v4, 16, v4
	v_add_nc_u32_e32 v18, 16, v18
	s_or_b32 s3, s2, s3
	s_wait_alu 0xfffe
	s_and_not1_b32 exec_lo, exec_lo, s3
	s_cbranch_execz .LBB139_17
.LBB139_3:                              ; =>This Inner Loop Header: Depth=1
	s_wait_alu 0xfffe
	v_add_nc_u32_e32 v5, s4, v12
                                        ; implicit-def: $vgpr44
                                        ; implicit-def: $vgpr25
	s_delay_alu instid0(VALU_DEP_1) | instskip(NEXT) | instid1(VALU_DEP_1)
	v_mad_co_i64_i32 v[5:6], null, 0xb0, v5, s[12:13]
	v_add_co_u32 v23, s2, v5, v14
	s_wait_alu 0xf1ff
	s_delay_alu instid0(VALU_DEP_2)
	v_add_co_ci_u32_e64 v24, null, 0, v6, s2
	v_add_co_u32 v21, s2, v5, v16
	s_wait_alu 0xf1ff
	v_add_co_ci_u32_e64 v22, null, 0, v6, s2
	v_add_co_u32 v23, s2, v23, v16
	s_wait_alu 0xf1ff
	;; [unrolled: 3-line block ×3, first 2 shown]
	v_add_co_ci_u32_e64 v30, null, 0, v3, s2
	s_clause 0x4
	global_load_b32 v39, v[23:24], off offset:48
	global_load_b32 v40, v[23:24], off offset:64
	;; [unrolled: 1-line block ×4, first 2 shown]
	global_load_b32 v21, v[5:6], off
	s_clause 0x5
	global_load_b32 v23, v[2:3], off offset:-36
	global_load_b32 v26, v[29:30], off offset:-32
	;; [unrolled: 1-line block ×3, first 2 shown]
	global_load_b32 v22, v[2:3], off
	global_load_b32 v24, v[29:30], off offset:4
	global_load_b32 v27, v[29:30], off offset:20
	v_add_co_u32 v5, s2, v5, v19
	s_wait_alu 0xf1ff
	v_add_co_ci_u32_e64 v6, null, 0, v6, s2
	s_and_saveexec_b32 s2, vcc_lo
	s_wait_alu 0xfffe
	s_xor_b32 s2, exec_lo, s2
	s_cbranch_execz .LBB139_5
; %bb.4:                                ;   in Loop: Header=BB139_3 Depth=1
	s_clause 0x1
	global_load_u16 v25, v[5:6], off offset:8
	global_load_u16 v29, v[5:6], off offset:4
	s_wait_loadcnt 0x1
	v_mov_b32_e32 v30, v25
	s_wait_loadcnt 0x0
	v_perm_b32 v44, v25, v29, 0x5040100
	s_delay_alu instid0(VALU_DEP_1) | instskip(NEXT) | instid1(VALU_DEP_1)
	v_pk_lshrrev_b16 v25, 2, v44
	v_and_b32_e32 v25, 0xf0f3030, v25
	global_load_d16_hi_b16 v30, v[5:6], off
	s_wait_loadcnt 0x0
	v_pk_lshrrev_b16 v29, 0x20004, v30
	s_delay_alu instid0(VALU_DEP_1)
	v_and_or_b32 v25, 0x30300f0f, v29, v25
.LBB139_5:                              ;   in Loop: Header=BB139_3 Depth=1
	s_wait_alu 0xfffe
	s_and_not1_saveexec_b32 s2, s2
	s_cbranch_execz .LBB139_7
; %bb.6:                                ;   in Loop: Header=BB139_3 Depth=1
	s_clause 0x1
	global_load_u16 v29, v[5:6], off offset:4
	global_load_u16 v30, v[5:6], off offset:8
	s_wait_loadcnt 0x0
	v_perm_b32 v25, v29, v30, 0x5040100
	v_perm_b32 v44, v30, v29, 0x5040100
	s_delay_alu instid0(VALU_DEP_2)
	v_and_b32_e32 v25, 0x3f3f3f3f, v25
.LBB139_7:                              ;   in Loop: Header=BB139_3 Depth=1
	s_wait_alu 0xfffe
	s_or_b32 exec_lo, exec_lo, s2
	v_mad_co_u64_u32 v[33:34], null, v18, 36, v[0:1]
	v_lshrrev_b32_e32 v45, 16, v44
	v_lshrrev_b16 v43, 2, v44
	s_delay_alu instid0(VALU_DEP_3) | instskip(SKIP_1) | instid1(VALU_DEP_4)
	v_add_co_u32 v36, s2, v33, v20
	s_wait_alu 0xf1ff
	v_add_co_ci_u32_e64 v37, null, 0, v34, s2
	s_clause 0x5
	global_load_b32 v30, v[33:34], off
	global_load_b32 v35, v[36:37], off offset:4
	global_load_b32 v38, v[36:37], off offset:20
	;; [unrolled: 1-line block ×5, first 2 shown]
	v_lshrrev_b32_e32 v34, 20, v44
	v_and_b32_e32 v33, 0xf0f, v45
                                        ; implicit-def: $vgpr36
                                        ; implicit-def: $vgpr37
	s_delay_alu instid0(VALU_DEP_2)
	v_and_b32_e32 v34, 0xf0f, v34
	s_and_saveexec_b32 s2, vcc_lo
	s_wait_alu 0xfffe
	s_xor_b32 s2, exec_lo, s2
	s_cbranch_execz .LBB139_9
; %bb.8:                                ;   in Loop: Header=BB139_3 Depth=1
	global_load_u16 v36, v[5:6], off
	v_and_b32_e32 v37, 0x3030, v43
	s_delay_alu instid0(VALU_DEP_1) | instskip(SKIP_2) | instid1(VALU_DEP_1)
	v_or_b32_e32 v37, v37, v34
	s_wait_loadcnt 0x0
	v_lshrrev_b16 v36, 2, v36
	v_and_b32_e32 v36, 0x3030, v36
	s_delay_alu instid0(VALU_DEP_1)
	v_or_b32_e32 v36, v36, v33
.LBB139_9:                              ;   in Loop: Header=BB139_3 Depth=1
	s_wait_alu 0xfffe
	s_or_saveexec_b32 s2, s2
	v_and_b32_e32 v47, 0x3f3f, v44
	v_and_b32_e32 v49, 0x3f3f, v45
	s_wait_alu 0xfffe
	s_xor_b32 exec_lo, exec_lo, s2
; %bb.10:                               ;   in Loop: Header=BB139_3 Depth=1
	v_and_b32_e32 v36, 0x3f3f, v44
	v_and_b32_e32 v37, 0x3f3f, v45
; %bb.11:                               ;   in Loop: Header=BB139_3 Depth=1
	s_or_b32 exec_lo, exec_lo, s2
	v_mad_co_u64_u32 v[56:57], null, v17, 36, v[0:1]
	s_delay_alu instid0(VALU_DEP_1) | instskip(SKIP_1) | instid1(VALU_DEP_2)
	v_add_co_u32 v53, s2, v56, v20
	s_wait_alu 0xf1ff
	v_add_co_ci_u32_e64 v54, null, 0, v57, s2
	s_clause 0x5
	global_load_b32 v46, v[56:57], off
	global_load_b32 v52, v[53:54], off offset:4
	global_load_b32 v55, v[53:54], off offset:20
	;; [unrolled: 1-line block ×5, first 2 shown]
	s_and_saveexec_b32 s2, vcc_lo
	s_wait_alu 0xfffe
	s_xor_b32 s2, exec_lo, s2
	s_cbranch_execz .LBB139_13
; %bb.12:                               ;   in Loop: Header=BB139_3 Depth=1
	global_load_u16 v45, v[5:6], off
	v_and_b32_e32 v43, 0x3030, v43
	s_delay_alu instid0(VALU_DEP_1) | instskip(SKIP_2) | instid1(VALU_DEP_1)
	v_or_b32_e32 v49, v43, v34
	s_wait_loadcnt 0x0
	v_lshrrev_b16 v45, 2, v45
	v_and_b32_e32 v45, 0x3030, v45
	s_delay_alu instid0(VALU_DEP_1)
	v_or_b32_e32 v47, v45, v33
.LBB139_13:                             ;   in Loop: Header=BB139_3 Depth=1
	s_wait_alu 0xfffe
	s_and_not1_saveexec_b32 s2, s2
	s_wait_alu 0xfffe
	s_or_b32 exec_lo, exec_lo, s2
	v_mad_co_u64_u32 v[57:58], null, v4, 36, v[0:1]
                                        ; implicit-def: $vgpr43
	s_delay_alu instid0(VALU_DEP_1) | instskip(SKIP_1) | instid1(VALU_DEP_2)
	v_add_co_u32 v59, s2, v57, v20
	s_wait_alu 0xf1ff
	v_add_co_ci_u32_e64 v60, null, 0, v58, s2
	s_clause 0x5
	global_load_b32 v33, v[57:58], off
	global_load_b32 v54, v[59:60], off offset:4
	global_load_b32 v56, v[59:60], off offset:20
	;; [unrolled: 1-line block ×5, first 2 shown]
	s_and_saveexec_b32 s2, vcc_lo
	s_wait_alu 0xfffe
	s_xor_b32 s2, exec_lo, s2
	s_cbranch_execz .LBB139_15
; %bb.14:                               ;   in Loop: Header=BB139_3 Depth=1
	global_load_u16 v5, v[5:6], off
	v_pk_lshrrev_b16 v6, 4, v44 op_sel:[1,1] op_sel_hi:[0,1]
	s_delay_alu instid0(VALU_DEP_1) | instskip(SKIP_2) | instid1(VALU_DEP_1)
	v_and_b32_e32 v6, 0xf0f0f0f, v6
	s_wait_loadcnt 0x0
	v_perm_b32 v5, v44, v5, 0x5040100
                                        ; implicit-def: $vgpr44
	v_pk_lshrrev_b16 v5, 2, v5 op_sel_hi:[0,1]
	s_delay_alu instid0(VALU_DEP_1)
	v_and_or_b32 v43, 0x30303030, v5, v6
.LBB139_15:                             ;   in Loop: Header=BB139_3 Depth=1
	s_wait_alu 0xfffe
	s_and_not1_saveexec_b32 s2, s2
	s_cbranch_execz .LBB139_2
; %bb.16:                               ;   in Loop: Header=BB139_3 Depth=1
	v_and_b32_e32 v43, 0x3f3f3f3f, v44
	s_branch .LBB139_2
.LBB139_17:
	s_or_b32 exec_lo, exec_lo, s3
.LBB139_18:
	s_delay_alu instid0(SALU_CYCLE_1)
	s_or_b32 exec_lo, exec_lo, s21
	s_mov_b32 s3, 0
	; wave barrier
	global_inv scope:SCOPE_SE
	s_mov_b32 s2, exec_lo
	v_cmpx_eq_u32_e32 0, v10
	s_cbranch_execz .LBB139_27
; %bb.19:
	v_mbcnt_lo_u32_b32 v4, -1, 0
	s_load_b64 s[0:1], s[0:1], 0x38
	s_mul_i32 s2, s10, s19
	s_mul_i32 s4, s18, s20
	s_wait_alu 0xfffe
	s_add_co_i32 s2, s2, ttmp9
	v_xor_b32_e32 v0, 16, v4
	v_xor_b32_e32 v1, 8, v4
	;; [unrolled: 1-line block ×3, first 2 shown]
	s_wait_alu 0xfffe
	s_add_co_i32 s2, s2, s4
	s_wait_alu 0xfffe
	s_lshl_b64 s[2:3], s[2:3], 2
	v_cmp_gt_i32_e32 vcc_lo, 32, v0
	v_cndmask_b32_e32 v0, v4, v0, vcc_lo
	v_cmp_gt_i32_e32 vcc_lo, 32, v1
	s_wait_kmcnt 0x0
	s_wait_alu 0xfffe
	s_add_nc_u64 s[0:1], s[0:1], s[2:3]
	s_wait_alu 0xfffd
	v_cndmask_b32_e32 v1, v4, v1, vcc_lo
	s_delay_alu instid0(VALU_DEP_1)
	v_lshlrev_b32_e32 v1, 2, v1
	v_lshlrev_b32_e32 v0, 2, v0
	ds_bpermute_b32 v2, v0, v13
	s_wait_dscnt 0x0
	v_add_f32_e32 v3, v13, v2
	v_xor_b32_e32 v2, 4, v4
	ds_bpermute_b32 v5, v1, v3
	v_cmp_gt_i32_e32 vcc_lo, 32, v2
	s_wait_dscnt 0x0
	s_wait_alu 0xfffd
	v_dual_cndmask_b32 v2, v4, v2 :: v_dual_add_f32 v5, v3, v5
	s_delay_alu instid0(VALU_DEP_1)
	v_lshlrev_b32_e32 v2, 2, v2
	v_xor_b32_e32 v3, 2, v4
	ds_bpermute_b32 v6, v2, v5
	v_cmp_gt_i32_e32 vcc_lo, 32, v3
	s_wait_alu 0xfffd
	v_cndmask_b32_e32 v3, v4, v3, vcc_lo
	v_cmp_gt_i32_e32 vcc_lo, 32, v10
	s_wait_alu 0xfffd
	v_cndmask_b32_e32 v4, v4, v10, vcc_lo
	v_cmp_eq_u32_e32 vcc_lo, 0, v7
	s_delay_alu instid0(VALU_DEP_2)
	v_lshlrev_b32_e32 v4, 2, v4
	v_lshlrev_b32_e32 v3, 2, v3
	s_wait_dscnt 0x0
	v_add_f32_e32 v5, v5, v6
	ds_bpermute_b32 v6, v3, v5
	s_wait_dscnt 0x0
	v_add_f32_e32 v5, v5, v6
	ds_bpermute_b32 v6, v4, v5
	s_and_saveexec_b32 s2, vcc_lo
	s_cbranch_execz .LBB139_21
; %bb.20:
	s_wait_dscnt 0x0
	v_dual_add_f32 v5, v5, v6 :: v_dual_mov_b32 v6, 0
	global_store_b32 v6, v5, s[0:1]
.LBB139_21:
	s_wait_alu 0xfffe
	s_or_b32 exec_lo, exec_lo, s2
	ds_bpermute_b32 v5, v0, v11
	s_wait_dscnt 0x0
	v_add_f32_e32 v5, v11, v5
	ds_bpermute_b32 v6, v1, v5
	s_wait_dscnt 0x0
	v_add_f32_e32 v5, v5, v6
	;; [unrolled: 3-line block ×4, first 2 shown]
	ds_bpermute_b32 v6, v4, v5
	s_and_saveexec_b32 s2, vcc_lo
	s_cbranch_execz .LBB139_23
; %bb.22:
	s_mov_b32 s7, 0
	s_wait_dscnt 0x0
	v_dual_add_f32 v5, v5, v6 :: v_dual_mov_b32 v6, 0
	s_lshl_b64 s[4:5], s[6:7], 2
	s_wait_alu 0xfffe
	s_add_nc_u64 s[4:5], s[0:1], s[4:5]
	global_store_b32 v6, v5, s[4:5]
.LBB139_23:
	s_wait_alu 0xfffe
	s_or_b32 exec_lo, exec_lo, s2
	ds_bpermute_b32 v5, v0, v9
	s_wait_dscnt 0x0
	v_add_f32_e32 v5, v9, v5
	ds_bpermute_b32 v6, v1, v5
	s_wait_dscnt 0x0
	v_add_f32_e32 v5, v5, v6
	;; [unrolled: 3-line block ×4, first 2 shown]
	ds_bpermute_b32 v6, v4, v5
	s_and_saveexec_b32 s2, vcc_lo
	s_cbranch_execz .LBB139_25
; %bb.24:
	s_lshl_b32 s4, s6, 1
	s_mov_b32 s5, 0
	s_wait_dscnt 0x0
	v_dual_add_f32 v5, v5, v6 :: v_dual_mov_b32 v6, 0
	s_wait_alu 0xfffe
	s_lshl_b64 s[4:5], s[4:5], 2
	s_wait_alu 0xfffe
	s_add_nc_u64 s[4:5], s[0:1], s[4:5]
	global_store_b32 v6, v5, s[4:5]
.LBB139_25:
	s_wait_alu 0xfffe
	s_or_b32 exec_lo, exec_lo, s2
	ds_bpermute_b32 v0, v0, v8
	s_wait_dscnt 0x0
	v_add_f32_e32 v0, v8, v0
	ds_bpermute_b32 v1, v1, v0
	s_wait_dscnt 0x0
	v_add_f32_e32 v0, v0, v1
	;; [unrolled: 3-line block ×4, first 2 shown]
	ds_bpermute_b32 v1, v4, v0
	s_and_b32 exec_lo, exec_lo, vcc_lo
	s_cbranch_execz .LBB139_27
; %bb.26:
	s_mul_i32 s2, s6, 3
	s_mov_b32 s3, 0
	s_wait_dscnt 0x0
	v_dual_add_f32 v0, v0, v1 :: v_dual_mov_b32 v1, 0
	s_wait_alu 0xfffe
	s_lshl_b64 s[2:3], s[2:3], 2
	s_wait_alu 0xfffe
	s_add_nc_u64 s[0:1], s[0:1], s[2:3]
	global_store_b32 v1, v0, s[0:1]
.LBB139_27:
	s_endpgm
	.section	.rodata,"a",@progbits
	.p2align	6, 0x0
	.amdhsa_kernel _ZL13mul_mat_vec_qIL9ggml_type13ELi4ELb0ELb0EEvPKvS2_PKi31ggml_cuda_mm_fusion_args_devicePfj15HIP_vector_typeIjLj3EEjjjS8_jjjS8_jjjj
		.amdhsa_group_segment_fixed_size 0
		.amdhsa_private_segment_fixed_size 0
		.amdhsa_kernarg_size 144
		.amdhsa_user_sgpr_count 2
		.amdhsa_user_sgpr_dispatch_ptr 0
		.amdhsa_user_sgpr_queue_ptr 0
		.amdhsa_user_sgpr_kernarg_segment_ptr 1
		.amdhsa_user_sgpr_dispatch_id 0
		.amdhsa_user_sgpr_private_segment_size 0
		.amdhsa_wavefront_size32 1
		.amdhsa_uses_dynamic_stack 0
		.amdhsa_enable_private_segment 0
		.amdhsa_system_sgpr_workgroup_id_x 1
		.amdhsa_system_sgpr_workgroup_id_y 1
		.amdhsa_system_sgpr_workgroup_id_z 1
		.amdhsa_system_sgpr_workgroup_info 0
		.amdhsa_system_vgpr_workitem_id 1
		.amdhsa_next_free_vgpr 61
		.amdhsa_next_free_sgpr 28
		.amdhsa_reserve_vcc 1
		.amdhsa_float_round_mode_32 0
		.amdhsa_float_round_mode_16_64 0
		.amdhsa_float_denorm_mode_32 3
		.amdhsa_float_denorm_mode_16_64 3
		.amdhsa_fp16_overflow 0
		.amdhsa_workgroup_processor_mode 1
		.amdhsa_memory_ordered 1
		.amdhsa_forward_progress 1
		.amdhsa_inst_pref_size 27
		.amdhsa_round_robin_scheduling 0
		.amdhsa_exception_fp_ieee_invalid_op 0
		.amdhsa_exception_fp_denorm_src 0
		.amdhsa_exception_fp_ieee_div_zero 0
		.amdhsa_exception_fp_ieee_overflow 0
		.amdhsa_exception_fp_ieee_underflow 0
		.amdhsa_exception_fp_ieee_inexact 0
		.amdhsa_exception_int_div_zero 0
	.end_amdhsa_kernel
	.section	.text._ZL13mul_mat_vec_qIL9ggml_type13ELi4ELb0ELb0EEvPKvS2_PKi31ggml_cuda_mm_fusion_args_devicePfj15HIP_vector_typeIjLj3EEjjjS8_jjjS8_jjjj,"axG",@progbits,_ZL13mul_mat_vec_qIL9ggml_type13ELi4ELb0ELb0EEvPKvS2_PKi31ggml_cuda_mm_fusion_args_devicePfj15HIP_vector_typeIjLj3EEjjjS8_jjjS8_jjjj,comdat
.Lfunc_end139:
	.size	_ZL13mul_mat_vec_qIL9ggml_type13ELi4ELb0ELb0EEvPKvS2_PKi31ggml_cuda_mm_fusion_args_devicePfj15HIP_vector_typeIjLj3EEjjjS8_jjjS8_jjjj, .Lfunc_end139-_ZL13mul_mat_vec_qIL9ggml_type13ELi4ELb0ELb0EEvPKvS2_PKi31ggml_cuda_mm_fusion_args_devicePfj15HIP_vector_typeIjLj3EEjjjS8_jjjS8_jjjj
                                        ; -- End function
	.set _ZL13mul_mat_vec_qIL9ggml_type13ELi4ELb0ELb0EEvPKvS2_PKi31ggml_cuda_mm_fusion_args_devicePfj15HIP_vector_typeIjLj3EEjjjS8_jjjS8_jjjj.num_vgpr, 61
	.set _ZL13mul_mat_vec_qIL9ggml_type13ELi4ELb0ELb0EEvPKvS2_PKi31ggml_cuda_mm_fusion_args_devicePfj15HIP_vector_typeIjLj3EEjjjS8_jjjS8_jjjj.num_agpr, 0
	.set _ZL13mul_mat_vec_qIL9ggml_type13ELi4ELb0ELb0EEvPKvS2_PKi31ggml_cuda_mm_fusion_args_devicePfj15HIP_vector_typeIjLj3EEjjjS8_jjjS8_jjjj.numbered_sgpr, 28
	.set _ZL13mul_mat_vec_qIL9ggml_type13ELi4ELb0ELb0EEvPKvS2_PKi31ggml_cuda_mm_fusion_args_devicePfj15HIP_vector_typeIjLj3EEjjjS8_jjjS8_jjjj.num_named_barrier, 0
	.set _ZL13mul_mat_vec_qIL9ggml_type13ELi4ELb0ELb0EEvPKvS2_PKi31ggml_cuda_mm_fusion_args_devicePfj15HIP_vector_typeIjLj3EEjjjS8_jjjS8_jjjj.private_seg_size, 0
	.set _ZL13mul_mat_vec_qIL9ggml_type13ELi4ELb0ELb0EEvPKvS2_PKi31ggml_cuda_mm_fusion_args_devicePfj15HIP_vector_typeIjLj3EEjjjS8_jjjS8_jjjj.uses_vcc, 1
	.set _ZL13mul_mat_vec_qIL9ggml_type13ELi4ELb0ELb0EEvPKvS2_PKi31ggml_cuda_mm_fusion_args_devicePfj15HIP_vector_typeIjLj3EEjjjS8_jjjS8_jjjj.uses_flat_scratch, 0
	.set _ZL13mul_mat_vec_qIL9ggml_type13ELi4ELb0ELb0EEvPKvS2_PKi31ggml_cuda_mm_fusion_args_devicePfj15HIP_vector_typeIjLj3EEjjjS8_jjjS8_jjjj.has_dyn_sized_stack, 0
	.set _ZL13mul_mat_vec_qIL9ggml_type13ELi4ELb0ELb0EEvPKvS2_PKi31ggml_cuda_mm_fusion_args_devicePfj15HIP_vector_typeIjLj3EEjjjS8_jjjS8_jjjj.has_recursion, 0
	.set _ZL13mul_mat_vec_qIL9ggml_type13ELi4ELb0ELb0EEvPKvS2_PKi31ggml_cuda_mm_fusion_args_devicePfj15HIP_vector_typeIjLj3EEjjjS8_jjjS8_jjjj.has_indirect_call, 0
	.section	.AMDGPU.csdata,"",@progbits
; Kernel info:
; codeLenInByte = 3436
; TotalNumSgprs: 30
; NumVgprs: 61
; ScratchSize: 0
; MemoryBound: 0
; FloatMode: 240
; IeeeMode: 1
; LDSByteSize: 0 bytes/workgroup (compile time only)
; SGPRBlocks: 0
; VGPRBlocks: 7
; NumSGPRsForWavesPerEU: 30
; NumVGPRsForWavesPerEU: 61
; Occupancy: 16
; WaveLimiterHint : 0
; COMPUTE_PGM_RSRC2:SCRATCH_EN: 0
; COMPUTE_PGM_RSRC2:USER_SGPR: 2
; COMPUTE_PGM_RSRC2:TRAP_HANDLER: 0
; COMPUTE_PGM_RSRC2:TGID_X_EN: 1
; COMPUTE_PGM_RSRC2:TGID_Y_EN: 1
; COMPUTE_PGM_RSRC2:TGID_Z_EN: 1
; COMPUTE_PGM_RSRC2:TIDIG_COMP_CNT: 1
	.section	.text._ZL13mul_mat_vec_qIL9ggml_type13ELi5ELb0ELb0EEvPKvS2_PKi31ggml_cuda_mm_fusion_args_devicePfj15HIP_vector_typeIjLj3EEjjjS8_jjjS8_jjjj,"axG",@progbits,_ZL13mul_mat_vec_qIL9ggml_type13ELi5ELb0ELb0EEvPKvS2_PKi31ggml_cuda_mm_fusion_args_devicePfj15HIP_vector_typeIjLj3EEjjjS8_jjjS8_jjjj,comdat
	.globl	_ZL13mul_mat_vec_qIL9ggml_type13ELi5ELb0ELb0EEvPKvS2_PKi31ggml_cuda_mm_fusion_args_devicePfj15HIP_vector_typeIjLj3EEjjjS8_jjjS8_jjjj ; -- Begin function _ZL13mul_mat_vec_qIL9ggml_type13ELi5ELb0ELb0EEvPKvS2_PKi31ggml_cuda_mm_fusion_args_devicePfj15HIP_vector_typeIjLj3EEjjjS8_jjjS8_jjjj
	.p2align	8
	.type	_ZL13mul_mat_vec_qIL9ggml_type13ELi5ELb0ELb0EEvPKvS2_PKi31ggml_cuda_mm_fusion_args_devicePfj15HIP_vector_typeIjLj3EEjjjS8_jjjS8_jjjj,@function
_ZL13mul_mat_vec_qIL9ggml_type13ELi5ELb0ELb0EEvPKvS2_PKi31ggml_cuda_mm_fusion_args_devicePfj15HIP_vector_typeIjLj3EEjjjS8_jjjS8_jjjj: ; @_ZL13mul_mat_vec_qIL9ggml_type13ELi5ELb0ELb0EEvPKvS2_PKi31ggml_cuda_mm_fusion_args_devicePfj15HIP_vector_typeIjLj3EEjjjS8_jjjS8_jjjj
; %bb.0:
	s_clause 0x5
	s_load_b96 s[16:18], s[0:1], 0x80
	s_load_b32 s2, s[0:1], 0x40
	s_load_b128 s[4:7], s[0:1], 0x50
	s_load_b32 s23, s[0:1], 0x60
	s_load_b128 s[8:11], s[0:1], 0x68
	s_load_b32 s24, s[0:1], 0x78
	v_bfe_u32 v11, v0, 10, 10
	v_dual_mov_b32 v7, 0 :: v_dual_and_b32 v8, 0x3ff, v0
	v_dual_mov_b32 v9, 0 :: v_dual_mov_b32 v10, 0
	v_mov_b32_e32 v12, 0
	s_delay_alu instid0(VALU_DEP_3)
	v_lshl_or_b32 v0, v11, 5, v8
	v_mov_b32_e32 v14, 0
	s_and_b32 s19, ttmp7, 0xffff
	s_lshr_b32 s20, ttmp7, 16
	s_mov_b32 s21, exec_lo
	v_lshrrev_b32_e32 v13, 4, v0
	s_wait_kmcnt 0x0
	s_lshr_b32 s22, s2, 8
	s_delay_alu instid0(VALU_DEP_1) | instid1(SALU_CYCLE_1)
	v_cmpx_gt_u32_e64 s22, v13
	s_cbranch_execz .LBB140_22
; %bb.1:
	s_load_b128 s[12:15], s[0:1], 0x0
	v_lshl_add_u32 v0, v11, 5, v8
	v_bfe_u32 v3, v8, 2, 2
	v_dual_mov_b32 v7, 0 :: v_dual_lshlrev_b32 v2, 1, v8
	s_mul_hi_u32 s7, s7, s19
	s_delay_alu instid0(VALU_DEP_3) | instskip(NEXT) | instid1(VALU_DEP_3)
	v_lshrrev_b32_e32 v4, 4, v0
	v_mul_hi_u32_u24_e32 v1, 0x48, v3
	v_mul_u32_u24_e32 v0, 0x48, v3
	s_mul_hi_u32 s11, s11, s20
	s_mul_i32 s2, s17, s20
	s_mov_b32 s3, 0
	s_add_co_i32 s7, s19, s7
	v_bfe_u32 v9, v2, 3, 2
	v_and_b32_e32 v5, 30, v2
	v_mad_co_u64_u32 v[2:3], null, 0x120, v4, v[0:1]
	s_add_co_i32 s11, s20, s11
	s_mul_u64 s[26:27], s[2:3], 36
	s_mul_i32 s2, s9, s19
	s_lshr_b32 s7, s7, s23
	s_lshr_b32 s11, s11, s24
	s_mul_u64 s[24:25], s[2:3], 36
	s_mul_i32 s7, s7, s8
	s_wait_kmcnt 0x0
	s_add_nc_u64 s[8:9], s[14:15], s[26:27]
	v_and_b32_e32 v10, 3, v8
	s_add_nc_u64 s[8:9], s[8:9], s[24:25]
	v_lshlrev_b32_e32 v16, 1, v9
	v_lshlrev_b32_e32 v6, 3, v13
	v_add_co_u32 v2, s2, s8, v2
	s_delay_alu instid0(VALU_DEP_1)
	v_add_co_ci_u32_e64 v3, null, s9, v3, s2
	v_dual_mov_b32 v12, 0 :: v_dual_lshlrev_b32 v15, 5, v9
	v_mad_co_u64_u32 v[0:1], null, v16, 36, s[8:9]
	v_lshlrev_b32_e32 v21, 1, v9
	v_mov_b32_e32 v9, 0
	v_dual_mov_b32 v14, 0 :: v_dual_lshlrev_b32 v17, 2, v10
	v_lshlrev_b32_e32 v22, 2, v10
	v_mov_b32_e32 v10, 0
	v_cmp_lt_u32_e32 vcc_lo, 15, v5
	v_mad_co_u64_u32 v[4:5], null, s5, 3, v[6:7]
	v_add_co_u32 v2, s2, v2, 36
	s_mul_i32 s4, s4, ttmp9
	v_add_co_ci_u32_e64 v3, null, 0, v3, s2
	v_lshl_add_u32 v18, s5, 1, v6
	v_lshl_add_u32 v19, s5, 2, v6
	v_add_nc_u32_e32 v20, s5, v6
	s_mul_i32 s11, s11, s16
	s_wait_alu 0xfffe
	s_add_co_i32 s7, s7, s4
	s_delay_alu instid0(SALU_CYCLE_1)
	s_add_co_i32 s4, s11, s7
	s_branch .LBB140_3
.LBB140_2:                              ;   in Loop: Header=BB140_3 Depth=1
	s_wait_alu 0xfffe
	s_or_b32 exec_lo, exec_lo, s2
	s_wait_loadcnt 0x1f
	v_ashrrev_i32_e32 v5, v16, v47
	v_ashrrev_i32_e32 v6, v16, v46
	v_and_b32_e32 v47, 0xf0f0f0f, v43
	v_and_b32_e32 v46, 0xf0f0f0f, v44
	v_lshrrev_b32_e32 v44, 4, v44
	v_lshlrev_b32_e32 v54, 4, v5
	v_lshlrev_b32_e32 v68, 4, v6
	;; [unrolled: 1-line block ×3, first 2 shown]
	s_wait_loadcnt 0x9
	v_dot4_i32_iu8 v67, 0x1010101, v65, 0 neg_lo:[1,1,0]
	v_and_b32_e32 v44, 0xf0f0f0f, v44
	v_and_or_b32 v47, 0x10101010, v54, v47
	v_and_or_b32 v46, 0x10101010, v68, v46
	v_lshrrev_b32_e32 v43, 4, v43
	v_lshlrev_b32_e32 v5, 3, v5
	v_and_or_b32 v6, 0x10101010, v6, v44
	v_dot4_i32_iu8 v54, v47, v65, 0 neg_lo:[1,1,0]
	v_and_b32_e32 v65, 0xff, v56
	v_lshrrev_b16 v56, 8, v56
	v_add_nc_u32_e32 v13, 2, v13
	v_add_co_u32 v2, s2, 0x240, v2
	v_dot4_i32_iu8 v44, v46, v62, v54 neg_lo:[1,1,0]
	s_wait_loadcnt 0x7
	v_dot4_i32_iu8 v54, 0x1010101, v63, 0 neg_lo:[1,1,0]
	v_and_b32_e32 v56, 0xffff, v56
	v_and_b32_e32 v65, 0xffff, v65
	s_wait_alu 0xf1ff
	v_add_co_ci_u32_e64 v3, null, 0, v3, s2
	v_dot4_i32_iu8 v54, 0x1010101, v61, v54 neg_lo:[1,1,0]
	v_cmp_le_u32_e64 s2, s22, v13
	v_add_nc_u32_e32 v18, 16, v18
	v_add_nc_u32_e32 v4, 16, v4
	;; [unrolled: 1-line block ×3, first 2 shown]
	v_mul_lo_u32 v54, v54, v56
	v_lshrrev_b32_e32 v56, 16, v23
	v_add_nc_u32_e32 v20, 16, v20
	s_or_b32 s3, s2, s3
	s_delay_alu instid0(VALU_DEP_2) | instskip(SKIP_2) | instid1(VALU_DEP_2)
	v_cvt_f32_f16_e32 v56, v56
	v_and_b32_e32 v43, 0xf0f0f0f, v43
	v_cvt_f32_i32_e32 v54, v54
	v_and_or_b32 v5, 0x10101010, v5, v43
	v_dot4_i32_iu8 v43, 0x1010101, v62, v67 neg_lo:[1,1,0]
	s_delay_alu instid0(VALU_DEP_2) | instskip(SKIP_2) | instid1(VALU_DEP_4)
	v_dot4_i32_iu8 v62, v5, v63, 0 neg_lo:[1,1,0]
	v_and_b32_e32 v63, 0xff, v55
	v_lshrrev_b16 v55, 8, v55
	v_mul_lo_u32 v43, v43, v65
	s_delay_alu instid0(VALU_DEP_4) | instskip(NEXT) | instid1(VALU_DEP_4)
	v_dot4_i32_iu8 v61, v6, v61, v62 neg_lo:[1,1,0]
	v_and_b32_e32 v63, 0xffff, v63
	s_delay_alu instid0(VALU_DEP_4)
	v_and_b32_e32 v55, 0xffff, v55
	s_wait_loadcnt 0x1
	v_dot4_i32_iu8 v62, v5, v60, 0 neg_lo:[1,1,0]
	v_dot4_i32_iu8 v60, 0x1010101, v60, 0 neg_lo:[1,1,0]
	v_mul_lo_u32 v44, v44, v63
	v_mul_lo_u32 v55, v61, v55
	v_cvt_f32_i32_e32 v43, v43
	v_and_b32_e32 v61, 0xff, v52
	v_lshrrev_b16 v52, 8, v52
	s_delay_alu instid0(VALU_DEP_3) | instskip(SKIP_2) | instid1(VALU_DEP_4)
	v_fma_mix_f32 v43, v58, v43, 0 op_sel_hi:[1,0,0]
	v_cvt_f32_i32_e32 v44, v44
	v_cvt_f32_i32_e32 v55, v55
	v_and_b32_e32 v52, 0xffff, v52
	s_delay_alu instid0(VALU_DEP_4) | instskip(NEXT) | instid1(VALU_DEP_4)
	v_fma_mix_f32 v43, v57, v54, v43 op_sel_hi:[1,0,0]
	v_fma_mix_f32 v44, v58, v44, 0 op_sel_hi:[1,0,0]
	v_dot4_i32_iu8 v58, 0x1010101, v66, 0 neg_lo:[1,1,0]
	v_dot4_i32_iu8 v54, v47, v66, 0 neg_lo:[1,1,0]
	s_delay_alu instid0(VALU_DEP_4) | instskip(NEXT) | instid1(VALU_DEP_4)
	v_mul_f32_e32 v43, v43, v56
	v_fma_mix_f32 v44, v57, v55, v44 op_sel_hi:[1,0,0]
	s_delay_alu instid0(VALU_DEP_4)
	v_dot4_i32_iu8 v55, 0x1010101, v64, v58 neg_lo:[1,1,0]
	v_dot4_i32_iu8 v57, v47, v53, 0 neg_lo:[1,1,0]
	;; [unrolled: 1-line block ×3, first 2 shown]
	v_and_b32_e32 v58, 0xff, v51
	v_lshrrev_b16 v51, 8, v51
	v_dot4_i32_iu8 v54, v46, v64, v54 neg_lo:[1,1,0]
	v_dot4_i32_iu8 v57, v46, v50, v57 neg_lo:[1,1,0]
	;; [unrolled: 1-line block ×3, first 2 shown]
	v_and_b32_e32 v53, 0xffff, v58
	v_and_b32_e32 v58, 0xffff, v61
	v_dot4_i32_iu8 v61, 0x1010101, v48, 0 neg_lo:[1,1,0]
	v_dot4_i32_iu8 v48, v5, v48, 0 neg_lo:[1,1,0]
	s_delay_alu instid0(VALU_DEP_4) | instskip(NEXT) | instid1(VALU_DEP_4)
	v_mul_lo_u32 v53, v57, v53
	v_mul_lo_u32 v50, v50, v58
	v_dot4_i32_iu8 v57, v6, v59, v62 neg_lo:[1,1,0]
	v_dot4_i32_iu8 v58, 0x1010101, v59, v60 neg_lo:[1,1,0]
	;; [unrolled: 1-line block ×4, first 2 shown]
	v_and_b32_e32 v48, 0xffff, v51
	v_cvt_f32_i32_e32 v53, v53
	v_cvt_f32_i32_e32 v50, v50
	v_mul_lo_u32 v52, v59, v52
	s_delay_alu instid0(VALU_DEP_4) | instskip(NEXT) | instid1(VALU_DEP_4)
	v_mul_lo_u32 v45, v45, v48
	v_fma_mix_f32 v51, v42, v53, 0 op_sel_hi:[1,0,0]
	s_delay_alu instid0(VALU_DEP_4)
	v_fma_mix_f32 v42, v42, v50, 0 op_sel_hi:[1,0,0]
	v_dot4_i32_iu8 v50, v47, v38, 0 neg_lo:[1,1,0]
	v_dot4_i32_iu8 v38, 0x1010101, v38, 0 neg_lo:[1,1,0]
	;; [unrolled: 1-line block ×3, first 2 shown]
	v_cvt_f32_i32_e32 v48, v52
	v_and_b32_e32 v52, 0xff, v36
	v_dot4_i32_iu8 v50, v46, v35, v50 neg_lo:[1,1,0]
	v_dot4_i32_iu8 v35, 0x1010101, v35, v38 neg_lo:[1,1,0]
	v_and_b32_e32 v38, 0xff, v37
	v_dot4_i32_iu8 v34, 0x1010101, v34, 0 neg_lo:[1,1,0]
	v_and_b32_e32 v52, 0xffff, v52
	v_lshrrev_b16 v37, 8, v37
	v_lshrrev_b16 v36, 8, v36
	v_and_b32_e32 v38, 0xffff, v38
	v_dot4_i32_iu8 v5, v5, v29, 0 neg_lo:[1,1,0]
	v_mul_lo_u32 v50, v50, v52
	v_dot4_i32_iu8 v52, v6, v33, v53 neg_lo:[1,1,0]
	v_dot4_i32_iu8 v33, 0x1010101, v33, v34 neg_lo:[1,1,0]
	v_mul_lo_u32 v34, v35, v38
	v_and_b32_e32 v35, 0xffff, v36
	v_and_b32_e32 v36, 0xffff, v37
	v_cvt_f32_i32_e32 v37, v45
	v_fma_mix_f32 v38, v39, v48, v42 op_sel_hi:[1,0,0]
	v_cvt_f32_i32_e32 v42, v50
	v_mul_lo_u32 v35, v52, v35
	v_mul_lo_u32 v33, v33, v36
	v_cvt_f32_i32_e32 v34, v34
	v_fma_mix_f32 v36, v39, v37, v51 op_sel_hi:[1,0,0]
	v_mul_f32_e32 v37, v38, v56
	v_dot4_i32_iu8 v38, v47, v30, 0 neg_lo:[1,1,0]
	v_fma_mix_f32 v39, v32, v42, 0 op_sel_hi:[1,0,0]
	v_fma_mix_f32 v32, v32, v34, 0 op_sel_hi:[1,0,0]
	v_cvt_f32_i32_e32 v34, v35
	v_cvt_f32_i32_e32 v33, v33
	v_dot4_i32_iu8 v30, 0x1010101, v30, 0 neg_lo:[1,1,0]
	v_dot4_i32_iu8 v35, v46, v28, v38 neg_lo:[1,1,0]
	v_dot4_i32_iu8 v29, 0x1010101, v29, 0 neg_lo:[1,1,0]
	v_fma_mix_f32 v34, v31, v34, v39 op_sel_hi:[1,0,0]
	v_fma_mix_f32 v31, v31, v33, v32 op_sel_hi:[1,0,0]
	v_dot4_i32_iu8 v28, 0x1010101, v28, v30 neg_lo:[1,1,0]
	v_lshrrev_b16 v32, 8, v27
	v_dot4_i32_iu8 v5, v6, v26, v5 neg_lo:[1,1,0]
	v_and_b32_e32 v6, 0xff, v27
	v_and_b32_e32 v33, 0xff00ff, v49
	v_bfe_u32 v38, v27, 16, 8
	v_dot4_i32_iu8 v26, 0x1010101, v26, v29 neg_lo:[1,1,0]
	v_and_b32_e32 v29, 0xffff, v32
	v_mul_lo_u32 v6, v28, v6
	v_lshrrev_b32_e32 v28, 16, v33
	v_pk_lshrrev_b16 v32, 8, v49 op_sel_hi:[0,1]
	v_mul_lo_u32 v30, v35, v38
	v_and_b32_e32 v33, 0xff, v33
	v_lshrrev_b32_e32 v27, 24, v27
	v_mul_lo_u32 v28, v55, v28
	v_lshrrev_b32_e32 v35, 16, v32
	v_cvt_f32_i32_e32 v6, v6
	v_mul_lo_u32 v26, v26, v29
	v_mul_lo_u32 v29, v54, v33
	v_cvt_f32_i32_e32 v30, v30
	v_and_b32_e32 v32, 0xff, v32
	v_mul_lo_u32 v33, v58, v35
	v_mul_lo_u32 v5, v5, v27
	v_cvt_f32_i32_e32 v27, v28
	v_fma_mix_f32 v30, v25, v30, 0 op_sel_hi:[1,0,0]
	v_fma_mix_f32 v6, v25, v6, 0 op_sel_hi:[1,0,0]
	v_mul_lo_u32 v25, v57, v32
	v_cvt_f32_i32_e32 v26, v26
	v_cvt_f32_i32_e32 v28, v29
	v_fma_mix_f32 v27, v40, v27, 0 op_sel_hi:[1,0,0]
	v_cvt_f32_i32_e32 v29, v33
	v_cvt_f32_i32_e32 v5, v5
	v_fma_mix_f32 v6, v24, v26, v6 op_sel_hi:[1,0,0]
	v_fma_mix_f32 v26, v40, v28, 0 op_sel_hi:[1,0,0]
	v_cvt_f32_i32_e32 v25, v25
	s_wait_loadcnt 0x0
	v_fma_mix_f32 v27, v41, v29, v27 op_sel_hi:[1,0,0]
	v_mul_f32_e32 v28, v31, v56
	v_fma_mix_f32 v5, v24, v5, v30 op_sel_hi:[1,0,0]
	v_mul_f32_e32 v6, v6, v56
	;; [unrolled: 2-line block ×3, first 2 shown]
	v_fma_mix_f32 v26, v44, v23, -v43 op_sel_hi:[0,1,0]
	v_fma_mix_f32 v27, v36, v23, -v37 op_sel_hi:[0,1,0]
	;; [unrolled: 1-line block ×5, first 2 shown]
	s_delay_alu instid0(VALU_DEP_4) | instskip(NEXT) | instid1(VALU_DEP_4)
	v_dual_add_f32 v9, v9, v26 :: v_dual_add_f32 v10, v10, v27
	v_add_f32_e32 v12, v12, v28
	s_delay_alu instid0(VALU_DEP_3)
	v_dual_add_f32 v14, v14, v5 :: v_dual_add_f32 v7, v7, v6
	s_wait_alu 0xfffe
	s_and_not1_b32 exec_lo, exec_lo, s3
	s_cbranch_execz .LBB140_21
.LBB140_3:                              ; =>This Inner Loop Header: Depth=1
	s_wait_alu 0xfffe
	v_add_nc_u32_e32 v5, s4, v13
                                        ; implicit-def: $vgpr54
                                        ; implicit-def: $vgpr27
	s_delay_alu instid0(VALU_DEP_1) | instskip(NEXT) | instid1(VALU_DEP_1)
	v_mad_co_i64_i32 v[5:6], null, 0xb0, v5, s[12:13]
	v_add_co_u32 v25, s2, v5, v15
	s_wait_alu 0xf1ff
	s_delay_alu instid0(VALU_DEP_2)
	v_add_co_ci_u32_e64 v26, null, 0, v6, s2
	v_add_co_u32 v23, s2, v5, v17
	s_wait_alu 0xf1ff
	v_add_co_ci_u32_e64 v24, null, 0, v6, s2
	v_add_co_u32 v25, s2, v25, v17
	s_wait_alu 0xf1ff
	;; [unrolled: 3-line block ×3, first 2 shown]
	v_add_co_ci_u32_e64 v32, null, 0, v3, s2
	s_clause 0x4
	global_load_b32 v44, v[25:26], off offset:48
	global_load_b32 v43, v[25:26], off offset:64
	;; [unrolled: 1-line block ×4, first 2 shown]
	global_load_b32 v23, v[5:6], off
	s_clause 0x5
	global_load_b32 v25, v[2:3], off offset:-36
	global_load_b32 v28, v[31:32], off offset:-32
	;; [unrolled: 1-line block ×3, first 2 shown]
	global_load_b32 v24, v[2:3], off
	global_load_b32 v26, v[31:32], off offset:4
	global_load_b32 v29, v[31:32], off offset:20
	v_add_co_u32 v5, s2, v5, v21
	s_wait_alu 0xf1ff
	v_add_co_ci_u32_e64 v6, null, 0, v6, s2
	s_and_saveexec_b32 s2, vcc_lo
	s_wait_alu 0xfffe
	s_xor_b32 s2, exec_lo, s2
	s_cbranch_execz .LBB140_5
; %bb.4:                                ;   in Loop: Header=BB140_3 Depth=1
	s_clause 0x1
	global_load_u16 v27, v[5:6], off offset:8
	global_load_u16 v31, v[5:6], off offset:4
	s_wait_loadcnt 0x1
	v_mov_b32_e32 v32, v27
	s_wait_loadcnt 0x0
	v_perm_b32 v54, v27, v31, 0x5040100
	s_delay_alu instid0(VALU_DEP_1) | instskip(NEXT) | instid1(VALU_DEP_1)
	v_pk_lshrrev_b16 v27, 2, v54
	v_and_b32_e32 v27, 0xf0f3030, v27
	global_load_d16_hi_b16 v32, v[5:6], off
	s_wait_loadcnt 0x0
	v_pk_lshrrev_b16 v31, 0x20004, v32
	s_delay_alu instid0(VALU_DEP_1)
	v_and_or_b32 v27, 0x30300f0f, v31, v27
.LBB140_5:                              ;   in Loop: Header=BB140_3 Depth=1
	s_wait_alu 0xfffe
	s_and_not1_saveexec_b32 s2, s2
	s_cbranch_execz .LBB140_7
; %bb.6:                                ;   in Loop: Header=BB140_3 Depth=1
	s_clause 0x1
	global_load_u16 v31, v[5:6], off offset:4
	global_load_u16 v32, v[5:6], off offset:8
	s_wait_loadcnt 0x0
	v_perm_b32 v27, v31, v32, 0x5040100
	v_perm_b32 v54, v32, v31, 0x5040100
	s_delay_alu instid0(VALU_DEP_2)
	v_and_b32_e32 v27, 0x3f3f3f3f, v27
.LBB140_7:                              ;   in Loop: Header=BB140_3 Depth=1
	s_wait_alu 0xfffe
	s_or_b32 exec_lo, exec_lo, s2
	v_mad_co_u64_u32 v[36:37], null, v20, 36, v[0:1]
	v_lshrrev_b32_e32 v57, 16, v54
	v_lshrrev_b16 v49, 2, v54
	s_delay_alu instid0(VALU_DEP_3) | instskip(SKIP_1) | instid1(VALU_DEP_4)
	v_add_co_u32 v39, s2, v36, v22
	s_wait_alu 0xf1ff
	v_add_co_ci_u32_e64 v40, null, 0, v37, s2
	s_clause 0x5
	global_load_b32 v32, v[36:37], off
	global_load_b32 v35, v[39:40], off offset:4
	global_load_b32 v38, v[39:40], off offset:20
	;; [unrolled: 1-line block ×5, first 2 shown]
	v_lshrrev_b32_e32 v36, 20, v54
	v_and_b32_e32 v40, 0xf0f, v57
                                        ; implicit-def: $vgpr37
	s_delay_alu instid0(VALU_DEP_2)
	v_and_b32_e32 v41, 0xf0f, v36
                                        ; implicit-def: $vgpr36
	s_and_saveexec_b32 s2, vcc_lo
	s_wait_alu 0xfffe
	s_xor_b32 s2, exec_lo, s2
	s_cbranch_execz .LBB140_9
; %bb.8:                                ;   in Loop: Header=BB140_3 Depth=1
	global_load_u16 v36, v[5:6], off
	v_and_b32_e32 v37, 0x3030, v49
	s_delay_alu instid0(VALU_DEP_1) | instskip(SKIP_2) | instid1(VALU_DEP_1)
	v_or_b32_e32 v37, v37, v41
	s_wait_loadcnt 0x0
	v_lshrrev_b16 v36, 2, v36
	v_and_b32_e32 v36, 0x3030, v36
	s_delay_alu instid0(VALU_DEP_1)
	v_or_b32_e32 v36, v36, v40
.LBB140_9:                              ;   in Loop: Header=BB140_3 Depth=1
	s_wait_alu 0xfffe
	s_or_saveexec_b32 s2, s2
	v_and_b32_e32 v55, 0x3f3f, v54
	v_and_b32_e32 v56, 0x3f3f, v57
	s_wait_alu 0xfffe
	s_xor_b32 exec_lo, exec_lo, s2
; %bb.10:                               ;   in Loop: Header=BB140_3 Depth=1
	v_and_b32_e32 v36, 0x3f3f, v54
	v_and_b32_e32 v37, 0x3f3f, v57
; %bb.11:                               ;   in Loop: Header=BB140_3 Depth=1
	s_or_b32 exec_lo, exec_lo, s2
	v_mad_co_u64_u32 v[51:52], null, v18, 36, v[0:1]
	s_delay_alu instid0(VALU_DEP_1) | instskip(SKIP_1) | instid1(VALU_DEP_2)
	v_add_co_u32 v58, s2, v51, v22
	s_wait_alu 0xf1ff
	v_add_co_ci_u32_e64 v59, null, 0, v52, s2
	s_clause 0x5
	global_load_b32 v42, v[51:52], off
	global_load_b32 v50, v[58:59], off offset:4
	global_load_b32 v53, v[58:59], off offset:20
	;; [unrolled: 1-line block ×5, first 2 shown]
                                        ; implicit-def: $vgpr51
                                        ; implicit-def: $vgpr52
	s_and_saveexec_b32 s2, vcc_lo
	s_wait_alu 0xfffe
	s_xor_b32 s2, exec_lo, s2
	s_cbranch_execz .LBB140_13
; %bb.12:                               ;   in Loop: Header=BB140_3 Depth=1
	global_load_u16 v51, v[5:6], off
	v_and_b32_e32 v52, 0x3030, v49
                                        ; implicit-def: $vgpr57
	s_delay_alu instid0(VALU_DEP_1) | instskip(SKIP_2) | instid1(VALU_DEP_1)
	v_or_b32_e32 v52, v52, v41
	s_wait_loadcnt 0x0
	v_lshrrev_b16 v51, 2, v51
	v_and_b32_e32 v51, 0x3030, v51
	s_delay_alu instid0(VALU_DEP_1)
	v_or_b32_e32 v51, v51, v40
.LBB140_13:                             ;   in Loop: Header=BB140_3 Depth=1
	s_wait_alu 0xfffe
	s_and_not1_saveexec_b32 s2, s2
; %bb.14:                               ;   in Loop: Header=BB140_3 Depth=1
	v_and_b32_e32 v51, 0x3f3f, v54
	v_and_b32_e32 v52, 0x3f3f, v57
; %bb.15:                               ;   in Loop: Header=BB140_3 Depth=1
	s_wait_alu 0xfffe
	s_or_b32 exec_lo, exec_lo, s2
	v_mad_co_u64_u32 v[59:60], null, v4, 36, v[0:1]
	s_delay_alu instid0(VALU_DEP_1) | instskip(SKIP_1) | instid1(VALU_DEP_2)
	v_add_co_u32 v63, s2, v59, v22
	s_wait_alu 0xf1ff
	v_add_co_ci_u32_e64 v64, null, 0, v60, s2
	s_clause 0x5
	global_load_b32 v58, v[59:60], off
	global_load_b32 v62, v[63:64], off offset:4
	global_load_b32 v65, v[63:64], off offset:20
	global_load_b32 v61, v[63:64], off offset:40
	global_load_b32 v63, v[63:64], off offset:56
	global_load_b32 v57, v[59:60], off offset:36
	s_and_saveexec_b32 s2, vcc_lo
	s_wait_alu 0xfffe
	s_xor_b32 s2, exec_lo, s2
	s_cbranch_execz .LBB140_17
; %bb.16:                               ;   in Loop: Header=BB140_3 Depth=1
	global_load_u16 v55, v[5:6], off
	v_and_b32_e32 v49, 0x3030, v49
	s_delay_alu instid0(VALU_DEP_1) | instskip(SKIP_2) | instid1(VALU_DEP_1)
	v_or_b32_e32 v56, v49, v41
	s_wait_loadcnt 0x0
	v_lshrrev_b16 v55, 2, v55
	v_and_b32_e32 v55, 0x3030, v55
	s_delay_alu instid0(VALU_DEP_1)
	v_or_b32_e32 v55, v55, v40
.LBB140_17:                             ;   in Loop: Header=BB140_3 Depth=1
	s_wait_alu 0xfffe
	s_and_not1_saveexec_b32 s2, s2
	s_wait_alu 0xfffe
	s_or_b32 exec_lo, exec_lo, s2
	v_mad_co_u64_u32 v[67:68], null, v19, 36, v[0:1]
                                        ; implicit-def: $vgpr49
	s_delay_alu instid0(VALU_DEP_1) | instskip(SKIP_1) | instid1(VALU_DEP_2)
	v_add_co_u32 v69, s2, v67, v22
	s_wait_alu 0xf1ff
	v_add_co_ci_u32_e64 v70, null, 0, v68, s2
	s_clause 0x5
	global_load_b32 v40, v[67:68], off
	global_load_b32 v64, v[69:70], off offset:4
	global_load_b32 v66, v[69:70], off offset:20
	;; [unrolled: 1-line block ×5, first 2 shown]
	s_and_saveexec_b32 s2, vcc_lo
	s_wait_alu 0xfffe
	s_xor_b32 s2, exec_lo, s2
	s_cbranch_execz .LBB140_19
; %bb.18:                               ;   in Loop: Header=BB140_3 Depth=1
	global_load_u16 v5, v[5:6], off
	v_pk_lshrrev_b16 v6, 4, v54 op_sel:[1,1] op_sel_hi:[0,1]
	s_delay_alu instid0(VALU_DEP_1) | instskip(SKIP_2) | instid1(VALU_DEP_1)
	v_and_b32_e32 v6, 0xf0f0f0f, v6
	s_wait_loadcnt 0x0
	v_perm_b32 v5, v54, v5, 0x5040100
                                        ; implicit-def: $vgpr54
	v_pk_lshrrev_b16 v5, 2, v5 op_sel_hi:[0,1]
	s_delay_alu instid0(VALU_DEP_1)
	v_and_or_b32 v49, 0x30303030, v5, v6
.LBB140_19:                             ;   in Loop: Header=BB140_3 Depth=1
	s_wait_alu 0xfffe
	s_and_not1_saveexec_b32 s2, s2
	s_cbranch_execz .LBB140_2
; %bb.20:                               ;   in Loop: Header=BB140_3 Depth=1
	v_and_b32_e32 v49, 0x3f3f3f3f, v54
	s_branch .LBB140_2
.LBB140_21:
	s_or_b32 exec_lo, exec_lo, s3
.LBB140_22:
	s_delay_alu instid0(SALU_CYCLE_1)
	s_or_b32 exec_lo, exec_lo, s21
	s_mov_b32 s3, 0
	; wave barrier
	global_inv scope:SCOPE_SE
	s_mov_b32 s2, exec_lo
	v_cmpx_eq_u32_e32 0, v11
	s_cbranch_execz .LBB140_33
; %bb.23:
	v_mbcnt_lo_u32_b32 v4, -1, 0
	s_load_b64 s[0:1], s[0:1], 0x38
	s_mul_i32 s2, s10, s19
	s_mul_i32 s4, s18, s20
	s_wait_alu 0xfffe
	s_add_co_i32 s2, s2, ttmp9
	v_xor_b32_e32 v0, 16, v4
	v_xor_b32_e32 v1, 8, v4
	;; [unrolled: 1-line block ×3, first 2 shown]
	s_wait_alu 0xfffe
	s_add_co_i32 s2, s2, s4
	s_wait_alu 0xfffe
	s_lshl_b64 s[2:3], s[2:3], 2
	v_cmp_gt_i32_e32 vcc_lo, 32, v0
	v_cndmask_b32_e32 v0, v4, v0, vcc_lo
	v_cmp_gt_i32_e32 vcc_lo, 32, v1
	s_wait_kmcnt 0x0
	s_wait_alu 0xfffe
	s_add_nc_u64 s[0:1], s[0:1], s[2:3]
	s_wait_alu 0xfffd
	v_cndmask_b32_e32 v1, v4, v1, vcc_lo
	s_delay_alu instid0(VALU_DEP_1)
	v_lshlrev_b32_e32 v1, 2, v1
	v_lshlrev_b32_e32 v0, 2, v0
	ds_bpermute_b32 v2, v0, v14
	s_wait_dscnt 0x0
	v_add_f32_e32 v3, v14, v2
	v_xor_b32_e32 v2, 4, v4
	ds_bpermute_b32 v5, v1, v3
	v_cmp_gt_i32_e32 vcc_lo, 32, v2
	s_wait_dscnt 0x0
	s_wait_alu 0xfffd
	v_dual_cndmask_b32 v2, v4, v2 :: v_dual_add_f32 v5, v3, v5
	s_delay_alu instid0(VALU_DEP_1)
	v_lshlrev_b32_e32 v2, 2, v2
	v_xor_b32_e32 v3, 2, v4
	ds_bpermute_b32 v6, v2, v5
	v_cmp_gt_i32_e32 vcc_lo, 32, v3
	s_wait_alu 0xfffd
	v_cndmask_b32_e32 v3, v4, v3, vcc_lo
	v_cmp_gt_i32_e32 vcc_lo, 32, v11
	s_wait_alu 0xfffd
	v_cndmask_b32_e32 v4, v4, v11, vcc_lo
	v_cmp_eq_u32_e32 vcc_lo, 0, v8
	s_delay_alu instid0(VALU_DEP_2)
	v_lshlrev_b32_e32 v4, 2, v4
	v_lshlrev_b32_e32 v3, 2, v3
	s_wait_dscnt 0x0
	v_add_f32_e32 v5, v5, v6
	ds_bpermute_b32 v6, v3, v5
	s_wait_dscnt 0x0
	v_add_f32_e32 v5, v5, v6
	ds_bpermute_b32 v6, v4, v5
	s_and_saveexec_b32 s2, vcc_lo
	s_cbranch_execz .LBB140_25
; %bb.24:
	s_wait_dscnt 0x0
	v_dual_add_f32 v5, v5, v6 :: v_dual_mov_b32 v6, 0
	global_store_b32 v6, v5, s[0:1]
.LBB140_25:
	s_wait_alu 0xfffe
	s_or_b32 exec_lo, exec_lo, s2
	ds_bpermute_b32 v5, v0, v12
	s_wait_dscnt 0x0
	v_add_f32_e32 v5, v12, v5
	ds_bpermute_b32 v6, v1, v5
	s_wait_dscnt 0x0
	v_add_f32_e32 v5, v5, v6
	;; [unrolled: 3-line block ×4, first 2 shown]
	ds_bpermute_b32 v6, v4, v5
	s_and_saveexec_b32 s2, vcc_lo
	s_cbranch_execz .LBB140_27
; %bb.26:
	s_mov_b32 s7, 0
	s_wait_dscnt 0x0
	v_dual_add_f32 v5, v5, v6 :: v_dual_mov_b32 v6, 0
	s_lshl_b64 s[4:5], s[6:7], 2
	s_wait_alu 0xfffe
	s_add_nc_u64 s[4:5], s[0:1], s[4:5]
	global_store_b32 v6, v5, s[4:5]
.LBB140_27:
	s_wait_alu 0xfffe
	s_or_b32 exec_lo, exec_lo, s2
	ds_bpermute_b32 v5, v0, v10
	s_wait_dscnt 0x0
	v_add_f32_e32 v5, v10, v5
	ds_bpermute_b32 v6, v1, v5
	s_wait_dscnt 0x0
	v_add_f32_e32 v5, v5, v6
	;; [unrolled: 3-line block ×4, first 2 shown]
	ds_bpermute_b32 v6, v4, v5
	s_and_saveexec_b32 s2, vcc_lo
	s_cbranch_execz .LBB140_29
; %bb.28:
	s_lshl_b32 s4, s6, 1
	s_mov_b32 s5, 0
	s_wait_dscnt 0x0
	v_dual_add_f32 v5, v5, v6 :: v_dual_mov_b32 v6, 0
	s_wait_alu 0xfffe
	s_lshl_b64 s[4:5], s[4:5], 2
	s_wait_alu 0xfffe
	s_add_nc_u64 s[4:5], s[0:1], s[4:5]
	global_store_b32 v6, v5, s[4:5]
.LBB140_29:
	s_wait_alu 0xfffe
	s_or_b32 exec_lo, exec_lo, s2
	ds_bpermute_b32 v5, v0, v9
	s_wait_dscnt 0x0
	v_add_f32_e32 v5, v9, v5
	ds_bpermute_b32 v6, v1, v5
	s_wait_dscnt 0x0
	v_add_f32_e32 v5, v5, v6
	;; [unrolled: 3-line block ×4, first 2 shown]
	ds_bpermute_b32 v6, v4, v5
	s_and_saveexec_b32 s2, vcc_lo
	s_cbranch_execz .LBB140_31
; %bb.30:
	s_mul_i32 s4, s6, 3
	s_mov_b32 s5, 0
	s_wait_dscnt 0x0
	v_dual_add_f32 v5, v5, v6 :: v_dual_mov_b32 v6, 0
	s_wait_alu 0xfffe
	s_lshl_b64 s[4:5], s[4:5], 2
	s_wait_alu 0xfffe
	s_add_nc_u64 s[4:5], s[0:1], s[4:5]
	global_store_b32 v6, v5, s[4:5]
.LBB140_31:
	s_wait_alu 0xfffe
	s_or_b32 exec_lo, exec_lo, s2
	ds_bpermute_b32 v0, v0, v7
	s_wait_dscnt 0x0
	v_add_f32_e32 v0, v7, v0
	ds_bpermute_b32 v1, v1, v0
	s_wait_dscnt 0x0
	v_add_f32_e32 v0, v0, v1
	;; [unrolled: 3-line block ×4, first 2 shown]
	ds_bpermute_b32 v1, v4, v0
	s_and_b32 exec_lo, exec_lo, vcc_lo
	s_cbranch_execz .LBB140_33
; %bb.32:
	s_lshl_b32 s2, s6, 2
	s_mov_b32 s3, 0
	s_wait_dscnt 0x0
	v_dual_add_f32 v0, v0, v1 :: v_dual_mov_b32 v1, 0
	s_wait_alu 0xfffe
	s_lshl_b64 s[2:3], s[2:3], 2
	s_wait_alu 0xfffe
	s_add_nc_u64 s[0:1], s[0:1], s[2:3]
	global_store_b32 v1, v0, s[0:1]
.LBB140_33:
	s_endpgm
	.section	.rodata,"a",@progbits
	.p2align	6, 0x0
	.amdhsa_kernel _ZL13mul_mat_vec_qIL9ggml_type13ELi5ELb0ELb0EEvPKvS2_PKi31ggml_cuda_mm_fusion_args_devicePfj15HIP_vector_typeIjLj3EEjjjS8_jjjS8_jjjj
		.amdhsa_group_segment_fixed_size 0
		.amdhsa_private_segment_fixed_size 0
		.amdhsa_kernarg_size 144
		.amdhsa_user_sgpr_count 2
		.amdhsa_user_sgpr_dispatch_ptr 0
		.amdhsa_user_sgpr_queue_ptr 0
		.amdhsa_user_sgpr_kernarg_segment_ptr 1
		.amdhsa_user_sgpr_dispatch_id 0
		.amdhsa_user_sgpr_private_segment_size 0
		.amdhsa_wavefront_size32 1
		.amdhsa_uses_dynamic_stack 0
		.amdhsa_enable_private_segment 0
		.amdhsa_system_sgpr_workgroup_id_x 1
		.amdhsa_system_sgpr_workgroup_id_y 1
		.amdhsa_system_sgpr_workgroup_id_z 1
		.amdhsa_system_sgpr_workgroup_info 0
		.amdhsa_system_vgpr_workitem_id 1
		.amdhsa_next_free_vgpr 71
		.amdhsa_next_free_sgpr 28
		.amdhsa_reserve_vcc 1
		.amdhsa_float_round_mode_32 0
		.amdhsa_float_round_mode_16_64 0
		.amdhsa_float_denorm_mode_32 3
		.amdhsa_float_denorm_mode_16_64 3
		.amdhsa_fp16_overflow 0
		.amdhsa_workgroup_processor_mode 1
		.amdhsa_memory_ordered 1
		.amdhsa_forward_progress 1
		.amdhsa_inst_pref_size 32
		.amdhsa_round_robin_scheduling 0
		.amdhsa_exception_fp_ieee_invalid_op 0
		.amdhsa_exception_fp_denorm_src 0
		.amdhsa_exception_fp_ieee_div_zero 0
		.amdhsa_exception_fp_ieee_overflow 0
		.amdhsa_exception_fp_ieee_underflow 0
		.amdhsa_exception_fp_ieee_inexact 0
		.amdhsa_exception_int_div_zero 0
	.end_amdhsa_kernel
	.section	.text._ZL13mul_mat_vec_qIL9ggml_type13ELi5ELb0ELb0EEvPKvS2_PKi31ggml_cuda_mm_fusion_args_devicePfj15HIP_vector_typeIjLj3EEjjjS8_jjjS8_jjjj,"axG",@progbits,_ZL13mul_mat_vec_qIL9ggml_type13ELi5ELb0ELb0EEvPKvS2_PKi31ggml_cuda_mm_fusion_args_devicePfj15HIP_vector_typeIjLj3EEjjjS8_jjjS8_jjjj,comdat
.Lfunc_end140:
	.size	_ZL13mul_mat_vec_qIL9ggml_type13ELi5ELb0ELb0EEvPKvS2_PKi31ggml_cuda_mm_fusion_args_devicePfj15HIP_vector_typeIjLj3EEjjjS8_jjjS8_jjjj, .Lfunc_end140-_ZL13mul_mat_vec_qIL9ggml_type13ELi5ELb0ELb0EEvPKvS2_PKi31ggml_cuda_mm_fusion_args_devicePfj15HIP_vector_typeIjLj3EEjjjS8_jjjS8_jjjj
                                        ; -- End function
	.set _ZL13mul_mat_vec_qIL9ggml_type13ELi5ELb0ELb0EEvPKvS2_PKi31ggml_cuda_mm_fusion_args_devicePfj15HIP_vector_typeIjLj3EEjjjS8_jjjS8_jjjj.num_vgpr, 71
	.set _ZL13mul_mat_vec_qIL9ggml_type13ELi5ELb0ELb0EEvPKvS2_PKi31ggml_cuda_mm_fusion_args_devicePfj15HIP_vector_typeIjLj3EEjjjS8_jjjS8_jjjj.num_agpr, 0
	.set _ZL13mul_mat_vec_qIL9ggml_type13ELi5ELb0ELb0EEvPKvS2_PKi31ggml_cuda_mm_fusion_args_devicePfj15HIP_vector_typeIjLj3EEjjjS8_jjjS8_jjjj.numbered_sgpr, 28
	.set _ZL13mul_mat_vec_qIL9ggml_type13ELi5ELb0ELb0EEvPKvS2_PKi31ggml_cuda_mm_fusion_args_devicePfj15HIP_vector_typeIjLj3EEjjjS8_jjjS8_jjjj.num_named_barrier, 0
	.set _ZL13mul_mat_vec_qIL9ggml_type13ELi5ELb0ELb0EEvPKvS2_PKi31ggml_cuda_mm_fusion_args_devicePfj15HIP_vector_typeIjLj3EEjjjS8_jjjS8_jjjj.private_seg_size, 0
	.set _ZL13mul_mat_vec_qIL9ggml_type13ELi5ELb0ELb0EEvPKvS2_PKi31ggml_cuda_mm_fusion_args_devicePfj15HIP_vector_typeIjLj3EEjjjS8_jjjS8_jjjj.uses_vcc, 1
	.set _ZL13mul_mat_vec_qIL9ggml_type13ELi5ELb0ELb0EEvPKvS2_PKi31ggml_cuda_mm_fusion_args_devicePfj15HIP_vector_typeIjLj3EEjjjS8_jjjS8_jjjj.uses_flat_scratch, 0
	.set _ZL13mul_mat_vec_qIL9ggml_type13ELi5ELb0ELb0EEvPKvS2_PKi31ggml_cuda_mm_fusion_args_devicePfj15HIP_vector_typeIjLj3EEjjjS8_jjjS8_jjjj.has_dyn_sized_stack, 0
	.set _ZL13mul_mat_vec_qIL9ggml_type13ELi5ELb0ELb0EEvPKvS2_PKi31ggml_cuda_mm_fusion_args_devicePfj15HIP_vector_typeIjLj3EEjjjS8_jjjS8_jjjj.has_recursion, 0
	.set _ZL13mul_mat_vec_qIL9ggml_type13ELi5ELb0ELb0EEvPKvS2_PKi31ggml_cuda_mm_fusion_args_devicePfj15HIP_vector_typeIjLj3EEjjjS8_jjjS8_jjjj.has_indirect_call, 0
	.section	.AMDGPU.csdata,"",@progbits
; Kernel info:
; codeLenInByte = 4088
; TotalNumSgprs: 30
; NumVgprs: 71
; ScratchSize: 0
; MemoryBound: 0
; FloatMode: 240
; IeeeMode: 1
; LDSByteSize: 0 bytes/workgroup (compile time only)
; SGPRBlocks: 0
; VGPRBlocks: 8
; NumSGPRsForWavesPerEU: 30
; NumVGPRsForWavesPerEU: 71
; Occupancy: 16
; WaveLimiterHint : 0
; COMPUTE_PGM_RSRC2:SCRATCH_EN: 0
; COMPUTE_PGM_RSRC2:USER_SGPR: 2
; COMPUTE_PGM_RSRC2:TRAP_HANDLER: 0
; COMPUTE_PGM_RSRC2:TGID_X_EN: 1
; COMPUTE_PGM_RSRC2:TGID_Y_EN: 1
; COMPUTE_PGM_RSRC2:TGID_Z_EN: 1
; COMPUTE_PGM_RSRC2:TIDIG_COMP_CNT: 1
	.section	.text._ZL13mul_mat_vec_qIL9ggml_type13ELi6ELb0ELb0EEvPKvS2_PKi31ggml_cuda_mm_fusion_args_devicePfj15HIP_vector_typeIjLj3EEjjjS8_jjjS8_jjjj,"axG",@progbits,_ZL13mul_mat_vec_qIL9ggml_type13ELi6ELb0ELb0EEvPKvS2_PKi31ggml_cuda_mm_fusion_args_devicePfj15HIP_vector_typeIjLj3EEjjjS8_jjjS8_jjjj,comdat
	.globl	_ZL13mul_mat_vec_qIL9ggml_type13ELi6ELb0ELb0EEvPKvS2_PKi31ggml_cuda_mm_fusion_args_devicePfj15HIP_vector_typeIjLj3EEjjjS8_jjjS8_jjjj ; -- Begin function _ZL13mul_mat_vec_qIL9ggml_type13ELi6ELb0ELb0EEvPKvS2_PKi31ggml_cuda_mm_fusion_args_devicePfj15HIP_vector_typeIjLj3EEjjjS8_jjjS8_jjjj
	.p2align	8
	.type	_ZL13mul_mat_vec_qIL9ggml_type13ELi6ELb0ELb0EEvPKvS2_PKi31ggml_cuda_mm_fusion_args_devicePfj15HIP_vector_typeIjLj3EEjjjS8_jjjS8_jjjj,@function
_ZL13mul_mat_vec_qIL9ggml_type13ELi6ELb0ELb0EEvPKvS2_PKi31ggml_cuda_mm_fusion_args_devicePfj15HIP_vector_typeIjLj3EEjjjS8_jjjS8_jjjj: ; @_ZL13mul_mat_vec_qIL9ggml_type13ELi6ELb0ELb0EEvPKvS2_PKi31ggml_cuda_mm_fusion_args_devicePfj15HIP_vector_typeIjLj3EEjjjS8_jjjS8_jjjj
; %bb.0:
	s_clause 0x5
	s_load_b96 s[16:18], s[0:1], 0x80
	s_load_b32 s2, s[0:1], 0x40
	s_load_b128 s[4:7], s[0:1], 0x50
	s_load_b32 s23, s[0:1], 0x60
	s_load_b128 s[8:11], s[0:1], 0x68
	s_load_b32 s24, s[0:1], 0x78
	v_bfe_u32 v13, v0, 10, 10
	v_dual_mov_b32 v8, 0 :: v_dual_and_b32 v9, 0x3ff, v0
	v_dual_mov_b32 v10, 0 :: v_dual_mov_b32 v11, 0
	v_mov_b32_e32 v12, 0
	s_delay_alu instid0(VALU_DEP_3)
	v_lshl_or_b32 v0, v13, 5, v9
	v_mov_b32_e32 v14, 0
	v_mov_b32_e32 v16, 0
	s_and_b32 s19, ttmp7, 0xffff
	s_lshr_b32 s20, ttmp7, 16
	v_lshrrev_b32_e32 v15, 4, v0
	s_mov_b32 s21, exec_lo
	s_wait_kmcnt 0x0
	s_lshr_b32 s22, s2, 8
	s_delay_alu instid0(VALU_DEP_1) | instid1(SALU_CYCLE_1)
	v_cmpx_gt_u32_e64 s22, v15
	s_cbranch_execz .LBB141_26
; %bb.1:
	s_load_b128 s[12:15], s[0:1], 0x0
	v_lshl_add_u32 v0, v13, 5, v9
	v_bfe_u32 v3, v9, 2, 2
	v_lshlrev_b32_e32 v2, 1, v9
	v_dual_mov_b32 v12, 0 :: v_dual_and_b32 v11, 3, v9
	s_delay_alu instid0(VALU_DEP_4) | instskip(NEXT) | instid1(VALU_DEP_4)
	v_lshrrev_b32_e32 v4, 4, v0
	v_mul_hi_u32_u24_e32 v1, 0x48, v3
	v_mul_u32_u24_e32 v0, 0x48, v3
	s_mul_hi_u32 s7, s7, s19
	s_mul_hi_u32 s11, s11, s20
	s_mul_i32 s2, s17, s20
	s_mov_b32 s3, 0
	s_add_co_i32 s7, s19, s7
	v_dual_mov_b32 v14, 0 :: v_dual_lshlrev_b32 v19, 2, v11
	v_dual_mov_b32 v11, 0 :: v_dual_lshlrev_b32 v24, 2, v11
	v_bfe_u32 v10, v2, 3, 2
	v_dual_mov_b32 v8, 0 :: v_dual_and_b32 v5, 30, v2
	v_mad_co_u64_u32 v[2:3], null, 0x120, v4, v[0:1]
	s_add_co_i32 s11, s20, s11
	s_mul_u64 s[26:27], s[2:3], 36
	s_mul_i32 s2, s9, s19
	s_lshr_b32 s7, s7, s23
	s_lshr_b32 s11, s11, s24
	s_mul_u64 s[24:25], s[2:3], 36
	s_mul_i32 s7, s7, s8
	s_wait_kmcnt 0x0
	s_add_nc_u64 s[8:9], s[14:15], s[26:27]
	v_dual_mov_b32 v16, 0 :: v_dual_lshlrev_b32 v7, 3, v15
	s_add_nc_u64 s[8:9], s[8:9], s[24:25]
	v_lshlrev_b32_e32 v18, 1, v10
	v_add_co_u32 v2, s2, s8, v2
	s_delay_alu instid0(VALU_DEP_1)
	v_add_co_ci_u32_e64 v3, null, s9, v3, s2
	v_cmp_lt_u32_e32 vcc_lo, 15, v5
	v_mad_co_u64_u32 v[4:5], null, s5, 3, v[7:8]
	v_mad_co_u64_u32 v[0:1], null, v18, 36, s[8:9]
	;; [unrolled: 1-line block ×3, first 2 shown]
	v_add_co_u32 v2, s2, v2, 36
	s_mul_i32 s4, s4, ttmp9
	v_lshlrev_b32_e32 v17, 5, v10
	v_add_co_ci_u32_e64 v3, null, 0, v3, s2
	v_lshl_add_u32 v20, s5, 1, v7
	v_lshl_add_u32 v21, s5, 2, v7
	v_add_nc_u32_e32 v22, s5, v7
	v_dual_mov_b32 v10, 0 :: v_dual_lshlrev_b32 v23, 1, v10
	s_mul_i32 s11, s11, s16
	s_wait_alu 0xfffe
	s_add_co_i32 s7, s7, s4
	s_delay_alu instid0(SALU_CYCLE_1)
	s_add_co_i32 s4, s11, s7
	s_branch .LBB141_3
.LBB141_2:                              ;   in Loop: Header=BB141_3 Depth=1
	s_wait_alu 0xfffe
	s_or_b32 exec_lo, exec_lo, s2
	s_wait_loadcnt 0x25
	v_ashrrev_i32_e32 v6, v18, v54
	v_ashrrev_i32_e32 v7, v18, v53
	v_and_b32_e32 v54, 0xf0f0f0f, v51
	v_and_b32_e32 v53, 0xf0f0f0f, v52
	v_lshrrev_b32_e32 v52, 4, v52
	v_lshlrev_b32_e32 v58, 4, v6
	v_lshlrev_b32_e32 v78, 4, v7
	;; [unrolled: 1-line block ×3, first 2 shown]
	s_wait_loadcnt 0x9
	v_dot4_i32_iu8 v77, 0x1010101, v76, 0 neg_lo:[1,1,0]
	v_and_b32_e32 v52, 0xf0f0f0f, v52
	v_and_or_b32 v54, 0x10101010, v58, v54
	v_and_or_b32 v53, 0x10101010, v78, v53
	v_lshrrev_b32_e32 v51, 4, v51
	v_add_nc_u32_e32 v15, 2, v15
	v_and_or_b32 v7, 0x10101010, v7, v52
	v_dot4_i32_iu8 v58, v54, v76, 0 neg_lo:[1,1,0]
	v_and_b32_e32 v76, 0xff, v61
	v_lshrrev_b16 v61, 8, v61
	v_add_co_u32 v2, s2, 0x240, v2
	s_delay_alu instid0(VALU_DEP_4)
	v_dot4_i32_iu8 v52, v53, v72, v58 neg_lo:[1,1,0]
	s_wait_loadcnt 0x7
	v_dot4_i32_iu8 v58, 0x1010101, v73, 0 neg_lo:[1,1,0]
	v_and_b32_e32 v61, 0xffff, v61
	v_and_b32_e32 v76, 0xffff, v76
	s_wait_alu 0xf1ff
	v_add_co_ci_u32_e64 v3, null, 0, v3, s2
	v_dot4_i32_iu8 v58, 0x1010101, v71, v58 neg_lo:[1,1,0]
	v_cmp_le_u32_e64 s2, s22, v15
	v_add_nc_u32_e32 v20, 16, v20
	v_add_nc_u32_e32 v4, 16, v4
	;; [unrolled: 1-line block ×3, first 2 shown]
	v_mul_lo_u32 v58, v58, v61
	v_lshrrev_b32_e32 v61, 16, v25
	v_add_nc_u32_e32 v5, 16, v5
	v_add_nc_u32_e32 v22, 16, v22
	s_or_b32 s3, s2, s3
	s_delay_alu instid0(VALU_DEP_3) | instskip(SKIP_3) | instid1(VALU_DEP_2)
	v_cvt_f32_f16_e32 v61, v61
	v_and_b32_e32 v51, 0xf0f0f0f, v51
	v_lshlrev_b32_e32 v6, 3, v6
	v_cvt_f32_i32_e32 v58, v58
	v_and_or_b32 v6, 0x10101010, v6, v51
	v_dot4_i32_iu8 v51, 0x1010101, v72, v77 neg_lo:[1,1,0]
	s_delay_alu instid0(VALU_DEP_2) | instskip(SKIP_2) | instid1(VALU_DEP_4)
	v_dot4_i32_iu8 v72, v6, v73, 0 neg_lo:[1,1,0]
	v_and_b32_e32 v73, 0xff, v59
	v_lshrrev_b16 v59, 8, v59
	v_mul_lo_u32 v51, v51, v76
	s_delay_alu instid0(VALU_DEP_4) | instskip(NEXT) | instid1(VALU_DEP_4)
	v_dot4_i32_iu8 v71, v7, v71, v72 neg_lo:[1,1,0]
	v_and_b32_e32 v73, 0xffff, v73
	s_delay_alu instid0(VALU_DEP_4) | instskip(NEXT) | instid1(VALU_DEP_2)
	v_and_b32_e32 v59, 0xffff, v59
	v_mul_lo_u32 v52, v52, v73
	v_cvt_f32_i32_e32 v51, v51
	s_delay_alu instid0(VALU_DEP_3) | instskip(NEXT) | instid1(VALU_DEP_2)
	v_mul_lo_u32 v59, v71, v59
	v_fma_mix_f32 v51, v67, v51, 0 op_sel_hi:[1,0,0]
	s_delay_alu instid0(VALU_DEP_4) | instskip(NEXT) | instid1(VALU_DEP_3)
	v_cvt_f32_i32_e32 v52, v52
	v_cvt_f32_i32_e32 v59, v59
	s_wait_loadcnt 0x6
	s_delay_alu instid0(VALU_DEP_3)
	v_fma_mix_f32 v51, v69, v58, v51 op_sel_hi:[1,0,0]
	s_wait_loadcnt 0x3
	v_dot4_i32_iu8 v58, 0x1010101, v75, 0 neg_lo:[1,1,0]
	v_fma_mix_f32 v52, v67, v52, 0 op_sel_hi:[1,0,0]
	v_and_b32_e32 v67, 0xff, v64
	v_lshrrev_b16 v64, 8, v64
	v_mul_f32_e32 v51, v51, v61
	s_delay_alu instid0(VALU_DEP_4)
	v_fma_mix_f32 v52, v69, v59, v52 op_sel_hi:[1,0,0]
	v_and_b32_e32 v69, 0xff, v65
	v_lshrrev_b16 v65, 8, v65
	v_and_b32_e32 v64, 0xffff, v64
	v_dot4_i32_iu8 v59, v54, v75, 0 neg_lo:[1,1,0]
	v_fma_mix_f32 v51, v52, v25, -v51 op_sel_hi:[0,1,0]
	v_dot4_i32_iu8 v52, 0x1010101, v74, v58 neg_lo:[1,1,0]
	v_dot4_i32_iu8 v58, v54, v66, 0 neg_lo:[1,1,0]
	s_delay_alu instid0(VALU_DEP_4) | instskip(NEXT) | instid1(VALU_DEP_4)
	v_dot4_i32_iu8 v59, v53, v74, v59 neg_lo:[1,1,0]
	v_add_f32_e32 v10, v10, v51
	v_dot4_i32_iu8 v51, 0x1010101, v66, 0 neg_lo:[1,1,0]
	v_dot4_i32_iu8 v66, v6, v62, 0 neg_lo:[1,1,0]
	;; [unrolled: 1-line block ×4, first 2 shown]
	s_delay_alu instid0(VALU_DEP_4) | instskip(NEXT) | instid1(VALU_DEP_4)
	v_dot4_i32_iu8 v51, 0x1010101, v63, v51 neg_lo:[1,1,0]
	v_dot4_i32_iu8 v63, v7, v60, v66 neg_lo:[1,1,0]
	v_and_b32_e32 v66, 0xffff, v67
	v_and_b32_e32 v67, 0xffff, v69
	v_dot4_i32_iu8 v60, 0x1010101, v60, v62 neg_lo:[1,1,0]
	v_and_b32_e32 v62, 0xffff, v65
	v_mul_lo_u32 v63, v63, v64
	v_mul_lo_u32 v58, v58, v66
	;; [unrolled: 1-line block ×3, first 2 shown]
	s_wait_loadcnt 0x1
	v_dot4_i32_iu8 v66, v6, v70, 0 neg_lo:[1,1,0]
	v_mul_lo_u32 v60, v60, v62
	v_dot4_i32_iu8 v62, v54, v50, 0 neg_lo:[1,1,0]
	v_dot4_i32_iu8 v50, 0x1010101, v50, 0 neg_lo:[1,1,0]
	;; [unrolled: 1-line block ×4, first 2 shown]
	v_cvt_f32_i32_e32 v58, v58
	v_cvt_f32_i32_e32 v51, v51
	v_and_b32_e32 v66, 0xff, v49
	v_cvt_f32_i32_e32 v60, v60
	v_dot4_i32_iu8 v62, v53, v47, v62 neg_lo:[1,1,0]
	v_fma_mix_f32 v58, v57, v58, 0 op_sel_hi:[1,0,0]
	v_fma_mix_f32 v51, v57, v51, 0 op_sel_hi:[1,0,0]
	v_cvt_f32_i32_e32 v57, v63
	v_and_b32_e32 v63, 0xff, v48
	v_dot4_i32_iu8 v47, 0x1010101, v47, v50 neg_lo:[1,1,0]
	v_lshrrev_b16 v49, 8, v49
	v_fma_mix_f32 v51, v56, v60, v51 op_sel_hi:[1,0,0]
	v_dot4_i32_iu8 v60, 0x1010101, v44, 0 neg_lo:[1,1,0]
	v_and_b32_e32 v50, 0xffff, v63
	v_and_b32_e32 v63, 0xffff, v66
	v_fma_mix_f32 v56, v56, v57, v58 op_sel_hi:[1,0,0]
	v_and_b32_e32 v49, 0xffff, v49
	v_dot4_i32_iu8 v57, 0x1010101, v43, v60 neg_lo:[1,1,0]
	v_mul_lo_u32 v50, v62, v50
	v_mul_lo_u32 v47, v47, v63
	v_dot4_i32_iu8 v44, v6, v44, 0 neg_lo:[1,1,0]
	v_lshrrev_b16 v48, 8, v48
	v_mul_lo_u32 v49, v57, v49
	v_dot4_i32_iu8 v65, 0x1010101, v68, v67 neg_lo:[1,1,0]
	v_mul_f32_e32 v51, v51, v61
	v_dot4_i32_iu8 v43, v7, v43, v44 neg_lo:[1,1,0]
	v_cvt_f32_i32_e32 v50, v50
	v_cvt_f32_i32_e32 v47, v47
	v_and_b32_e32 v44, 0xffff, v48
	s_delay_alu instid0(VALU_DEP_3) | instskip(NEXT) | instid1(VALU_DEP_3)
	v_fma_mix_f32 v48, v42, v50, 0 op_sel_hi:[1,0,0]
	v_fma_mix_f32 v42, v42, v47, 0 op_sel_hi:[1,0,0]
	v_dot4_i32_iu8 v47, v54, v40, 0 neg_lo:[1,1,0]
	v_dot4_i32_iu8 v40, 0x1010101, v40, 0 neg_lo:[1,1,0]
	v_mul_lo_u32 v43, v43, v44
	v_cvt_f32_i32_e32 v44, v49
	v_and_b32_e32 v49, 0xff, v38
	v_dot4_i32_iu8 v47, v53, v37, v47 neg_lo:[1,1,0]
	v_dot4_i32_iu8 v37, 0x1010101, v37, v40 neg_lo:[1,1,0]
	v_and_b32_e32 v40, 0xff, v39
	v_dot4_i32_iu8 v50, v6, v36, 0 neg_lo:[1,1,0]
	v_and_b32_e32 v49, 0xffff, v49
	v_dot4_i32_iu8 v36, 0x1010101, v36, 0 neg_lo:[1,1,0]
	v_lshrrev_b16 v39, 8, v39
	v_and_b32_e32 v40, 0xffff, v40
	v_lshrrev_b16 v38, 8, v38
	v_mul_lo_u32 v47, v47, v49
	v_dot4_i32_iu8 v49, v7, v35, v50 neg_lo:[1,1,0]
	v_dot4_i32_iu8 v35, 0x1010101, v35, v36 neg_lo:[1,1,0]
	v_mul_lo_u32 v36, v37, v40
	v_and_b32_e32 v37, 0xffff, v38
	v_and_b32_e32 v38, 0xffff, v39
	v_cvt_f32_i32_e32 v39, v43
	v_fma_mix_f32 v40, v41, v44, v42 op_sel_hi:[1,0,0]
	v_cvt_f32_i32_e32 v42, v47
	v_mul_lo_u32 v37, v49, v37
	v_mul_lo_u32 v35, v35, v38
	v_cvt_f32_i32_e32 v36, v36
	v_fma_mix_f32 v38, v41, v39, v48 op_sel_hi:[1,0,0]
	v_mul_f32_e32 v39, v40, v61
	v_dot4_i32_iu8 v40, v54, v32, 0 neg_lo:[1,1,0]
	v_fma_mix_f32 v41, v34, v42, 0 op_sel_hi:[1,0,0]
	v_fma_mix_f32 v34, v34, v36, 0 op_sel_hi:[1,0,0]
	v_cvt_f32_i32_e32 v36, v37
	v_cvt_f32_i32_e32 v35, v35
	v_dot4_i32_iu8 v32, 0x1010101, v32, 0 neg_lo:[1,1,0]
	v_dot4_i32_iu8 v6, v6, v31, 0 neg_lo:[1,1,0]
	v_dot4_i32_iu8 v37, v53, v30, v40 neg_lo:[1,1,0]
	v_fma_mix_f32 v36, v33, v36, v41 op_sel_hi:[1,0,0]
	v_fma_mix_f32 v33, v33, v35, v34 op_sel_hi:[1,0,0]
	v_dot4_i32_iu8 v30, 0x1010101, v30, v32 neg_lo:[1,1,0]
	v_dot4_i32_iu8 v31, 0x1010101, v31, 0 neg_lo:[1,1,0]
	v_lshrrev_b16 v34, 8, v29
	v_dot4_i32_iu8 v6, v7, v28, v6 neg_lo:[1,1,0]
	v_and_b32_e32 v7, 0xff, v29
	v_and_b32_e32 v35, 0xff00ff, v55
	v_bfe_u32 v40, v29, 16, 8
	v_dot4_i32_iu8 v28, 0x1010101, v28, v31 neg_lo:[1,1,0]
	v_and_b32_e32 v31, 0xffff, v34
	v_mul_lo_u32 v7, v30, v7
	v_lshrrev_b32_e32 v30, 16, v35
	v_pk_lshrrev_b16 v34, 8, v55 op_sel_hi:[0,1]
	v_mul_lo_u32 v32, v37, v40
	v_and_b32_e32 v35, 0xff, v35
	v_lshrrev_b32_e32 v29, 24, v29
	v_mul_lo_u32 v30, v52, v30
	v_lshrrev_b32_e32 v37, 16, v34
	v_cvt_f32_i32_e32 v7, v7
	v_mul_lo_u32 v28, v28, v31
	v_mul_lo_u32 v31, v59, v35
	v_cvt_f32_i32_e32 v32, v32
	v_and_b32_e32 v34, 0xff, v34
	v_mul_lo_u32 v35, v65, v37
	v_mul_lo_u32 v6, v6, v29
	v_cvt_f32_i32_e32 v29, v30
	v_fma_mix_f32 v32, v27, v32, 0 op_sel_hi:[1,0,0]
	v_fma_mix_f32 v7, v27, v7, 0 op_sel_hi:[1,0,0]
	v_mul_lo_u32 v27, v64, v34
	v_cvt_f32_i32_e32 v28, v28
	v_cvt_f32_i32_e32 v30, v31
	v_fma_mix_f32 v29, v45, v29, 0 op_sel_hi:[1,0,0]
	v_cvt_f32_i32_e32 v31, v35
	v_cvt_f32_i32_e32 v6, v6
	v_fma_mix_f32 v7, v26, v28, v7 op_sel_hi:[1,0,0]
	v_fma_mix_f32 v28, v45, v30, 0 op_sel_hi:[1,0,0]
	v_cvt_f32_i32_e32 v27, v27
	s_wait_loadcnt 0x0
	v_fma_mix_f32 v29, v46, v31, v29 op_sel_hi:[1,0,0]
	v_mul_f32_e32 v30, v33, v61
	v_fma_mix_f32 v6, v26, v6, v32 op_sel_hi:[1,0,0]
	v_mul_f32_e32 v7, v7, v61
	;; [unrolled: 2-line block ×3, first 2 shown]
	v_fma_mix_f32 v28, v56, v25, -v51 op_sel_hi:[0,1,0]
	v_fma_mix_f32 v29, v38, v25, -v39 op_sel_hi:[0,1,0]
	;; [unrolled: 1-line block ×5, first 2 shown]
	s_delay_alu instid0(VALU_DEP_4) | instskip(NEXT) | instid1(VALU_DEP_4)
	v_dual_add_f32 v11, v11, v28 :: v_dual_add_f32 v12, v12, v29
	v_add_f32_e32 v14, v14, v30
	s_delay_alu instid0(VALU_DEP_4) | instskip(NEXT) | instid1(VALU_DEP_4)
	v_add_f32_e32 v16, v16, v6
	v_add_f32_e32 v8, v8, v7
	s_wait_alu 0xfffe
	s_and_not1_b32 exec_lo, exec_lo, s3
	s_cbranch_execz .LBB141_25
.LBB141_3:                              ; =>This Inner Loop Header: Depth=1
	s_wait_alu 0xfffe
	v_add_nc_u32_e32 v6, s4, v15
                                        ; implicit-def: $vgpr58
                                        ; implicit-def: $vgpr29
	s_delay_alu instid0(VALU_DEP_1) | instskip(NEXT) | instid1(VALU_DEP_1)
	v_mad_co_i64_i32 v[6:7], null, 0xb0, v6, s[12:13]
	v_add_co_u32 v27, s2, v6, v17
	s_wait_alu 0xf1ff
	s_delay_alu instid0(VALU_DEP_2)
	v_add_co_ci_u32_e64 v28, null, 0, v7, s2
	v_add_co_u32 v25, s2, v6, v19
	s_wait_alu 0xf1ff
	v_add_co_ci_u32_e64 v26, null, 0, v7, s2
	v_add_co_u32 v27, s2, v27, v19
	s_wait_alu 0xf1ff
	;; [unrolled: 3-line block ×3, first 2 shown]
	v_add_co_ci_u32_e64 v34, null, 0, v3, s2
	s_clause 0x4
	global_load_b32 v52, v[27:28], off offset:48
	global_load_b32 v51, v[27:28], off offset:64
	;; [unrolled: 1-line block ×4, first 2 shown]
	global_load_b32 v25, v[6:7], off
	s_clause 0x5
	global_load_b32 v27, v[2:3], off offset:-36
	global_load_b32 v30, v[33:34], off offset:-32
	;; [unrolled: 1-line block ×3, first 2 shown]
	global_load_b32 v26, v[2:3], off
	global_load_b32 v28, v[33:34], off offset:4
	global_load_b32 v31, v[33:34], off offset:20
	v_add_co_u32 v6, s2, v6, v23
	s_wait_alu 0xf1ff
	v_add_co_ci_u32_e64 v7, null, 0, v7, s2
	s_and_saveexec_b32 s2, vcc_lo
	s_wait_alu 0xfffe
	s_xor_b32 s2, exec_lo, s2
	s_cbranch_execz .LBB141_5
; %bb.4:                                ;   in Loop: Header=BB141_3 Depth=1
	s_clause 0x1
	global_load_u16 v29, v[6:7], off offset:8
	global_load_u16 v33, v[6:7], off offset:4
	s_wait_loadcnt 0x1
	v_mov_b32_e32 v34, v29
	s_wait_loadcnt 0x0
	v_perm_b32 v58, v29, v33, 0x5040100
	s_delay_alu instid0(VALU_DEP_1) | instskip(NEXT) | instid1(VALU_DEP_1)
	v_pk_lshrrev_b16 v29, 2, v58
	v_and_b32_e32 v29, 0xf0f3030, v29
	global_load_d16_hi_b16 v34, v[6:7], off
	s_wait_loadcnt 0x0
	v_pk_lshrrev_b16 v33, 0x20004, v34
	s_delay_alu instid0(VALU_DEP_1)
	v_and_or_b32 v29, 0x30300f0f, v33, v29
.LBB141_5:                              ;   in Loop: Header=BB141_3 Depth=1
	s_wait_alu 0xfffe
	s_and_not1_saveexec_b32 s2, s2
	s_cbranch_execz .LBB141_7
; %bb.6:                                ;   in Loop: Header=BB141_3 Depth=1
	s_clause 0x1
	global_load_u16 v33, v[6:7], off offset:4
	global_load_u16 v34, v[6:7], off offset:8
	s_wait_loadcnt 0x0
	v_perm_b32 v29, v33, v34, 0x5040100
	v_perm_b32 v58, v34, v33, 0x5040100
	s_delay_alu instid0(VALU_DEP_2)
	v_and_b32_e32 v29, 0x3f3f3f3f, v29
.LBB141_7:                              ;   in Loop: Header=BB141_3 Depth=1
	s_wait_alu 0xfffe
	s_or_b32 exec_lo, exec_lo, s2
	v_mad_co_u64_u32 v[38:39], null, v22, 36, v[0:1]
	v_lshrrev_b32_e32 v67, 16, v58
	v_lshrrev_b16 v55, 2, v58
	s_delay_alu instid0(VALU_DEP_2) | instskip(NEXT) | instid1(VALU_DEP_4)
	v_and_b32_e32 v45, 0xf0f, v67
	v_add_co_u32 v41, s2, v38, v24
	s_wait_alu 0xf1ff
	v_add_co_ci_u32_e64 v42, null, 0, v39, s2
	s_clause 0x5
	global_load_b32 v34, v[38:39], off
	global_load_b32 v37, v[41:42], off offset:4
	global_load_b32 v40, v[41:42], off offset:20
	;; [unrolled: 1-line block ×5, first 2 shown]
	v_lshrrev_b32_e32 v38, 20, v58
                                        ; implicit-def: $vgpr39
	s_delay_alu instid0(VALU_DEP_1)
	v_and_b32_e32 v46, 0xf0f, v38
                                        ; implicit-def: $vgpr38
	s_and_saveexec_b32 s2, vcc_lo
	s_wait_alu 0xfffe
	s_xor_b32 s2, exec_lo, s2
	s_cbranch_execz .LBB141_9
; %bb.8:                                ;   in Loop: Header=BB141_3 Depth=1
	global_load_u16 v38, v[6:7], off
	v_and_b32_e32 v39, 0x3030, v55
	s_delay_alu instid0(VALU_DEP_1) | instskip(SKIP_2) | instid1(VALU_DEP_1)
	v_or_b32_e32 v39, v39, v46
	s_wait_loadcnt 0x0
	v_lshrrev_b16 v38, 2, v38
	v_and_b32_e32 v38, 0x3030, v38
	s_delay_alu instid0(VALU_DEP_1)
	v_or_b32_e32 v38, v38, v45
.LBB141_9:                              ;   in Loop: Header=BB141_3 Depth=1
	s_wait_alu 0xfffe
	s_or_saveexec_b32 s2, s2
	v_and_b32_e32 v59, 0x3f3f, v58
	v_and_b32_e32 v61, 0x3f3f, v67
	s_wait_alu 0xfffe
	s_xor_b32 exec_lo, exec_lo, s2
; %bb.10:                               ;   in Loop: Header=BB141_3 Depth=1
	v_and_b32_e32 v38, 0x3f3f, v58
	v_and_b32_e32 v39, 0x3f3f, v67
; %bb.11:                               ;   in Loop: Header=BB141_3 Depth=1
	s_or_b32 exec_lo, exec_lo, s2
	v_mad_co_u64_u32 v[48:49], null, v20, 36, v[0:1]
	s_delay_alu instid0(VALU_DEP_1) | instskip(SKIP_1) | instid1(VALU_DEP_2)
	v_add_co_u32 v56, s2, v48, v24
	s_wait_alu 0xf1ff
	v_add_co_ci_u32_e64 v57, null, 0, v49, s2
	s_clause 0x5
	global_load_b32 v42, v[48:49], off
	global_load_b32 v47, v[56:57], off offset:4
	global_load_b32 v50, v[56:57], off offset:20
	;; [unrolled: 1-line block ×5, first 2 shown]
                                        ; implicit-def: $vgpr48
                                        ; implicit-def: $vgpr49
	s_and_saveexec_b32 s2, vcc_lo
	s_wait_alu 0xfffe
	s_xor_b32 s2, exec_lo, s2
	s_cbranch_execz .LBB141_13
; %bb.12:                               ;   in Loop: Header=BB141_3 Depth=1
	global_load_u16 v48, v[6:7], off
	v_and_b32_e32 v49, 0x3030, v55
	s_delay_alu instid0(VALU_DEP_1) | instskip(SKIP_2) | instid1(VALU_DEP_1)
	v_or_b32_e32 v49, v49, v46
	s_wait_loadcnt 0x0
	v_lshrrev_b16 v48, 2, v48
	v_and_b32_e32 v48, 0x3030, v48
	s_delay_alu instid0(VALU_DEP_1)
	v_or_b32_e32 v48, v48, v45
.LBB141_13:                             ;   in Loop: Header=BB141_3 Depth=1
	s_wait_alu 0xfffe
	s_and_not1_saveexec_b32 s2, s2
; %bb.14:                               ;   in Loop: Header=BB141_3 Depth=1
	v_and_b32_e32 v48, 0x3f3f, v58
	v_and_b32_e32 v49, 0x3f3f, v67
; %bb.15:                               ;   in Loop: Header=BB141_3 Depth=1
	s_wait_alu 0xfffe
	s_or_b32 exec_lo, exec_lo, s2
	v_mad_co_u64_u32 v[64:65], null, v4, 36, v[0:1]
	s_delay_alu instid0(VALU_DEP_1) | instskip(SKIP_1) | instid1(VALU_DEP_2)
	v_add_co_u32 v68, s2, v64, v24
	s_wait_alu 0xf1ff
	v_add_co_ci_u32_e64 v69, null, 0, v65, s2
	s_clause 0x5
	global_load_b32 v57, v[64:65], off
	global_load_b32 v63, v[68:69], off offset:4
	global_load_b32 v66, v[68:69], off offset:20
	;; [unrolled: 1-line block ×5, first 2 shown]
                                        ; implicit-def: $vgpr64
                                        ; implicit-def: $vgpr65
	s_and_saveexec_b32 s2, vcc_lo
	s_wait_alu 0xfffe
	s_xor_b32 s2, exec_lo, s2
	s_cbranch_execz .LBB141_17
; %bb.16:                               ;   in Loop: Header=BB141_3 Depth=1
	global_load_u16 v64, v[6:7], off
	v_and_b32_e32 v65, 0x3030, v55
                                        ; implicit-def: $vgpr67
	s_delay_alu instid0(VALU_DEP_1) | instskip(SKIP_2) | instid1(VALU_DEP_1)
	v_or_b32_e32 v65, v65, v46
	s_wait_loadcnt 0x0
	v_lshrrev_b16 v64, 2, v64
	v_and_b32_e32 v64, 0x3030, v64
	s_delay_alu instid0(VALU_DEP_1)
	v_or_b32_e32 v64, v64, v45
.LBB141_17:                             ;   in Loop: Header=BB141_3 Depth=1
	s_wait_alu 0xfffe
	s_and_not1_saveexec_b32 s2, s2
; %bb.18:                               ;   in Loop: Header=BB141_3 Depth=1
	v_and_b32_e32 v64, 0x3f3f, v58
	v_and_b32_e32 v65, 0x3f3f, v67
; %bb.19:                               ;   in Loop: Header=BB141_3 Depth=1
	s_wait_alu 0xfffe
	s_or_b32 exec_lo, exec_lo, s2
	v_mad_co_u64_u32 v[68:69], null, v21, 36, v[0:1]
	s_delay_alu instid0(VALU_DEP_1) | instskip(SKIP_1) | instid1(VALU_DEP_2)
	v_add_co_u32 v73, s2, v68, v24
	s_wait_alu 0xf1ff
	v_add_co_ci_u32_e64 v74, null, 0, v69, s2
	s_clause 0x5
	global_load_b32 v67, v[68:69], off
	global_load_b32 v72, v[73:74], off offset:4
	global_load_b32 v76, v[73:74], off offset:20
	;; [unrolled: 1-line block ×5, first 2 shown]
	s_and_saveexec_b32 s2, vcc_lo
	s_wait_alu 0xfffe
	s_xor_b32 s2, exec_lo, s2
	s_cbranch_execz .LBB141_21
; %bb.20:                               ;   in Loop: Header=BB141_3 Depth=1
	global_load_u16 v59, v[6:7], off
	v_and_b32_e32 v55, 0x3030, v55
	s_delay_alu instid0(VALU_DEP_1) | instskip(SKIP_2) | instid1(VALU_DEP_1)
	v_or_b32_e32 v61, v55, v46
	s_wait_loadcnt 0x0
	v_lshrrev_b16 v59, 2, v59
	v_and_b32_e32 v59, 0x3030, v59
	s_delay_alu instid0(VALU_DEP_1)
	v_or_b32_e32 v59, v59, v45
.LBB141_21:                             ;   in Loop: Header=BB141_3 Depth=1
	s_wait_alu 0xfffe
	s_and_not1_saveexec_b32 s2, s2
	s_wait_alu 0xfffe
	s_or_b32 exec_lo, exec_lo, s2
	v_mad_co_u64_u32 v[77:78], null, v5, 36, v[0:1]
                                        ; implicit-def: $vgpr55
	s_delay_alu instid0(VALU_DEP_1) | instskip(SKIP_1) | instid1(VALU_DEP_2)
	v_add_co_u32 v79, s2, v77, v24
	s_wait_alu 0xf1ff
	v_add_co_ci_u32_e64 v80, null, 0, v78, s2
	s_clause 0x5
	global_load_b32 v45, v[77:78], off
	global_load_b32 v74, v[79:80], off offset:4
	global_load_b32 v75, v[79:80], off offset:20
	;; [unrolled: 1-line block ×5, first 2 shown]
	s_and_saveexec_b32 s2, vcc_lo
	s_wait_alu 0xfffe
	s_xor_b32 s2, exec_lo, s2
	s_cbranch_execz .LBB141_23
; %bb.22:                               ;   in Loop: Header=BB141_3 Depth=1
	global_load_u16 v6, v[6:7], off
	v_pk_lshrrev_b16 v7, 4, v58 op_sel:[1,1] op_sel_hi:[0,1]
	s_delay_alu instid0(VALU_DEP_1) | instskip(SKIP_2) | instid1(VALU_DEP_1)
	v_and_b32_e32 v7, 0xf0f0f0f, v7
	s_wait_loadcnt 0x0
	v_perm_b32 v6, v58, v6, 0x5040100
                                        ; implicit-def: $vgpr58
	v_pk_lshrrev_b16 v6, 2, v6 op_sel_hi:[0,1]
	s_delay_alu instid0(VALU_DEP_1)
	v_and_or_b32 v55, 0x30303030, v6, v7
.LBB141_23:                             ;   in Loop: Header=BB141_3 Depth=1
	s_wait_alu 0xfffe
	s_and_not1_saveexec_b32 s2, s2
	s_cbranch_execz .LBB141_2
; %bb.24:                               ;   in Loop: Header=BB141_3 Depth=1
	v_and_b32_e32 v55, 0x3f3f3f3f, v58
	s_branch .LBB141_2
.LBB141_25:
	s_or_b32 exec_lo, exec_lo, s3
.LBB141_26:
	s_delay_alu instid0(SALU_CYCLE_1)
	s_or_b32 exec_lo, exec_lo, s21
	s_mov_b32 s3, 0
	; wave barrier
	global_inv scope:SCOPE_SE
	s_mov_b32 s2, exec_lo
	v_cmpx_eq_u32_e32 0, v13
	s_cbranch_execz .LBB141_39
; %bb.27:
	v_mbcnt_lo_u32_b32 v4, -1, 0
	s_load_b64 s[0:1], s[0:1], 0x38
	s_mul_i32 s2, s10, s19
	s_mul_i32 s4, s18, s20
	s_wait_alu 0xfffe
	s_add_co_i32 s2, s2, ttmp9
	v_xor_b32_e32 v0, 16, v4
	v_xor_b32_e32 v1, 8, v4
	;; [unrolled: 1-line block ×3, first 2 shown]
	s_wait_alu 0xfffe
	s_add_co_i32 s2, s2, s4
	s_wait_alu 0xfffe
	s_lshl_b64 s[2:3], s[2:3], 2
	v_cmp_gt_i32_e32 vcc_lo, 32, v0
	v_cndmask_b32_e32 v0, v4, v0, vcc_lo
	v_cmp_gt_i32_e32 vcc_lo, 32, v1
	s_wait_kmcnt 0x0
	s_wait_alu 0xfffe
	s_add_nc_u64 s[0:1], s[0:1], s[2:3]
	s_wait_alu 0xfffd
	v_cndmask_b32_e32 v1, v4, v1, vcc_lo
	s_delay_alu instid0(VALU_DEP_1)
	v_lshlrev_b32_e32 v1, 2, v1
	v_lshlrev_b32_e32 v0, 2, v0
	ds_bpermute_b32 v2, v0, v16
	s_wait_dscnt 0x0
	v_add_f32_e32 v3, v16, v2
	v_xor_b32_e32 v2, 4, v4
	ds_bpermute_b32 v5, v1, v3
	v_cmp_gt_i32_e32 vcc_lo, 32, v2
	s_wait_dscnt 0x0
	s_wait_alu 0xfffd
	v_dual_cndmask_b32 v2, v4, v2 :: v_dual_add_f32 v5, v3, v5
	s_delay_alu instid0(VALU_DEP_1)
	v_lshlrev_b32_e32 v2, 2, v2
	v_xor_b32_e32 v3, 2, v4
	ds_bpermute_b32 v6, v2, v5
	v_cmp_gt_i32_e32 vcc_lo, 32, v3
	s_wait_alu 0xfffd
	v_cndmask_b32_e32 v3, v4, v3, vcc_lo
	v_cmp_gt_i32_e32 vcc_lo, 32, v7
	s_wait_alu 0xfffd
	v_cndmask_b32_e32 v4, v4, v7, vcc_lo
	v_cmp_eq_u32_e32 vcc_lo, 0, v9
	s_delay_alu instid0(VALU_DEP_2)
	v_lshlrev_b32_e32 v4, 2, v4
	v_lshlrev_b32_e32 v3, 2, v3
	s_wait_dscnt 0x0
	v_add_f32_e32 v5, v5, v6
	ds_bpermute_b32 v6, v3, v5
	s_wait_dscnt 0x0
	v_add_f32_e32 v5, v5, v6
	ds_bpermute_b32 v6, v4, v5
	s_and_saveexec_b32 s2, vcc_lo
	s_cbranch_execz .LBB141_29
; %bb.28:
	s_wait_dscnt 0x0
	v_dual_add_f32 v5, v5, v6 :: v_dual_mov_b32 v6, 0
	global_store_b32 v6, v5, s[0:1]
.LBB141_29:
	s_wait_alu 0xfffe
	s_or_b32 exec_lo, exec_lo, s2
	ds_bpermute_b32 v5, v0, v14
	s_wait_dscnt 0x0
	v_add_f32_e32 v5, v14, v5
	ds_bpermute_b32 v6, v1, v5
	s_wait_dscnt 0x0
	v_add_f32_e32 v5, v5, v6
	;; [unrolled: 3-line block ×4, first 2 shown]
	ds_bpermute_b32 v6, v4, v5
	s_and_saveexec_b32 s2, vcc_lo
	s_cbranch_execz .LBB141_31
; %bb.30:
	s_mov_b32 s7, 0
	s_wait_dscnt 0x0
	v_dual_add_f32 v5, v5, v6 :: v_dual_mov_b32 v6, 0
	s_lshl_b64 s[4:5], s[6:7], 2
	s_wait_alu 0xfffe
	s_add_nc_u64 s[4:5], s[0:1], s[4:5]
	global_store_b32 v6, v5, s[4:5]
.LBB141_31:
	s_wait_alu 0xfffe
	s_or_b32 exec_lo, exec_lo, s2
	ds_bpermute_b32 v5, v0, v12
	s_wait_dscnt 0x0
	v_add_f32_e32 v5, v12, v5
	ds_bpermute_b32 v6, v1, v5
	s_wait_dscnt 0x0
	v_add_f32_e32 v5, v5, v6
	;; [unrolled: 3-line block ×4, first 2 shown]
	ds_bpermute_b32 v6, v4, v5
	s_and_saveexec_b32 s2, vcc_lo
	s_cbranch_execz .LBB141_33
; %bb.32:
	s_lshl_b32 s4, s6, 1
	s_mov_b32 s5, 0
	s_wait_dscnt 0x0
	v_dual_add_f32 v5, v5, v6 :: v_dual_mov_b32 v6, 0
	s_wait_alu 0xfffe
	s_lshl_b64 s[4:5], s[4:5], 2
	s_wait_alu 0xfffe
	s_add_nc_u64 s[4:5], s[0:1], s[4:5]
	global_store_b32 v6, v5, s[4:5]
.LBB141_33:
	s_wait_alu 0xfffe
	s_or_b32 exec_lo, exec_lo, s2
	ds_bpermute_b32 v5, v0, v11
	s_wait_dscnt 0x0
	v_add_f32_e32 v5, v11, v5
	ds_bpermute_b32 v6, v1, v5
	s_wait_dscnt 0x0
	v_add_f32_e32 v5, v5, v6
	;; [unrolled: 3-line block ×4, first 2 shown]
	ds_bpermute_b32 v6, v4, v5
	s_and_saveexec_b32 s2, vcc_lo
	s_cbranch_execz .LBB141_35
; %bb.34:
	s_mul_i32 s4, s6, 3
	s_mov_b32 s5, 0
	s_wait_dscnt 0x0
	v_dual_add_f32 v5, v5, v6 :: v_dual_mov_b32 v6, 0
	s_wait_alu 0xfffe
	s_lshl_b64 s[4:5], s[4:5], 2
	s_wait_alu 0xfffe
	s_add_nc_u64 s[4:5], s[0:1], s[4:5]
	global_store_b32 v6, v5, s[4:5]
.LBB141_35:
	s_wait_alu 0xfffe
	s_or_b32 exec_lo, exec_lo, s2
	ds_bpermute_b32 v5, v0, v10
	s_wait_dscnt 0x0
	v_add_f32_e32 v5, v10, v5
	ds_bpermute_b32 v6, v1, v5
	s_wait_dscnt 0x0
	v_add_f32_e32 v5, v5, v6
	;; [unrolled: 3-line block ×4, first 2 shown]
	ds_bpermute_b32 v6, v4, v5
	s_and_saveexec_b32 s2, vcc_lo
	s_cbranch_execz .LBB141_37
; %bb.36:
	s_lshl_b32 s4, s6, 2
	s_mov_b32 s5, 0
	s_wait_dscnt 0x0
	v_dual_add_f32 v5, v5, v6 :: v_dual_mov_b32 v6, 0
	s_wait_alu 0xfffe
	s_lshl_b64 s[4:5], s[4:5], 2
	s_wait_alu 0xfffe
	s_add_nc_u64 s[4:5], s[0:1], s[4:5]
	global_store_b32 v6, v5, s[4:5]
.LBB141_37:
	s_wait_alu 0xfffe
	s_or_b32 exec_lo, exec_lo, s2
	ds_bpermute_b32 v0, v0, v8
	s_wait_dscnt 0x0
	v_add_f32_e32 v0, v8, v0
	ds_bpermute_b32 v1, v1, v0
	s_wait_dscnt 0x0
	v_add_f32_e32 v0, v0, v1
	;; [unrolled: 3-line block ×4, first 2 shown]
	ds_bpermute_b32 v1, v4, v0
	s_and_b32 exec_lo, exec_lo, vcc_lo
	s_cbranch_execz .LBB141_39
; %bb.38:
	s_mul_i32 s2, s6, 5
	s_mov_b32 s3, 0
	s_wait_dscnt 0x0
	v_dual_add_f32 v0, v0, v1 :: v_dual_mov_b32 v1, 0
	s_wait_alu 0xfffe
	s_lshl_b64 s[2:3], s[2:3], 2
	s_wait_alu 0xfffe
	s_add_nc_u64 s[0:1], s[0:1], s[2:3]
	global_store_b32 v1, v0, s[0:1]
.LBB141_39:
	s_endpgm
	.section	.rodata,"a",@progbits
	.p2align	6, 0x0
	.amdhsa_kernel _ZL13mul_mat_vec_qIL9ggml_type13ELi6ELb0ELb0EEvPKvS2_PKi31ggml_cuda_mm_fusion_args_devicePfj15HIP_vector_typeIjLj3EEjjjS8_jjjS8_jjjj
		.amdhsa_group_segment_fixed_size 0
		.amdhsa_private_segment_fixed_size 0
		.amdhsa_kernarg_size 144
		.amdhsa_user_sgpr_count 2
		.amdhsa_user_sgpr_dispatch_ptr 0
		.amdhsa_user_sgpr_queue_ptr 0
		.amdhsa_user_sgpr_kernarg_segment_ptr 1
		.amdhsa_user_sgpr_dispatch_id 0
		.amdhsa_user_sgpr_private_segment_size 0
		.amdhsa_wavefront_size32 1
		.amdhsa_uses_dynamic_stack 0
		.amdhsa_enable_private_segment 0
		.amdhsa_system_sgpr_workgroup_id_x 1
		.amdhsa_system_sgpr_workgroup_id_y 1
		.amdhsa_system_sgpr_workgroup_id_z 1
		.amdhsa_system_sgpr_workgroup_info 0
		.amdhsa_system_vgpr_workitem_id 1
		.amdhsa_next_free_vgpr 81
		.amdhsa_next_free_sgpr 28
		.amdhsa_reserve_vcc 1
		.amdhsa_float_round_mode_32 0
		.amdhsa_float_round_mode_16_64 0
		.amdhsa_float_denorm_mode_32 3
		.amdhsa_float_denorm_mode_16_64 3
		.amdhsa_fp16_overflow 0
		.amdhsa_workgroup_processor_mode 1
		.amdhsa_memory_ordered 1
		.amdhsa_forward_progress 1
		.amdhsa_inst_pref_size 37
		.amdhsa_round_robin_scheduling 0
		.amdhsa_exception_fp_ieee_invalid_op 0
		.amdhsa_exception_fp_denorm_src 0
		.amdhsa_exception_fp_ieee_div_zero 0
		.amdhsa_exception_fp_ieee_overflow 0
		.amdhsa_exception_fp_ieee_underflow 0
		.amdhsa_exception_fp_ieee_inexact 0
		.amdhsa_exception_int_div_zero 0
	.end_amdhsa_kernel
	.section	.text._ZL13mul_mat_vec_qIL9ggml_type13ELi6ELb0ELb0EEvPKvS2_PKi31ggml_cuda_mm_fusion_args_devicePfj15HIP_vector_typeIjLj3EEjjjS8_jjjS8_jjjj,"axG",@progbits,_ZL13mul_mat_vec_qIL9ggml_type13ELi6ELb0ELb0EEvPKvS2_PKi31ggml_cuda_mm_fusion_args_devicePfj15HIP_vector_typeIjLj3EEjjjS8_jjjS8_jjjj,comdat
.Lfunc_end141:
	.size	_ZL13mul_mat_vec_qIL9ggml_type13ELi6ELb0ELb0EEvPKvS2_PKi31ggml_cuda_mm_fusion_args_devicePfj15HIP_vector_typeIjLj3EEjjjS8_jjjS8_jjjj, .Lfunc_end141-_ZL13mul_mat_vec_qIL9ggml_type13ELi6ELb0ELb0EEvPKvS2_PKi31ggml_cuda_mm_fusion_args_devicePfj15HIP_vector_typeIjLj3EEjjjS8_jjjS8_jjjj
                                        ; -- End function
	.set _ZL13mul_mat_vec_qIL9ggml_type13ELi6ELb0ELb0EEvPKvS2_PKi31ggml_cuda_mm_fusion_args_devicePfj15HIP_vector_typeIjLj3EEjjjS8_jjjS8_jjjj.num_vgpr, 81
	.set _ZL13mul_mat_vec_qIL9ggml_type13ELi6ELb0ELb0EEvPKvS2_PKi31ggml_cuda_mm_fusion_args_devicePfj15HIP_vector_typeIjLj3EEjjjS8_jjjS8_jjjj.num_agpr, 0
	.set _ZL13mul_mat_vec_qIL9ggml_type13ELi6ELb0ELb0EEvPKvS2_PKi31ggml_cuda_mm_fusion_args_devicePfj15HIP_vector_typeIjLj3EEjjjS8_jjjS8_jjjj.numbered_sgpr, 28
	.set _ZL13mul_mat_vec_qIL9ggml_type13ELi6ELb0ELb0EEvPKvS2_PKi31ggml_cuda_mm_fusion_args_devicePfj15HIP_vector_typeIjLj3EEjjjS8_jjjS8_jjjj.num_named_barrier, 0
	.set _ZL13mul_mat_vec_qIL9ggml_type13ELi6ELb0ELb0EEvPKvS2_PKi31ggml_cuda_mm_fusion_args_devicePfj15HIP_vector_typeIjLj3EEjjjS8_jjjS8_jjjj.private_seg_size, 0
	.set _ZL13mul_mat_vec_qIL9ggml_type13ELi6ELb0ELb0EEvPKvS2_PKi31ggml_cuda_mm_fusion_args_devicePfj15HIP_vector_typeIjLj3EEjjjS8_jjjS8_jjjj.uses_vcc, 1
	.set _ZL13mul_mat_vec_qIL9ggml_type13ELi6ELb0ELb0EEvPKvS2_PKi31ggml_cuda_mm_fusion_args_devicePfj15HIP_vector_typeIjLj3EEjjjS8_jjjS8_jjjj.uses_flat_scratch, 0
	.set _ZL13mul_mat_vec_qIL9ggml_type13ELi6ELb0ELb0EEvPKvS2_PKi31ggml_cuda_mm_fusion_args_devicePfj15HIP_vector_typeIjLj3EEjjjS8_jjjS8_jjjj.has_dyn_sized_stack, 0
	.set _ZL13mul_mat_vec_qIL9ggml_type13ELi6ELb0ELb0EEvPKvS2_PKi31ggml_cuda_mm_fusion_args_devicePfj15HIP_vector_typeIjLj3EEjjjS8_jjjS8_jjjj.has_recursion, 0
	.set _ZL13mul_mat_vec_qIL9ggml_type13ELi6ELb0ELb0EEvPKvS2_PKi31ggml_cuda_mm_fusion_args_devicePfj15HIP_vector_typeIjLj3EEjjjS8_jjjS8_jjjj.has_indirect_call, 0
	.section	.AMDGPU.csdata,"",@progbits
; Kernel info:
; codeLenInByte = 4708
; TotalNumSgprs: 30
; NumVgprs: 81
; ScratchSize: 0
; MemoryBound: 0
; FloatMode: 240
; IeeeMode: 1
; LDSByteSize: 0 bytes/workgroup (compile time only)
; SGPRBlocks: 0
; VGPRBlocks: 10
; NumSGPRsForWavesPerEU: 30
; NumVGPRsForWavesPerEU: 81
; Occupancy: 16
; WaveLimiterHint : 0
; COMPUTE_PGM_RSRC2:SCRATCH_EN: 0
; COMPUTE_PGM_RSRC2:USER_SGPR: 2
; COMPUTE_PGM_RSRC2:TRAP_HANDLER: 0
; COMPUTE_PGM_RSRC2:TGID_X_EN: 1
; COMPUTE_PGM_RSRC2:TGID_Y_EN: 1
; COMPUTE_PGM_RSRC2:TGID_Z_EN: 1
; COMPUTE_PGM_RSRC2:TIDIG_COMP_CNT: 1
	.section	.text._ZL13mul_mat_vec_qIL9ggml_type13ELi7ELb0ELb0EEvPKvS2_PKi31ggml_cuda_mm_fusion_args_devicePfj15HIP_vector_typeIjLj3EEjjjS8_jjjS8_jjjj,"axG",@progbits,_ZL13mul_mat_vec_qIL9ggml_type13ELi7ELb0ELb0EEvPKvS2_PKi31ggml_cuda_mm_fusion_args_devicePfj15HIP_vector_typeIjLj3EEjjjS8_jjjS8_jjjj,comdat
	.globl	_ZL13mul_mat_vec_qIL9ggml_type13ELi7ELb0ELb0EEvPKvS2_PKi31ggml_cuda_mm_fusion_args_devicePfj15HIP_vector_typeIjLj3EEjjjS8_jjjS8_jjjj ; -- Begin function _ZL13mul_mat_vec_qIL9ggml_type13ELi7ELb0ELb0EEvPKvS2_PKi31ggml_cuda_mm_fusion_args_devicePfj15HIP_vector_typeIjLj3EEjjjS8_jjjS8_jjjj
	.p2align	8
	.type	_ZL13mul_mat_vec_qIL9ggml_type13ELi7ELb0ELb0EEvPKvS2_PKi31ggml_cuda_mm_fusion_args_devicePfj15HIP_vector_typeIjLj3EEjjjS8_jjjS8_jjjj,@function
_ZL13mul_mat_vec_qIL9ggml_type13ELi7ELb0ELb0EEvPKvS2_PKi31ggml_cuda_mm_fusion_args_devicePfj15HIP_vector_typeIjLj3EEjjjS8_jjjS8_jjjj: ; @_ZL13mul_mat_vec_qIL9ggml_type13ELi7ELb0ELb0EEvPKvS2_PKi31ggml_cuda_mm_fusion_args_devicePfj15HIP_vector_typeIjLj3EEjjjS8_jjjS8_jjjj
; %bb.0:
	s_clause 0x5
	s_load_b96 s[16:18], s[0:1], 0x80
	s_load_b32 s12, s[0:1], 0x40
	s_load_b128 s[4:7], s[0:1], 0x50
	s_load_b32 s2, s[0:1], 0x60
	s_load_b128 s[8:11], s[0:1], 0x68
	s_load_b32 s3, s[0:1], 0x78
	v_bfe_u32 v12, v0, 10, 10
	v_dual_mov_b32 v7, 0 :: v_dual_and_b32 v8, 0x3ff, v0
	v_dual_mov_b32 v6, 0 :: v_dual_mov_b32 v9, 0
	v_dual_mov_b32 v10, 0 :: v_dual_mov_b32 v11, 0
	s_delay_alu instid0(VALU_DEP_3)
	v_lshl_or_b32 v0, v12, 5, v8
	v_mov_b32_e32 v13, 0
	v_mov_b32_e32 v15, 0
	s_and_b32 s19, ttmp7, 0xffff
	s_lshr_b32 s22, ttmp7, 16
	v_lshrrev_b32_e32 v14, 4, v0
	s_mov_b32 s23, exec_lo
	s_wait_kmcnt 0x0
	s_lshr_b32 s24, s12, 8
	s_delay_alu instid0(VALU_DEP_1) | instid1(SALU_CYCLE_1)
	v_cmpx_gt_u32_e64 s24, v14
	s_cbranch_execz .LBB142_30
; %bb.1:
	s_load_b128 s[12:15], s[0:1], 0x0
	v_lshl_add_u32 v0, v12, 5, v8
	v_bfe_u32 v3, v8, 2, 2
	v_lshlrev_b32_e32 v2, 1, v8
	s_mul_hi_u32 s7, s7, s19
	s_mul_hi_u32 s11, s11, s22
	v_lshrrev_b32_e32 v5, 4, v0
	v_mul_hi_u32_u24_e32 v1, 0x48, v3
	v_mul_u32_u24_e32 v0, 0x48, v3
	s_mul_i32 s20, s17, s22
	s_mov_b32 s21, 0
	s_add_co_i32 s7, s19, s7
	s_add_co_i32 s11, s22, s11
	v_mad_co_u64_u32 v[0:1], null, 0x120, v5, v[0:1]
	s_mul_u64 s[26:27], s[20:21], 36
	s_mul_i32 s20, s9, s19
	s_lshr_b32 s7, s7, s2
	v_bfe_u32 v7, v2, 3, 2
	s_lshr_b32 s11, s11, s3
	s_mul_u64 s[2:3], s[20:21], 36
	s_mul_i32 s7, s7, s8
	s_wait_kmcnt 0x0
	s_add_nc_u64 s[8:9], s[14:15], s[26:27]
	v_dual_mov_b32 v13, 0 :: v_dual_lshlrev_b32 v18, 1, v7
	s_add_nc_u64 s[8:9], s[8:9], s[2:3]
	v_dual_mov_b32 v11, 0 :: v_dual_lshlrev_b32 v16, 5, v7
	v_dual_mov_b32 v15, 0 :: v_dual_lshlrev_b32 v20, 1, v7
	v_dual_mov_b32 v7, 0 :: v_dual_and_b32 v4, 30, v2
	v_add_co_u32 v2, s2, s8, v0
	v_dual_mov_b32 v6, 0 :: v_dual_and_b32 v9, 3, v8
	v_add_co_ci_u32_e64 v3, null, s9, v1, s2
	v_mad_co_u64_u32 v[0:1], null, v18, 36, s[8:9]
	s_delay_alu instid0(VALU_DEP_4)
	v_add_co_u32 v2, s2, v2, 36
	s_mul_i32 s4, s4, ttmp9
	v_dual_mov_b32 v10, 0 :: v_dual_lshlrev_b32 v17, 2, v9
	s_wait_alu 0xf1ff
	v_add_co_ci_u32_e64 v3, null, 0, v3, s2
	v_lshlrev_b32_e32 v19, 3, v14
	v_lshlrev_b32_e32 v21, 2, v9
	v_mov_b32_e32 v9, 0
	s_mul_i32 s11, s11, s16
	s_add_co_i32 s7, s7, s4
	s_mul_i32 s8, s5, 3
	s_add_co_i32 s4, s11, s7
	s_lshl_b32 s7, s5, 1
	s_lshl_b32 s9, s5, 2
	s_mul_i32 s11, s5, 5
	s_mul_i32 s14, s5, 6
	v_cmp_lt_u32_e32 vcc_lo, 15, v4
	s_branch .LBB142_3
.LBB142_2:                              ;   in Loop: Header=BB142_3 Depth=1
	s_wait_alu 0xfffe
	s_or_b32 exec_lo, exec_lo, s2
	s_wait_loadcnt 0x2b
	v_ashrrev_i32_e32 v4, v18, v54
	v_ashrrev_i32_e32 v5, v18, v52
	v_and_b32_e32 v54, 0xf0f0f0f, v50
	v_and_b32_e32 v52, 0xf0f0f0f, v51
	v_lshrrev_b32_e32 v51, 4, v51
	v_lshlrev_b32_e32 v61, 4, v4
	v_lshrrev_b32_e32 v50, 4, v50
	v_lshlrev_b32_e32 v83, 4, v5
	s_wait_loadcnt 0x9
	v_dot4_i32_iu8 v82, 0x1010101, v81, 0 neg_lo:[1,1,0]
	v_and_b32_e32 v51, 0xf0f0f0f, v51
	v_and_or_b32 v54, 0x10101010, v61, v54
	v_and_b32_e32 v50, 0xf0f0f0f, v50
	v_lshlrev_b32_e32 v5, 3, v5
	v_lshlrev_b32_e32 v4, 3, v4
	v_and_or_b32 v52, 0x10101010, v83, v52
	v_dot4_i32_iu8 v61, v54, v81, 0 neg_lo:[1,1,0]
	v_and_b32_e32 v81, 0xff, v64
	v_dot4_i32_iu8 v82, 0x1010101, v80, v82 neg_lo:[1,1,0]
	v_and_or_b32 v5, 0x10101010, v5, v51
	v_and_or_b32 v4, 0x10101010, v4, v50
	v_dot4_i32_iu8 v50, v52, v80, v61 neg_lo:[1,1,0]
	v_and_b32_e32 v51, 0xff, v63
	s_wait_loadcnt 0x7
	v_dot4_i32_iu8 v61, 0x1010101, v79, 0 neg_lo:[1,1,0]
	v_and_b32_e32 v80, 0xffff, v81
	v_lshrrev_b16 v64, 8, v64
	v_dot4_i32_iu8 v79, v4, v79, 0 neg_lo:[1,1,0]
	v_and_b32_e32 v51, 0xffff, v51
	v_dot4_i32_iu8 v61, 0x1010101, v78, v61 neg_lo:[1,1,0]
	v_mul_lo_u32 v80, v82, v80
	v_and_b32_e32 v64, 0xffff, v64
	v_lshrrev_b16 v63, 8, v63
	v_mul_lo_u32 v50, v50, v51
	v_dot4_i32_iu8 v51, v5, v78, v79 neg_lo:[1,1,0]
	v_lshrrev_b32_e32 v78, 16, v22
	v_mul_lo_u32 v61, v61, v64
	v_and_b32_e32 v63, 0xffff, v63
	v_cvt_f32_i32_e32 v64, v80
	v_add_nc_u32_e32 v14, 2, v14
	v_add_co_u32 v2, s3, 0x240, v2
	s_delay_alu instid0(VALU_DEP_4)
	v_mul_lo_u32 v51, v51, v63
	v_cvt_f32_i32_e32 v50, v50
	v_fma_mix_f32 v63, v75, v64, 0 op_sel_hi:[1,0,0]
	v_cvt_f32_i32_e32 v61, v61
	v_cvt_f32_f16_e32 v64, v78
	v_cmp_le_u32_e64 s2, s24, v14
	v_fma_mix_f32 v50, v75, v50, 0 op_sel_hi:[1,0,0]
	s_wait_alu 0xf1ff
	v_add_co_ci_u32_e64 v3, null, 0, v3, s3
	s_wait_loadcnt 0x6
	v_fma_mix_f32 v61, v76, v61, v63 op_sel_hi:[1,0,0]
	v_cvt_f32_i32_e32 v51, v51
	v_and_b32_e32 v63, 0xff, v70
	v_lshrrev_b16 v70, 8, v70
	v_add_nc_u32_e32 v19, 16, v19
	v_mul_f32_e32 v61, v61, v64
	v_fma_mix_f32 v50, v76, v51, v50 op_sel_hi:[1,0,0]
	v_dot4_i32_iu8 v51, v54, v71, 0 neg_lo:[1,1,0]
	v_and_b32_e32 v63, 0xffff, v63
	s_or_b32 s21, s2, s21
	s_delay_alu instid0(VALU_DEP_3)
	v_fma_mix_f32 v50, v50, v22, -v61 op_sel_hi:[0,1,0]
	v_dot4_i32_iu8 v61, 0x1010101, v71, 0 neg_lo:[1,1,0]
	v_dot4_i32_iu8 v51, v52, v67, v51 neg_lo:[1,1,0]
	s_wait_loadcnt 0x3
	v_dot4_i32_iu8 v71, v54, v77, 0 neg_lo:[1,1,0]
	v_add_f32_e32 v7, v7, v50
	v_dot4_i32_iu8 v50, 0x1010101, v67, v61 neg_lo:[1,1,0]
	v_dot4_i32_iu8 v61, 0x1010101, v68, 0 neg_lo:[1,1,0]
	;; [unrolled: 1-line block ×3, first 2 shown]
	v_and_b32_e32 v68, 0xff, v69
	v_lshrrev_b16 v69, 8, v69
	v_mul_lo_u32 v50, v50, v63
	v_dot4_i32_iu8 v61, 0x1010101, v66, v61 neg_lo:[1,1,0]
	v_and_b32_e32 v63, 0xffff, v70
	v_and_b32_e32 v68, 0xffff, v68
	v_dot4_i32_iu8 v66, v5, v66, v67 neg_lo:[1,1,0]
	v_and_b32_e32 v67, 0xffff, v69
	v_dot4_i32_iu8 v70, 0x1010101, v77, 0 neg_lo:[1,1,0]
	v_mul_lo_u32 v61, v61, v63
	v_mul_lo_u32 v51, v51, v68
	v_cvt_f32_i32_e32 v50, v50
	v_mul_lo_u32 v66, v66, v67
	v_dot4_i32_iu8 v68, 0x1010101, v74, v70 neg_lo:[1,1,0]
	v_dot4_i32_iu8 v69, v54, v58, 0 neg_lo:[1,1,0]
	v_and_b32_e32 v70, 0xff, v60
	v_fma_mix_f32 v50, v65, v50, 0 op_sel_hi:[1,0,0]
	v_cvt_f32_i32_e32 v61, v61
	v_cvt_f32_i32_e32 v51, v51
	v_dot4_i32_iu8 v58, 0x1010101, v58, 0 neg_lo:[1,1,0]
	v_lshrrev_b16 v60, 8, v60
	s_wait_loadcnt 0x1
	v_dot4_i32_iu8 v67, v4, v73, 0 neg_lo:[1,1,0]
	v_fma_mix_f32 v50, v62, v61, v50 op_sel_hi:[1,0,0]
	v_fma_mix_f32 v51, v65, v51, 0 op_sel_hi:[1,0,0]
	v_cvt_f32_i32_e32 v65, v66
	v_dot4_i32_iu8 v61, v52, v56, v69 neg_lo:[1,1,0]
	v_and_b32_e32 v66, 0xffff, v70
	v_dot4_i32_iu8 v69, v4, v57, 0 neg_lo:[1,1,0]
	v_and_b32_e32 v70, 0xff, v59
	v_dot4_i32_iu8 v56, 0x1010101, v56, v58 neg_lo:[1,1,0]
	v_dot4_i32_iu8 v57, 0x1010101, v57, 0 neg_lo:[1,1,0]
	v_mul_lo_u32 v61, v61, v66
	v_dot4_i32_iu8 v58, v5, v55, v69 neg_lo:[1,1,0]
	v_and_b32_e32 v66, 0xffff, v70
	v_and_b32_e32 v60, 0xffff, v60
	v_lshrrev_b16 v59, 8, v59
	v_dot4_i32_iu8 v55, 0x1010101, v55, v57 neg_lo:[1,1,0]
	v_fma_mix_f32 v51, v62, v65, v51 op_sel_hi:[1,0,0]
	v_mul_lo_u32 v56, v56, v66
	v_mul_lo_u32 v58, v58, v60
	v_and_b32_e32 v59, 0xffff, v59
	v_cvt_f32_i32_e32 v57, v61
	v_mul_f32_e32 v50, v50, v64
	v_dot4_i32_iu8 v60, 0x1010101, v73, 0 neg_lo:[1,1,0]
	v_dot4_i32_iu8 v63, v52, v74, v71 neg_lo:[1,1,0]
	v_mul_lo_u32 v55, v55, v59
	v_fma_mix_f32 v57, v49, v57, 0 op_sel_hi:[1,0,0]
	v_cvt_f32_i32_e32 v56, v56
	v_cvt_f32_i32_e32 v58, v58
	v_fma_mix_f32 v50, v51, v22, -v50 op_sel_hi:[0,1,0]
	v_dot4_i32_iu8 v59, v5, v72, v67 neg_lo:[1,1,0]
	v_dot4_i32_iu8 v60, 0x1010101, v72, v60 neg_lo:[1,1,0]
	v_fma_mix_f32 v49, v49, v56, 0 op_sel_hi:[1,0,0]
	v_fma_mix_f32 v51, v48, v58, v57 op_sel_hi:[1,0,0]
	v_cvt_f32_i32_e32 v55, v55
	v_dot4_i32_iu8 v56, v54, v45, 0 neg_lo:[1,1,0]
	v_dot4_i32_iu8 v45, 0x1010101, v45, 0 neg_lo:[1,1,0]
	v_and_b32_e32 v57, 0xff, v43
	v_and_b32_e32 v58, 0xff, v44
	v_fma_mix_f32 v48, v48, v55, v49 op_sel_hi:[1,0,0]
	v_dot4_i32_iu8 v49, v52, v42, v56 neg_lo:[1,1,0]
	v_dot4_i32_iu8 v42, 0x1010101, v42, v45 neg_lo:[1,1,0]
	v_and_b32_e32 v45, 0xffff, v57
	v_and_b32_e32 v55, 0xffff, v58
	v_dot4_i32_iu8 v56, 0x1010101, v41, 0 neg_lo:[1,1,0]
	v_lshrrev_b16 v44, 8, v44
	v_dot4_i32_iu8 v41, v4, v41, 0 neg_lo:[1,1,0]
	v_mul_lo_u32 v45, v49, v45
	v_mul_lo_u32 v42, v42, v55
	v_dot4_i32_iu8 v49, 0x1010101, v40, v56 neg_lo:[1,1,0]
	v_and_b32_e32 v44, 0xffff, v44
	v_lshrrev_b16 v43, 8, v43
	v_dot4_i32_iu8 v40, v5, v40, v41 neg_lo:[1,1,0]
	v_dual_mul_f32 v48, v48, v64 :: v_dual_add_f32 v9, v9, v50
	v_cvt_f32_i32_e32 v45, v45
	v_cvt_f32_i32_e32 v42, v42
	v_mul_lo_u32 v44, v49, v44
	v_and_b32_e32 v41, 0xffff, v43
	v_fma_mix_f32 v48, v51, v22, -v48 op_sel_hi:[0,1,0]
	v_fma_mix_f32 v43, v39, v45, 0 op_sel_hi:[1,0,0]
	v_fma_mix_f32 v39, v39, v42, 0 op_sel_hi:[1,0,0]
	v_dot4_i32_iu8 v42, v54, v37, 0 neg_lo:[1,1,0]
	v_dot4_i32_iu8 v37, 0x1010101, v37, 0 neg_lo:[1,1,0]
	v_mul_lo_u32 v40, v40, v41
	v_cvt_f32_i32_e32 v41, v44
	v_and_b32_e32 v44, 0xff, v35
	v_dot4_i32_iu8 v42, v52, v34, v42 neg_lo:[1,1,0]
	v_dot4_i32_iu8 v34, 0x1010101, v34, v37 neg_lo:[1,1,0]
	v_and_b32_e32 v37, 0xff, v36
	v_dot4_i32_iu8 v45, v4, v33, 0 neg_lo:[1,1,0]
	v_and_b32_e32 v44, 0xffff, v44
	v_dot4_i32_iu8 v33, 0x1010101, v33, 0 neg_lo:[1,1,0]
	v_lshrrev_b16 v36, 8, v36
	v_and_b32_e32 v37, 0xffff, v37
	v_lshrrev_b16 v35, 8, v35
	v_mul_lo_u32 v42, v42, v44
	v_dot4_i32_iu8 v44, v5, v32, v45 neg_lo:[1,1,0]
	v_dot4_i32_iu8 v32, 0x1010101, v32, v33 neg_lo:[1,1,0]
	v_mul_lo_u32 v33, v34, v37
	v_and_b32_e32 v34, 0xffff, v35
	v_and_b32_e32 v35, 0xffff, v36
	v_cvt_f32_i32_e32 v36, v40
	v_fma_mix_f32 v37, v38, v41, v39 op_sel_hi:[1,0,0]
	v_cvt_f32_i32_e32 v39, v42
	v_mul_lo_u32 v34, v44, v34
	v_mul_lo_u32 v32, v32, v35
	v_cvt_f32_i32_e32 v33, v33
	v_fma_mix_f32 v35, v38, v36, v43 op_sel_hi:[1,0,0]
	v_mul_f32_e32 v36, v37, v64
	v_dot4_i32_iu8 v37, v54, v29, 0 neg_lo:[1,1,0]
	v_fma_mix_f32 v38, v31, v39, 0 op_sel_hi:[1,0,0]
	v_fma_mix_f32 v31, v31, v33, 0 op_sel_hi:[1,0,0]
	v_cvt_f32_i32_e32 v33, v34
	v_cvt_f32_i32_e32 v32, v32
	v_dot4_i32_iu8 v29, 0x1010101, v29, 0 neg_lo:[1,1,0]
	v_dot4_i32_iu8 v4, v4, v28, 0 neg_lo:[1,1,0]
	;; [unrolled: 1-line block ×3, first 2 shown]
	v_fma_mix_f32 v33, v30, v33, v38 op_sel_hi:[1,0,0]
	v_fma_mix_f32 v30, v30, v32, v31 op_sel_hi:[1,0,0]
	v_dot4_i32_iu8 v27, 0x1010101, v27, v29 neg_lo:[1,1,0]
	v_dot4_i32_iu8 v28, 0x1010101, v28, 0 neg_lo:[1,1,0]
	v_lshrrev_b16 v31, 8, v26
	v_dot4_i32_iu8 v4, v5, v25, v4 neg_lo:[1,1,0]
	v_and_b32_e32 v5, 0xff, v26
	v_and_b32_e32 v32, 0xff00ff, v53
	v_bfe_u32 v37, v26, 16, 8
	v_dot4_i32_iu8 v25, 0x1010101, v25, v28 neg_lo:[1,1,0]
	v_and_b32_e32 v28, 0xffff, v31
	v_mul_lo_u32 v5, v27, v5
	v_lshrrev_b32_e32 v27, 16, v32
	v_pk_lshrrev_b16 v31, 8, v53 op_sel_hi:[0,1]
	v_mul_lo_u32 v29, v34, v37
	v_and_b32_e32 v32, 0xff, v32
	v_lshrrev_b32_e32 v26, 24, v26
	v_mul_lo_u32 v27, v68, v27
	v_lshrrev_b32_e32 v34, 16, v31
	v_cvt_f32_i32_e32 v5, v5
	v_mul_lo_u32 v25, v25, v28
	v_mul_lo_u32 v28, v63, v32
	v_cvt_f32_i32_e32 v29, v29
	v_and_b32_e32 v31, 0xff, v31
	v_mul_lo_u32 v32, v60, v34
	v_mul_lo_u32 v4, v4, v26
	v_cvt_f32_i32_e32 v26, v27
	v_fma_mix_f32 v29, v24, v29, 0 op_sel_hi:[1,0,0]
	v_fma_mix_f32 v5, v24, v5, 0 op_sel_hi:[1,0,0]
	v_mul_lo_u32 v24, v59, v31
	v_cvt_f32_i32_e32 v25, v25
	v_cvt_f32_i32_e32 v27, v28
	v_fma_mix_f32 v26, v46, v26, 0 op_sel_hi:[1,0,0]
	v_cvt_f32_i32_e32 v28, v32
	v_cvt_f32_i32_e32 v4, v4
	v_fma_mix_f32 v5, v23, v25, v5 op_sel_hi:[1,0,0]
	v_fma_mix_f32 v25, v46, v27, 0 op_sel_hi:[1,0,0]
	v_cvt_f32_i32_e32 v24, v24
	s_wait_loadcnt 0x0
	v_fma_mix_f32 v26, v47, v28, v26 op_sel_hi:[1,0,0]
	v_mul_f32_e32 v27, v30, v64
	v_fma_mix_f32 v4, v23, v4, v29 op_sel_hi:[1,0,0]
	v_mul_f32_e32 v5, v5, v64
	;; [unrolled: 2-line block ×3, first 2 shown]
	v_fma_mix_f32 v25, v35, v22, -v36 op_sel_hi:[0,1,0]
	v_fma_mix_f32 v26, v33, v22, -v27 op_sel_hi:[0,1,0]
	;; [unrolled: 1-line block ×3, first 2 shown]
	v_add_f32_e32 v10, v10, v48
	v_fma_mix_f32 v5, v23, v22, -v24 op_sel_hi:[0,1,0]
	v_add_f32_e32 v11, v11, v25
	v_add_f32_e32 v13, v13, v26
	s_delay_alu instid0(VALU_DEP_3)
	v_dual_add_f32 v15, v15, v4 :: v_dual_add_f32 v6, v6, v5
	s_and_not1_b32 exec_lo, exec_lo, s21
	s_cbranch_execz .LBB142_29
.LBB142_3:                              ; =>This Inner Loop Header: Depth=1
	v_add_nc_u32_e32 v4, s4, v14
                                        ; implicit-def: $vgpr61
                                        ; implicit-def: $vgpr26
	s_delay_alu instid0(VALU_DEP_1) | instskip(NEXT) | instid1(VALU_DEP_1)
	v_mad_co_i64_i32 v[4:5], null, 0xb0, v4, s[12:13]
	v_add_co_u32 v24, s2, v4, v16
	s_wait_alu 0xf1ff
	s_delay_alu instid0(VALU_DEP_2)
	v_add_co_ci_u32_e64 v25, null, 0, v5, s2
	v_add_co_u32 v22, s2, v4, v17
	s_wait_alu 0xf1ff
	v_add_co_ci_u32_e64 v23, null, 0, v5, s2
	v_add_co_u32 v24, s2, v24, v17
	s_wait_alu 0xf1ff
	;; [unrolled: 3-line block ×3, first 2 shown]
	v_add_co_ci_u32_e64 v31, null, 0, v3, s2
	s_clause 0x4
	global_load_b32 v51, v[24:25], off offset:48
	global_load_b32 v50, v[24:25], off offset:64
	;; [unrolled: 1-line block ×4, first 2 shown]
	global_load_b32 v22, v[4:5], off
	s_clause 0x5
	global_load_b32 v24, v[2:3], off offset:-36
	global_load_b32 v27, v[30:31], off offset:-32
	;; [unrolled: 1-line block ×3, first 2 shown]
	global_load_b32 v23, v[2:3], off
	global_load_b32 v25, v[30:31], off offset:4
	global_load_b32 v28, v[30:31], off offset:20
	v_add_co_u32 v4, s2, v4, v20
	s_wait_alu 0xf1ff
	v_add_co_ci_u32_e64 v5, null, 0, v5, s2
	s_and_saveexec_b32 s2, vcc_lo
	s_wait_alu 0xfffe
	s_xor_b32 s2, exec_lo, s2
	s_cbranch_execz .LBB142_5
; %bb.4:                                ;   in Loop: Header=BB142_3 Depth=1
	s_clause 0x1
	global_load_u16 v26, v[4:5], off offset:8
	global_load_u16 v30, v[4:5], off offset:4
	s_wait_loadcnt 0x1
	v_mov_b32_e32 v31, v26
	s_wait_loadcnt 0x0
	v_perm_b32 v61, v26, v30, 0x5040100
	s_delay_alu instid0(VALU_DEP_1) | instskip(NEXT) | instid1(VALU_DEP_1)
	v_pk_lshrrev_b16 v26, 2, v61
	v_and_b32_e32 v26, 0xf0f3030, v26
	global_load_d16_hi_b16 v31, v[4:5], off
	s_wait_loadcnt 0x0
	v_pk_lshrrev_b16 v30, 0x20004, v31
	s_delay_alu instid0(VALU_DEP_1)
	v_and_or_b32 v26, 0x30300f0f, v30, v26
.LBB142_5:                              ;   in Loop: Header=BB142_3 Depth=1
	s_wait_alu 0xfffe
	s_and_not1_saveexec_b32 s2, s2
	s_cbranch_execz .LBB142_7
; %bb.6:                                ;   in Loop: Header=BB142_3 Depth=1
	s_clause 0x1
	global_load_u16 v30, v[4:5], off offset:4
	global_load_u16 v31, v[4:5], off offset:8
	s_wait_loadcnt 0x0
	v_perm_b32 v26, v30, v31, 0x5040100
	v_perm_b32 v61, v31, v30, 0x5040100
	s_delay_alu instid0(VALU_DEP_2)
	v_and_b32_e32 v26, 0x3f3f3f3f, v26
.LBB142_7:                              ;   in Loop: Header=BB142_3 Depth=1
	s_wait_alu 0xfffe
	s_or_b32 exec_lo, exec_lo, s2
	v_add_nc_u32_e32 v30, s5, v19
	v_lshrrev_b32_e32 v72, 16, v61
	v_lshrrev_b16 v53, 2, v61
	s_delay_alu instid0(VALU_DEP_3) | instskip(NEXT) | instid1(VALU_DEP_3)
	v_mad_co_u64_u32 v[35:36], null, v30, 36, v[0:1]
	v_and_b32_e32 v46, 0xf0f, v72
	s_delay_alu instid0(VALU_DEP_2) | instskip(SKIP_1) | instid1(VALU_DEP_3)
	v_add_co_u32 v38, s2, v35, v21
	s_wait_alu 0xf1ff
	v_add_co_ci_u32_e64 v39, null, 0, v36, s2
	s_clause 0x5
	global_load_b32 v31, v[35:36], off
	global_load_b32 v34, v[38:39], off offset:4
	global_load_b32 v37, v[38:39], off offset:20
	global_load_b32 v32, v[38:39], off offset:40
	global_load_b32 v33, v[38:39], off offset:56
	global_load_b32 v30, v[35:36], off offset:36
	v_lshrrev_b32_e32 v35, 20, v61
                                        ; implicit-def: $vgpr36
	s_delay_alu instid0(VALU_DEP_1)
	v_and_b32_e32 v47, 0xf0f, v35
                                        ; implicit-def: $vgpr35
	s_and_saveexec_b32 s2, vcc_lo
	s_wait_alu 0xfffe
	s_xor_b32 s2, exec_lo, s2
	s_cbranch_execz .LBB142_9
; %bb.8:                                ;   in Loop: Header=BB142_3 Depth=1
	global_load_u16 v35, v[4:5], off
	v_and_b32_e32 v36, 0x3030, v53
	s_delay_alu instid0(VALU_DEP_1) | instskip(SKIP_2) | instid1(VALU_DEP_1)
	v_or_b32_e32 v36, v36, v47
	s_wait_loadcnt 0x0
	v_lshrrev_b16 v35, 2, v35
	v_and_b32_e32 v35, 0x3030, v35
	s_delay_alu instid0(VALU_DEP_1)
	v_or_b32_e32 v35, v35, v46
.LBB142_9:                              ;   in Loop: Header=BB142_3 Depth=1
	s_wait_alu 0xfffe
	s_or_saveexec_b32 s2, s2
	v_and_b32_e32 v63, 0x3f3f, v61
	v_and_b32_e32 v64, 0x3f3f, v72
	s_wait_alu 0xfffe
	s_xor_b32 exec_lo, exec_lo, s2
; %bb.10:                               ;   in Loop: Header=BB142_3 Depth=1
	v_and_b32_e32 v35, 0x3f3f, v61
	v_and_b32_e32 v36, 0x3f3f, v72
; %bb.11:                               ;   in Loop: Header=BB142_3 Depth=1
	s_or_b32 exec_lo, exec_lo, s2
	v_add_nc_u32_e32 v38, s7, v19
	s_delay_alu instid0(VALU_DEP_1) | instskip(NEXT) | instid1(VALU_DEP_1)
	v_mad_co_u64_u32 v[43:44], null, v38, 36, v[0:1]
	v_add_co_u32 v48, s2, v43, v21
	s_wait_alu 0xf1ff
	s_delay_alu instid0(VALU_DEP_2)
	v_add_co_ci_u32_e64 v49, null, 0, v44, s2
	s_clause 0x5
	global_load_b32 v39, v[43:44], off
	global_load_b32 v42, v[48:49], off offset:4
	global_load_b32 v45, v[48:49], off offset:20
	global_load_b32 v40, v[48:49], off offset:40
	global_load_b32 v41, v[48:49], off offset:56
	global_load_b32 v38, v[43:44], off offset:36
                                        ; implicit-def: $vgpr43
                                        ; implicit-def: $vgpr44
	s_and_saveexec_b32 s2, vcc_lo
	s_wait_alu 0xfffe
	s_xor_b32 s2, exec_lo, s2
	s_cbranch_execz .LBB142_13
; %bb.12:                               ;   in Loop: Header=BB142_3 Depth=1
	global_load_u16 v43, v[4:5], off
	v_and_b32_e32 v44, 0x3030, v53
	s_delay_alu instid0(VALU_DEP_1) | instskip(SKIP_2) | instid1(VALU_DEP_1)
	v_or_b32_e32 v44, v44, v47
	s_wait_loadcnt 0x0
	v_lshrrev_b16 v43, 2, v43
	v_and_b32_e32 v43, 0x3030, v43
	s_delay_alu instid0(VALU_DEP_1)
	v_or_b32_e32 v43, v43, v46
.LBB142_13:                             ;   in Loop: Header=BB142_3 Depth=1
	s_wait_alu 0xfffe
	s_and_not1_saveexec_b32 s2, s2
; %bb.14:                               ;   in Loop: Header=BB142_3 Depth=1
	v_and_b32_e32 v43, 0x3f3f, v61
	v_and_b32_e32 v44, 0x3f3f, v72
; %bb.15:                               ;   in Loop: Header=BB142_3 Depth=1
	s_wait_alu 0xfffe
	s_or_b32 exec_lo, exec_lo, s2
	v_add_nc_u32_e32 v48, s8, v19
	s_delay_alu instid0(VALU_DEP_1) | instskip(NEXT) | instid1(VALU_DEP_1)
	v_mad_co_u64_u32 v[59:60], null, v48, 36, v[0:1]
	v_add_co_u32 v65, s2, v59, v21
	s_wait_alu 0xf1ff
	s_delay_alu instid0(VALU_DEP_2)
	v_add_co_ci_u32_e64 v66, null, 0, v60, s2
	s_clause 0x5
	global_load_b32 v49, v[59:60], off
	global_load_b32 v56, v[65:66], off offset:4
	global_load_b32 v58, v[65:66], off offset:20
	;; [unrolled: 1-line block ×5, first 2 shown]
                                        ; implicit-def: $vgpr60
                                        ; implicit-def: $vgpr59
	s_and_saveexec_b32 s2, vcc_lo
	s_wait_alu 0xfffe
	s_xor_b32 s2, exec_lo, s2
	s_cbranch_execz .LBB142_17
; %bb.16:                               ;   in Loop: Header=BB142_3 Depth=1
	global_load_u16 v59, v[4:5], off
	v_and_b32_e32 v62, 0x3030, v53
	s_wait_loadcnt 0x0
	v_lshrrev_b16 v59, 2, v59
	s_delay_alu instid0(VALU_DEP_1) | instskip(NEXT) | instid1(VALU_DEP_1)
	v_and_b32_e32 v59, 0x3030, v59
	v_or_b32_e32 v60, v59, v46
	v_or_b32_e32 v59, v62, v47
.LBB142_17:                             ;   in Loop: Header=BB142_3 Depth=1
	s_wait_alu 0xfffe
	s_and_not1_saveexec_b32 s2, s2
; %bb.18:                               ;   in Loop: Header=BB142_3 Depth=1
	v_and_b32_e32 v60, 0x3f3f, v61
	v_and_b32_e32 v59, 0x3f3f, v72
; %bb.19:                               ;   in Loop: Header=BB142_3 Depth=1
	s_wait_alu 0xfffe
	s_or_b32 exec_lo, exec_lo, s2
	v_add_nc_u32_e32 v62, s9, v19
	s_delay_alu instid0(VALU_DEP_1) | instskip(NEXT) | instid1(VALU_DEP_1)
	v_mad_co_u64_u32 v[69:70], null, v62, 36, v[0:1]
	v_add_co_u32 v73, s2, v69, v21
	s_wait_alu 0xf1ff
	s_delay_alu instid0(VALU_DEP_2)
	v_add_co_ci_u32_e64 v74, null, 0, v70, s2
	s_clause 0x5
	global_load_b32 v65, v[69:70], off
	global_load_b32 v67, v[73:74], off offset:4
	global_load_b32 v71, v[73:74], off offset:20
	global_load_b32 v66, v[73:74], off offset:40
	global_load_b32 v68, v[73:74], off offset:56
	global_load_b32 v62, v[69:70], off offset:36
                                        ; implicit-def: $vgpr69
                                        ; implicit-def: $vgpr70
	s_and_saveexec_b32 s2, vcc_lo
	s_wait_alu 0xfffe
	s_xor_b32 s2, exec_lo, s2
	s_cbranch_execz .LBB142_21
; %bb.20:                               ;   in Loop: Header=BB142_3 Depth=1
	global_load_u16 v69, v[4:5], off
	v_and_b32_e32 v70, 0x3030, v53
                                        ; implicit-def: $vgpr72
	s_delay_alu instid0(VALU_DEP_1) | instskip(SKIP_2) | instid1(VALU_DEP_1)
	v_or_b32_e32 v70, v70, v47
	s_wait_loadcnt 0x0
	v_lshrrev_b16 v69, 2, v69
	v_and_b32_e32 v69, 0x3030, v69
	s_delay_alu instid0(VALU_DEP_1)
	v_or_b32_e32 v69, v69, v46
.LBB142_21:                             ;   in Loop: Header=BB142_3 Depth=1
	s_wait_alu 0xfffe
	s_and_not1_saveexec_b32 s2, s2
; %bb.22:                               ;   in Loop: Header=BB142_3 Depth=1
	v_and_b32_e32 v69, 0x3f3f, v61
	v_and_b32_e32 v70, 0x3f3f, v72
; %bb.23:                               ;   in Loop: Header=BB142_3 Depth=1
	s_wait_alu 0xfffe
	s_or_b32 exec_lo, exec_lo, s2
	v_add_nc_u32_e32 v72, s11, v19
	s_delay_alu instid0(VALU_DEP_1) | instskip(NEXT) | instid1(VALU_DEP_1)
	v_mad_co_u64_u32 v[72:73], null, v72, 36, v[0:1]
	v_add_co_u32 v76, s2, v72, v21
	s_wait_alu 0xf1ff
	s_delay_alu instid0(VALU_DEP_2)
	v_add_co_ci_u32_e64 v77, null, 0, v73, s2
	s_clause 0x5
	global_load_b32 v75, v[72:73], off
	global_load_b32 v80, v[76:77], off offset:4
	global_load_b32 v81, v[76:77], off offset:20
	;; [unrolled: 1-line block ×5, first 2 shown]
	s_and_saveexec_b32 s2, vcc_lo
	s_wait_alu 0xfffe
	s_xor_b32 s2, exec_lo, s2
	s_cbranch_execz .LBB142_25
; %bb.24:                               ;   in Loop: Header=BB142_3 Depth=1
	global_load_u16 v63, v[4:5], off
	v_and_b32_e32 v53, 0x3030, v53
	s_delay_alu instid0(VALU_DEP_1) | instskip(SKIP_2) | instid1(VALU_DEP_1)
	v_or_b32_e32 v64, v53, v47
	s_wait_loadcnt 0x0
	v_lshrrev_b16 v63, 2, v63
	v_and_b32_e32 v63, 0x3030, v63
	s_delay_alu instid0(VALU_DEP_1)
	v_or_b32_e32 v63, v63, v46
.LBB142_25:                             ;   in Loop: Header=BB142_3 Depth=1
	s_wait_alu 0xfffe
	s_and_not1_saveexec_b32 s2, s2
	s_wait_alu 0xfffe
	s_or_b32 exec_lo, exec_lo, s2
	v_add_nc_u32_e32 v46, s14, v19
                                        ; implicit-def: $vgpr53
	s_delay_alu instid0(VALU_DEP_1) | instskip(NEXT) | instid1(VALU_DEP_1)
	v_mad_co_u64_u32 v[82:83], null, v46, 36, v[0:1]
	v_add_co_u32 v84, s2, v82, v21
	s_wait_alu 0xf1ff
	s_delay_alu instid0(VALU_DEP_2)
	v_add_co_ci_u32_e64 v85, null, 0, v83, s2
	s_clause 0x5
	global_load_b32 v46, v[82:83], off
	global_load_b32 v74, v[84:85], off offset:4
	global_load_b32 v77, v[84:85], off offset:20
	;; [unrolled: 1-line block ×5, first 2 shown]
	s_and_saveexec_b32 s2, vcc_lo
	s_wait_alu 0xfffe
	s_xor_b32 s2, exec_lo, s2
	s_cbranch_execz .LBB142_27
; %bb.26:                               ;   in Loop: Header=BB142_3 Depth=1
	global_load_u16 v4, v[4:5], off
	v_pk_lshrrev_b16 v5, 4, v61 op_sel:[1,1] op_sel_hi:[0,1]
	s_delay_alu instid0(VALU_DEP_1) | instskip(SKIP_2) | instid1(VALU_DEP_1)
	v_and_b32_e32 v5, 0xf0f0f0f, v5
	s_wait_loadcnt 0x0
	v_perm_b32 v4, v61, v4, 0x5040100
                                        ; implicit-def: $vgpr61
	v_pk_lshrrev_b16 v4, 2, v4 op_sel_hi:[0,1]
	s_delay_alu instid0(VALU_DEP_1)
	v_and_or_b32 v53, 0x30303030, v4, v5
.LBB142_27:                             ;   in Loop: Header=BB142_3 Depth=1
	s_wait_alu 0xfffe
	s_and_not1_saveexec_b32 s2, s2
	s_cbranch_execz .LBB142_2
; %bb.28:                               ;   in Loop: Header=BB142_3 Depth=1
	v_and_b32_e32 v53, 0x3f3f3f3f, v61
	s_branch .LBB142_2
.LBB142_29:
	s_or_b32 exec_lo, exec_lo, s21
.LBB142_30:
	s_delay_alu instid0(SALU_CYCLE_1)
	s_or_b32 exec_lo, exec_lo, s23
	s_mov_b32 s3, 0
	; wave barrier
	global_inv scope:SCOPE_SE
	s_mov_b32 s2, exec_lo
	v_cmpx_eq_u32_e32 0, v12
	s_cbranch_execz .LBB142_45
; %bb.31:
	v_mbcnt_lo_u32_b32 v4, -1, 0
	s_load_b64 s[0:1], s[0:1], 0x38
	s_mul_i32 s2, s10, s19
	s_mul_i32 s4, s18, s22
	s_wait_alu 0xfffe
	s_add_co_i32 s2, s2, ttmp9
	v_xor_b32_e32 v0, 16, v4
	v_xor_b32_e32 v1, 8, v4
	;; [unrolled: 1-line block ×3, first 2 shown]
	s_wait_alu 0xfffe
	s_add_co_i32 s2, s2, s4
	s_wait_alu 0xfffe
	s_lshl_b64 s[2:3], s[2:3], 2
	v_cmp_gt_i32_e32 vcc_lo, 32, v0
	v_cndmask_b32_e32 v0, v4, v0, vcc_lo
	v_cmp_gt_i32_e32 vcc_lo, 32, v1
	s_wait_kmcnt 0x0
	s_wait_alu 0xfffe
	s_add_nc_u64 s[0:1], s[0:1], s[2:3]
	s_wait_alu 0xfffd
	v_cndmask_b32_e32 v1, v4, v1, vcc_lo
	s_delay_alu instid0(VALU_DEP_1)
	v_lshlrev_b32_e32 v1, 2, v1
	v_lshlrev_b32_e32 v0, 2, v0
	ds_bpermute_b32 v2, v0, v15
	s_wait_dscnt 0x0
	v_add_f32_e32 v3, v15, v2
	v_xor_b32_e32 v2, 4, v4
	ds_bpermute_b32 v5, v1, v3
	v_cmp_gt_i32_e32 vcc_lo, 32, v2
	s_wait_dscnt 0x0
	s_wait_alu 0xfffd
	v_dual_cndmask_b32 v2, v4, v2 :: v_dual_add_f32 v5, v3, v5
	s_delay_alu instid0(VALU_DEP_1)
	v_lshlrev_b32_e32 v2, 2, v2
	v_xor_b32_e32 v3, 2, v4
	ds_bpermute_b32 v12, v2, v5
	v_cmp_gt_i32_e32 vcc_lo, 32, v3
	s_wait_alu 0xfffd
	v_cndmask_b32_e32 v3, v4, v3, vcc_lo
	v_cmp_gt_i32_e32 vcc_lo, 32, v14
	s_wait_alu 0xfffd
	v_cndmask_b32_e32 v4, v4, v14, vcc_lo
	v_cmp_eq_u32_e32 vcc_lo, 0, v8
	s_delay_alu instid0(VALU_DEP_2)
	v_lshlrev_b32_e32 v4, 2, v4
	v_lshlrev_b32_e32 v3, 2, v3
	s_wait_dscnt 0x0
	v_add_f32_e32 v5, v5, v12
	ds_bpermute_b32 v12, v3, v5
	s_wait_dscnt 0x0
	v_add_f32_e32 v5, v5, v12
	ds_bpermute_b32 v12, v4, v5
	s_and_saveexec_b32 s2, vcc_lo
	s_cbranch_execz .LBB142_33
; %bb.32:
	s_wait_dscnt 0x0
	v_dual_add_f32 v5, v5, v12 :: v_dual_mov_b32 v8, 0
	global_store_b32 v8, v5, s[0:1]
.LBB142_33:
	s_wait_alu 0xfffe
	s_or_b32 exec_lo, exec_lo, s2
	ds_bpermute_b32 v5, v0, v13
	s_wait_dscnt 0x0
	v_add_f32_e32 v5, v13, v5
	ds_bpermute_b32 v8, v1, v5
	s_wait_dscnt 0x0
	v_add_f32_e32 v5, v5, v8
	;; [unrolled: 3-line block ×4, first 2 shown]
	ds_bpermute_b32 v8, v4, v5
	s_and_saveexec_b32 s2, vcc_lo
	s_cbranch_execz .LBB142_35
; %bb.34:
	s_mov_b32 s7, 0
	s_wait_dscnt 0x0
	v_dual_add_f32 v5, v5, v8 :: v_dual_mov_b32 v8, 0
	s_wait_alu 0xfffe
	s_lshl_b64 s[4:5], s[6:7], 2
	s_wait_alu 0xfffe
	s_add_nc_u64 s[4:5], s[0:1], s[4:5]
	global_store_b32 v8, v5, s[4:5]
.LBB142_35:
	s_wait_alu 0xfffe
	s_or_b32 exec_lo, exec_lo, s2
	ds_bpermute_b32 v5, v0, v11
	s_wait_dscnt 0x0
	v_add_f32_e32 v5, v11, v5
	ds_bpermute_b32 v8, v1, v5
	s_wait_dscnt 0x0
	v_add_f32_e32 v5, v5, v8
	;; [unrolled: 3-line block ×4, first 2 shown]
	ds_bpermute_b32 v8, v4, v5
	s_and_saveexec_b32 s2, vcc_lo
	s_cbranch_execz .LBB142_37
; %bb.36:
	s_lshl_b32 s4, s6, 1
	s_mov_b32 s5, 0
	s_wait_dscnt 0x0
	v_dual_add_f32 v5, v5, v8 :: v_dual_mov_b32 v8, 0
	s_wait_alu 0xfffe
	s_lshl_b64 s[4:5], s[4:5], 2
	s_wait_alu 0xfffe
	s_add_nc_u64 s[4:5], s[0:1], s[4:5]
	global_store_b32 v8, v5, s[4:5]
.LBB142_37:
	s_wait_alu 0xfffe
	s_or_b32 exec_lo, exec_lo, s2
	ds_bpermute_b32 v5, v0, v10
	s_wait_dscnt 0x0
	v_add_f32_e32 v5, v10, v5
	ds_bpermute_b32 v8, v1, v5
	s_wait_dscnt 0x0
	v_add_f32_e32 v5, v5, v8
	;; [unrolled: 3-line block ×4, first 2 shown]
	ds_bpermute_b32 v8, v4, v5
	s_and_saveexec_b32 s2, vcc_lo
	s_cbranch_execz .LBB142_39
; %bb.38:
	s_mul_i32 s4, s6, 3
	s_mov_b32 s5, 0
	s_wait_dscnt 0x0
	v_dual_add_f32 v5, v5, v8 :: v_dual_mov_b32 v8, 0
	s_wait_alu 0xfffe
	s_lshl_b64 s[4:5], s[4:5], 2
	s_wait_alu 0xfffe
	s_add_nc_u64 s[4:5], s[0:1], s[4:5]
	global_store_b32 v8, v5, s[4:5]
.LBB142_39:
	s_wait_alu 0xfffe
	s_or_b32 exec_lo, exec_lo, s2
	ds_bpermute_b32 v5, v0, v9
	s_wait_dscnt 0x0
	v_add_f32_e32 v5, v9, v5
	ds_bpermute_b32 v8, v1, v5
	s_wait_dscnt 0x0
	v_add_f32_e32 v5, v5, v8
	;; [unrolled: 3-line block ×4, first 2 shown]
	ds_bpermute_b32 v8, v4, v5
	s_and_saveexec_b32 s2, vcc_lo
	s_cbranch_execz .LBB142_41
; %bb.40:
	s_lshl_b32 s4, s6, 2
	s_mov_b32 s5, 0
	s_wait_dscnt 0x0
	v_dual_add_f32 v5, v5, v8 :: v_dual_mov_b32 v8, 0
	s_wait_alu 0xfffe
	s_lshl_b64 s[4:5], s[4:5], 2
	s_wait_alu 0xfffe
	s_add_nc_u64 s[4:5], s[0:1], s[4:5]
	global_store_b32 v8, v5, s[4:5]
.LBB142_41:
	s_wait_alu 0xfffe
	s_or_b32 exec_lo, exec_lo, s2
	ds_bpermute_b32 v5, v0, v7
	s_wait_dscnt 0x0
	v_add_f32_e32 v5, v7, v5
	ds_bpermute_b32 v7, v1, v5
	s_wait_dscnt 0x0
	v_add_f32_e32 v5, v5, v7
	;; [unrolled: 3-line block ×4, first 2 shown]
	ds_bpermute_b32 v7, v4, v5
	s_and_saveexec_b32 s2, vcc_lo
	s_cbranch_execz .LBB142_43
; %bb.42:
	s_mul_i32 s4, s6, 5
	s_mov_b32 s5, 0
	s_wait_dscnt 0x0
	v_add_f32_e32 v5, v5, v7
	v_mov_b32_e32 v7, 0
	s_wait_alu 0xfffe
	s_lshl_b64 s[4:5], s[4:5], 2
	s_wait_alu 0xfffe
	s_add_nc_u64 s[4:5], s[0:1], s[4:5]
	global_store_b32 v7, v5, s[4:5]
.LBB142_43:
	s_wait_alu 0xfffe
	s_or_b32 exec_lo, exec_lo, s2
	ds_bpermute_b32 v0, v0, v6
	s_wait_dscnt 0x0
	v_add_f32_e32 v0, v6, v0
	ds_bpermute_b32 v1, v1, v0
	s_wait_dscnt 0x0
	v_add_f32_e32 v0, v0, v1
	;; [unrolled: 3-line block ×4, first 2 shown]
	ds_bpermute_b32 v1, v4, v0
	s_and_b32 exec_lo, exec_lo, vcc_lo
	s_cbranch_execz .LBB142_45
; %bb.44:
	s_mul_i32 s2, s6, 6
	s_mov_b32 s3, 0
	s_wait_dscnt 0x0
	v_dual_add_f32 v0, v0, v1 :: v_dual_mov_b32 v1, 0
	s_wait_alu 0xfffe
	s_lshl_b64 s[2:3], s[2:3], 2
	s_wait_alu 0xfffe
	s_add_nc_u64 s[0:1], s[0:1], s[2:3]
	global_store_b32 v1, v0, s[0:1]
.LBB142_45:
	s_endpgm
	.section	.rodata,"a",@progbits
	.p2align	6, 0x0
	.amdhsa_kernel _ZL13mul_mat_vec_qIL9ggml_type13ELi7ELb0ELb0EEvPKvS2_PKi31ggml_cuda_mm_fusion_args_devicePfj15HIP_vector_typeIjLj3EEjjjS8_jjjS8_jjjj
		.amdhsa_group_segment_fixed_size 0
		.amdhsa_private_segment_fixed_size 0
		.amdhsa_kernarg_size 144
		.amdhsa_user_sgpr_count 2
		.amdhsa_user_sgpr_dispatch_ptr 0
		.amdhsa_user_sgpr_queue_ptr 0
		.amdhsa_user_sgpr_kernarg_segment_ptr 1
		.amdhsa_user_sgpr_dispatch_id 0
		.amdhsa_user_sgpr_private_segment_size 0
		.amdhsa_wavefront_size32 1
		.amdhsa_uses_dynamic_stack 0
		.amdhsa_enable_private_segment 0
		.amdhsa_system_sgpr_workgroup_id_x 1
		.amdhsa_system_sgpr_workgroup_id_y 1
		.amdhsa_system_sgpr_workgroup_id_z 1
		.amdhsa_system_sgpr_workgroup_info 0
		.amdhsa_system_vgpr_workitem_id 1
		.amdhsa_next_free_vgpr 86
		.amdhsa_next_free_sgpr 28
		.amdhsa_reserve_vcc 1
		.amdhsa_float_round_mode_32 0
		.amdhsa_float_round_mode_16_64 0
		.amdhsa_float_denorm_mode_32 3
		.amdhsa_float_denorm_mode_16_64 3
		.amdhsa_fp16_overflow 0
		.amdhsa_workgroup_processor_mode 1
		.amdhsa_memory_ordered 1
		.amdhsa_forward_progress 1
		.amdhsa_inst_pref_size 42
		.amdhsa_round_robin_scheduling 0
		.amdhsa_exception_fp_ieee_invalid_op 0
		.amdhsa_exception_fp_denorm_src 0
		.amdhsa_exception_fp_ieee_div_zero 0
		.amdhsa_exception_fp_ieee_overflow 0
		.amdhsa_exception_fp_ieee_underflow 0
		.amdhsa_exception_fp_ieee_inexact 0
		.amdhsa_exception_int_div_zero 0
	.end_amdhsa_kernel
	.section	.text._ZL13mul_mat_vec_qIL9ggml_type13ELi7ELb0ELb0EEvPKvS2_PKi31ggml_cuda_mm_fusion_args_devicePfj15HIP_vector_typeIjLj3EEjjjS8_jjjS8_jjjj,"axG",@progbits,_ZL13mul_mat_vec_qIL9ggml_type13ELi7ELb0ELb0EEvPKvS2_PKi31ggml_cuda_mm_fusion_args_devicePfj15HIP_vector_typeIjLj3EEjjjS8_jjjS8_jjjj,comdat
.Lfunc_end142:
	.size	_ZL13mul_mat_vec_qIL9ggml_type13ELi7ELb0ELb0EEvPKvS2_PKi31ggml_cuda_mm_fusion_args_devicePfj15HIP_vector_typeIjLj3EEjjjS8_jjjS8_jjjj, .Lfunc_end142-_ZL13mul_mat_vec_qIL9ggml_type13ELi7ELb0ELb0EEvPKvS2_PKi31ggml_cuda_mm_fusion_args_devicePfj15HIP_vector_typeIjLj3EEjjjS8_jjjS8_jjjj
                                        ; -- End function
	.set _ZL13mul_mat_vec_qIL9ggml_type13ELi7ELb0ELb0EEvPKvS2_PKi31ggml_cuda_mm_fusion_args_devicePfj15HIP_vector_typeIjLj3EEjjjS8_jjjS8_jjjj.num_vgpr, 86
	.set _ZL13mul_mat_vec_qIL9ggml_type13ELi7ELb0ELb0EEvPKvS2_PKi31ggml_cuda_mm_fusion_args_devicePfj15HIP_vector_typeIjLj3EEjjjS8_jjjS8_jjjj.num_agpr, 0
	.set _ZL13mul_mat_vec_qIL9ggml_type13ELi7ELb0ELb0EEvPKvS2_PKi31ggml_cuda_mm_fusion_args_devicePfj15HIP_vector_typeIjLj3EEjjjS8_jjjS8_jjjj.numbered_sgpr, 28
	.set _ZL13mul_mat_vec_qIL9ggml_type13ELi7ELb0ELb0EEvPKvS2_PKi31ggml_cuda_mm_fusion_args_devicePfj15HIP_vector_typeIjLj3EEjjjS8_jjjS8_jjjj.num_named_barrier, 0
	.set _ZL13mul_mat_vec_qIL9ggml_type13ELi7ELb0ELb0EEvPKvS2_PKi31ggml_cuda_mm_fusion_args_devicePfj15HIP_vector_typeIjLj3EEjjjS8_jjjS8_jjjj.private_seg_size, 0
	.set _ZL13mul_mat_vec_qIL9ggml_type13ELi7ELb0ELb0EEvPKvS2_PKi31ggml_cuda_mm_fusion_args_devicePfj15HIP_vector_typeIjLj3EEjjjS8_jjjS8_jjjj.uses_vcc, 1
	.set _ZL13mul_mat_vec_qIL9ggml_type13ELi7ELb0ELb0EEvPKvS2_PKi31ggml_cuda_mm_fusion_args_devicePfj15HIP_vector_typeIjLj3EEjjjS8_jjjS8_jjjj.uses_flat_scratch, 0
	.set _ZL13mul_mat_vec_qIL9ggml_type13ELi7ELb0ELb0EEvPKvS2_PKi31ggml_cuda_mm_fusion_args_devicePfj15HIP_vector_typeIjLj3EEjjjS8_jjjS8_jjjj.has_dyn_sized_stack, 0
	.set _ZL13mul_mat_vec_qIL9ggml_type13ELi7ELb0ELb0EEvPKvS2_PKi31ggml_cuda_mm_fusion_args_devicePfj15HIP_vector_typeIjLj3EEjjjS8_jjjS8_jjjj.has_recursion, 0
	.set _ZL13mul_mat_vec_qIL9ggml_type13ELi7ELb0ELb0EEvPKvS2_PKi31ggml_cuda_mm_fusion_args_devicePfj15HIP_vector_typeIjLj3EEjjjS8_jjjS8_jjjj.has_indirect_call, 0
	.section	.AMDGPU.csdata,"",@progbits
; Kernel info:
; codeLenInByte = 5260
; TotalNumSgprs: 30
; NumVgprs: 86
; ScratchSize: 0
; MemoryBound: 0
; FloatMode: 240
; IeeeMode: 1
; LDSByteSize: 0 bytes/workgroup (compile time only)
; SGPRBlocks: 0
; VGPRBlocks: 10
; NumSGPRsForWavesPerEU: 30
; NumVGPRsForWavesPerEU: 86
; Occupancy: 16
; WaveLimiterHint : 0
; COMPUTE_PGM_RSRC2:SCRATCH_EN: 0
; COMPUTE_PGM_RSRC2:USER_SGPR: 2
; COMPUTE_PGM_RSRC2:TRAP_HANDLER: 0
; COMPUTE_PGM_RSRC2:TGID_X_EN: 1
; COMPUTE_PGM_RSRC2:TGID_Y_EN: 1
; COMPUTE_PGM_RSRC2:TGID_Z_EN: 1
; COMPUTE_PGM_RSRC2:TIDIG_COMP_CNT: 1
	.section	.text._ZL13mul_mat_vec_qIL9ggml_type13ELi8ELb0ELb0EEvPKvS2_PKi31ggml_cuda_mm_fusion_args_devicePfj15HIP_vector_typeIjLj3EEjjjS8_jjjS8_jjjj,"axG",@progbits,_ZL13mul_mat_vec_qIL9ggml_type13ELi8ELb0ELb0EEvPKvS2_PKi31ggml_cuda_mm_fusion_args_devicePfj15HIP_vector_typeIjLj3EEjjjS8_jjjS8_jjjj,comdat
	.globl	_ZL13mul_mat_vec_qIL9ggml_type13ELi8ELb0ELb0EEvPKvS2_PKi31ggml_cuda_mm_fusion_args_devicePfj15HIP_vector_typeIjLj3EEjjjS8_jjjS8_jjjj ; -- Begin function _ZL13mul_mat_vec_qIL9ggml_type13ELi8ELb0ELb0EEvPKvS2_PKi31ggml_cuda_mm_fusion_args_devicePfj15HIP_vector_typeIjLj3EEjjjS8_jjjS8_jjjj
	.p2align	8
	.type	_ZL13mul_mat_vec_qIL9ggml_type13ELi8ELb0ELb0EEvPKvS2_PKi31ggml_cuda_mm_fusion_args_devicePfj15HIP_vector_typeIjLj3EEjjjS8_jjjS8_jjjj,@function
_ZL13mul_mat_vec_qIL9ggml_type13ELi8ELb0ELb0EEvPKvS2_PKi31ggml_cuda_mm_fusion_args_devicePfj15HIP_vector_typeIjLj3EEjjjS8_jjjS8_jjjj: ; @_ZL13mul_mat_vec_qIL9ggml_type13ELi8ELb0ELb0EEvPKvS2_PKi31ggml_cuda_mm_fusion_args_devicePfj15HIP_vector_typeIjLj3EEjjjS8_jjjS8_jjjj
; %bb.0:
	s_clause 0x5
	s_load_b96 s[16:18], s[0:1], 0x80
	s_load_b32 s12, s[0:1], 0x40
	s_load_b128 s[4:7], s[0:1], 0x50
	s_load_b32 s2, s[0:1], 0x60
	s_load_b128 s[8:11], s[0:1], 0x68
	s_load_b32 s3, s[0:1], 0x78
	v_bfe_u32 v13, v0, 10, 10
	v_dual_mov_b32 v6, 0 :: v_dual_and_b32 v9, 0x3ff, v0
	v_dual_mov_b32 v7, 0 :: v_dual_mov_b32 v8, 0
	v_dual_mov_b32 v10, 0 :: v_dual_mov_b32 v11, 0
	s_delay_alu instid0(VALU_DEP_3)
	v_lshl_or_b32 v0, v13, 5, v9
	v_mov_b32_e32 v12, 0
	v_mov_b32_e32 v14, 0
	v_mov_b32_e32 v16, 0
	s_and_b32 s19, ttmp7, 0xffff
	v_lshrrev_b32_e32 v15, 4, v0
	s_lshr_b32 s22, ttmp7, 16
	s_mov_b32 s23, exec_lo
	s_wait_kmcnt 0x0
	s_lshr_b32 s24, s12, 8
	s_delay_alu instid0(SALU_CYCLE_1)
	v_cmpx_gt_u32_e64 s24, v15
	s_cbranch_execz .LBB143_34
; %bb.1:
	s_load_b128 s[12:15], s[0:1], 0x0
	v_lshl_add_u32 v0, v13, 5, v9
	v_bfe_u32 v3, v9, 2, 2
	v_lshlrev_b32_e32 v2, 1, v9
	s_mul_hi_u32 s7, s7, s19
	s_mul_hi_u32 s11, s11, s22
	v_lshrrev_b32_e32 v5, 4, v0
	v_mul_hi_u32_u24_e32 v1, 0x48, v3
	v_mul_u32_u24_e32 v0, 0x48, v3
	s_mul_i32 s20, s17, s22
	s_mov_b32 s21, 0
	s_add_co_i32 s7, s19, s7
	s_add_co_i32 s11, s22, s11
	v_mad_co_u64_u32 v[0:1], null, 0x120, v5, v[0:1]
	s_mul_u64 s[26:27], s[20:21], 36
	s_mul_i32 s20, s9, s19
	s_lshr_b32 s7, s7, s2
	v_bfe_u32 v7, v2, 3, 2
	s_lshr_b32 s11, s11, s3
	s_mul_u64 s[2:3], s[20:21], 36
	s_mul_i32 s7, s7, s8
	s_wait_kmcnt 0x0
	s_add_nc_u64 s[8:9], s[14:15], s[26:27]
	v_and_b32_e32 v8, 3, v9
	s_add_nc_u64 s[8:9], s[8:9], s[2:3]
	v_lshlrev_b32_e32 v19, 1, v7
	v_dual_mov_b32 v6, 0 :: v_dual_lshlrev_b32 v17, 5, v7
	v_dual_mov_b32 v10, 0 :: v_dual_lshlrev_b32 v21, 1, v7
	v_dual_mov_b32 v7, 0 :: v_dual_and_b32 v4, 30, v2
	v_mov_b32_e32 v11, 0
	v_add_co_u32 v2, s2, s8, v0
	s_delay_alu instid0(VALU_DEP_1)
	v_add_co_ci_u32_e64 v3, null, s9, v1, s2
	v_lshlrev_b32_e32 v18, 2, v8
	v_lshlrev_b32_e32 v22, 2, v8
	v_mov_b32_e32 v8, 0
	v_mad_co_u64_u32 v[0:1], null, v19, 36, s[8:9]
	v_add_co_u32 v2, s2, v2, 36
	s_mul_i32 s4, s4, ttmp9
	s_wait_alu 0xf1ff
	v_add_co_ci_u32_e64 v3, null, 0, v3, s2
	v_lshlrev_b32_e32 v20, 3, v15
	v_mov_b32_e32 v12, 0
	v_mov_b32_e32 v14, 0
	;; [unrolled: 1-line block ×3, first 2 shown]
	s_mul_i32 s11, s11, s16
	s_add_co_i32 s7, s7, s4
	s_mul_i32 s8, s5, 3
	s_add_co_i32 s4, s11, s7
	s_lshl_b32 s7, s5, 1
	s_lshl_b32 s9, s5, 2
	s_mul_i32 s11, s5, 5
	s_mul_i32 s14, s5, 6
	;; [unrolled: 1-line block ×3, first 2 shown]
	v_cmp_lt_u32_e32 vcc_lo, 15, v4
	s_branch .LBB143_3
.LBB143_2:                              ;   in Loop: Header=BB143_3 Depth=1
	s_wait_alu 0xfffe
	s_or_b32 exec_lo, exec_lo, s2
	s_wait_loadcnt 0x31
	v_ashrrev_i32_e32 v4, v19, v62
	v_ashrrev_i32_e32 v5, v19, v61
	v_and_b32_e32 v62, 0xf0f0f0f, v57
	v_and_b32_e32 v61, 0xf0f0f0f, v58
	v_lshrrev_b32_e32 v58, 4, v58
	v_lshlrev_b32_e32 v64, 4, v4
	v_lshrrev_b32_e32 v57, 4, v57
	v_lshlrev_b32_e32 v92, 4, v5
	s_wait_loadcnt 0x9
	v_dot4_i32_iu8 v91, 0x1010101, v90, 0 neg_lo:[1,1,0]
	v_and_b32_e32 v58, 0xf0f0f0f, v58
	v_and_or_b32 v62, 0x10101010, v64, v62
	v_and_b32_e32 v57, 0xf0f0f0f, v57
	v_lshlrev_b32_e32 v5, 3, v5
	v_lshlrev_b32_e32 v4, 3, v4
	v_and_or_b32 v61, 0x10101010, v92, v61
	v_dot4_i32_iu8 v64, v62, v90, 0 neg_lo:[1,1,0]
	v_and_b32_e32 v90, 0xff, v67
	v_dot4_i32_iu8 v91, 0x1010101, v89, v91 neg_lo:[1,1,0]
	v_and_or_b32 v5, 0x10101010, v5, v58
	v_and_or_b32 v4, 0x10101010, v4, v57
	v_dot4_i32_iu8 v57, v61, v89, v64 neg_lo:[1,1,0]
	v_and_b32_e32 v58, 0xff, v65
	s_wait_loadcnt 0x7
	v_dot4_i32_iu8 v64, 0x1010101, v88, 0 neg_lo:[1,1,0]
	v_and_b32_e32 v89, 0xffff, v90
	v_lshrrev_b16 v67, 8, v67
	v_dot4_i32_iu8 v88, v4, v88, 0 neg_lo:[1,1,0]
	v_and_b32_e32 v58, 0xffff, v58
	v_dot4_i32_iu8 v64, 0x1010101, v87, v64 neg_lo:[1,1,0]
	v_mul_lo_u32 v89, v91, v89
	v_and_b32_e32 v67, 0xffff, v67
	v_lshrrev_b16 v65, 8, v65
	v_mul_lo_u32 v57, v57, v58
	v_dot4_i32_iu8 v58, v5, v87, v88 neg_lo:[1,1,0]
	v_lshrrev_b32_e32 v87, 16, v23
	v_mul_lo_u32 v64, v64, v67
	v_and_b32_e32 v65, 0xffff, v65
	v_cvt_f32_i32_e32 v67, v89
	v_add_nc_u32_e32 v15, 2, v15
	v_add_co_u32 v2, s3, 0x240, v2
	s_delay_alu instid0(VALU_DEP_4)
	v_mul_lo_u32 v58, v58, v65
	v_cvt_f32_i32_e32 v57, v57
	v_fma_mix_f32 v65, v84, v67, 0 op_sel_hi:[1,0,0]
	v_cvt_f32_i32_e32 v64, v64
	v_cvt_f32_f16_e32 v67, v87
	v_cmp_le_u32_e64 s2, s24, v15
	v_fma_mix_f32 v57, v84, v57, 0 op_sel_hi:[1,0,0]
	s_wait_alu 0xf1ff
	v_add_co_ci_u32_e64 v3, null, 0, v3, s3
	s_wait_loadcnt 0x6
	v_fma_mix_f32 v64, v85, v64, v65 op_sel_hi:[1,0,0]
	v_cvt_f32_i32_e32 v58, v58
	v_dot4_i32_iu8 v65, v62, v81, 0 neg_lo:[1,1,0]
	v_add_nc_u32_e32 v20, 16, v20
	s_or_b32 s21, s2, s21
	v_mul_f32_e32 v64, v64, v67
	v_fma_mix_f32 v57, v85, v58, v57 op_sel_hi:[1,0,0]
	v_dot4_i32_iu8 v65, v61, v77, v65 neg_lo:[1,1,0]
	s_wait_loadcnt 0x3
	v_dot4_i32_iu8 v58, v62, v86, 0 neg_lo:[1,1,0]
	s_delay_alu instid0(VALU_DEP_3)
	v_fma_mix_f32 v57, v57, v23, -v64 op_sel_hi:[0,1,0]
	v_dot4_i32_iu8 v64, 0x1010101, v81, 0 neg_lo:[1,1,0]
	v_and_b32_e32 v81, 0xff, v79
	v_lshrrev_b16 v79, 8, v79
	v_dot4_i32_iu8 v58, v61, v83, v58 neg_lo:[1,1,0]
	v_add_f32_e32 v7, v7, v57
	v_and_b32_e32 v57, 0xff, v80
	v_dot4_i32_iu8 v64, 0x1010101, v77, v64 neg_lo:[1,1,0]
	v_dot4_i32_iu8 v77, v4, v78, 0 neg_lo:[1,1,0]
	v_and_b32_e32 v81, 0xffff, v81
	v_dot4_i32_iu8 v78, 0x1010101, v78, 0 neg_lo:[1,1,0]
	v_and_b32_e32 v57, 0xffff, v57
	v_lshrrev_b16 v80, 8, v80
	v_dot4_i32_iu8 v77, v5, v76, v77 neg_lo:[1,1,0]
	v_mul_lo_u32 v65, v65, v81
	v_dot4_i32_iu8 v76, 0x1010101, v76, v78 neg_lo:[1,1,0]
	v_mul_lo_u32 v57, v64, v57
	v_and_b32_e32 v78, 0xffff, v79
	v_and_b32_e32 v79, 0xffff, v80
	s_wait_loadcnt 0x1
	v_dot4_i32_iu8 v80, v4, v82, 0 neg_lo:[1,1,0]
	v_dot4_i32_iu8 v64, 0x1010101, v86, 0 neg_lo:[1,1,0]
	v_mul_lo_u32 v77, v77, v78
	v_cvt_f32_i32_e32 v65, v65
	v_cvt_f32_i32_e32 v57, v57
	v_mul_lo_u32 v76, v76, v79
	v_dot4_i32_iu8 v79, v62, v72, 0 neg_lo:[1,1,0]
	v_dot4_i32_iu8 v72, 0x1010101, v72, 0 neg_lo:[1,1,0]
	v_fma_mix_f32 v65, v74, v65, 0 op_sel_hi:[1,0,0]
	v_fma_mix_f32 v57, v74, v57, 0 op_sel_hi:[1,0,0]
	v_cvt_f32_i32_e32 v74, v77
	v_dot4_i32_iu8 v77, v61, v68, v79 neg_lo:[1,1,0]
	v_and_b32_e32 v79, 0xff, v71
	v_dot4_i32_iu8 v78, v5, v75, v80 neg_lo:[1,1,0]
	v_dot4_i32_iu8 v68, 0x1010101, v68, v72 neg_lo:[1,1,0]
	v_dot4_i32_iu8 v72, 0x1010101, v69, 0 neg_lo:[1,1,0]
	v_and_b32_e32 v80, 0xff, v70
	v_and_b32_e32 v79, 0xffff, v79
	v_lshrrev_b16 v71, 8, v71
	v_dot4_i32_iu8 v69, v4, v69, 0 neg_lo:[1,1,0]
	v_dot4_i32_iu8 v72, 0x1010101, v66, v72 neg_lo:[1,1,0]
	v_and_b32_e32 v80, 0xffff, v80
	v_mul_lo_u32 v68, v68, v79
	v_and_b32_e32 v71, 0xffff, v71
	v_lshrrev_b16 v70, 8, v70
	v_dot4_i32_iu8 v66, v5, v66, v69 neg_lo:[1,1,0]
	v_mul_lo_u32 v69, v77, v80
	v_cvt_f32_i32_e32 v76, v76
	v_mul_lo_u32 v71, v72, v71
	v_and_b32_e32 v70, 0xffff, v70
	v_cvt_f32_i32_e32 v68, v68
	v_fma_mix_f32 v65, v73, v74, v65 op_sel_hi:[1,0,0]
	v_fma_mix_f32 v57, v73, v76, v57 op_sel_hi:[1,0,0]
	v_and_b32_e32 v73, 0xff, v56
	v_mul_lo_u32 v66, v66, v70
	v_cvt_f32_i32_e32 v69, v69
	v_fma_mix_f32 v68, v63, v68, 0 op_sel_hi:[1,0,0]
	v_cvt_f32_i32_e32 v70, v71
	v_dot4_i32_iu8 v71, v62, v54, 0 neg_lo:[1,1,0]
	v_dot4_i32_iu8 v54, 0x1010101, v54, 0 neg_lo:[1,1,0]
	v_fma_mix_f32 v63, v63, v69, 0 op_sel_hi:[1,0,0]
	v_lshrrev_b16 v56, 8, v56
	v_fma_mix_f32 v68, v59, v70, v68 op_sel_hi:[1,0,0]
	v_dot4_i32_iu8 v69, v61, v51, v71 neg_lo:[1,1,0]
	v_and_b32_e32 v70, 0xffff, v73
	v_dot4_i32_iu8 v71, v4, v53, 0 neg_lo:[1,1,0]
	v_and_b32_e32 v73, 0xff, v55
	v_dot4_i32_iu8 v51, 0x1010101, v51, v54 neg_lo:[1,1,0]
	v_dot4_i32_iu8 v53, 0x1010101, v53, 0 neg_lo:[1,1,0]
	v_mul_lo_u32 v69, v69, v70
	v_dot4_i32_iu8 v54, v5, v49, v71 neg_lo:[1,1,0]
	v_and_b32_e32 v70, 0xffff, v73
	v_and_b32_e32 v56, 0xffff, v56
	v_lshrrev_b16 v55, 8, v55
	v_dot4_i32_iu8 v49, 0x1010101, v49, v53 neg_lo:[1,1,0]
	v_mul_f32_e32 v57, v57, v67
	v_mul_lo_u32 v51, v51, v70
	v_mul_lo_u32 v54, v54, v56
	v_and_b32_e32 v55, 0xffff, v55
	v_cvt_f32_i32_e32 v66, v66
	v_cvt_f32_i32_e32 v53, v69
	v_fma_mix_f32 v56, v65, v23, -v57 op_sel_hi:[0,1,0]
	v_dot4_i32_iu8 v64, 0x1010101, v83, v64 neg_lo:[1,1,0]
	v_mul_lo_u32 v49, v49, v55
	v_fma_mix_f32 v57, v59, v66, v63 op_sel_hi:[1,0,0]
	v_mul_f32_e32 v59, v68, v67
	v_fma_mix_f32 v53, v48, v53, 0 op_sel_hi:[1,0,0]
	v_cvt_f32_i32_e32 v51, v51
	v_cvt_f32_i32_e32 v54, v54
	v_add_f32_e32 v8, v8, v56
	v_fma_mix_f32 v56, v57, v23, -v59 op_sel_hi:[0,1,0]
	v_cvt_f32_i32_e32 v49, v49
	v_fma_mix_f32 v48, v48, v51, 0 op_sel_hi:[1,0,0]
	v_fma_mix_f32 v51, v47, v54, v53 op_sel_hi:[1,0,0]
	v_dot4_i32_iu8 v53, v62, v46, 0 neg_lo:[1,1,0]
	v_dot4_i32_iu8 v46, 0x1010101, v46, 0 neg_lo:[1,1,0]
	v_and_b32_e32 v54, 0xff, v44
	v_and_b32_e32 v57, 0xff, v45
	v_fma_mix_f32 v47, v47, v49, v48 op_sel_hi:[1,0,0]
	v_dot4_i32_iu8 v48, v61, v43, v53 neg_lo:[1,1,0]
	v_dot4_i32_iu8 v43, 0x1010101, v43, v46 neg_lo:[1,1,0]
	v_and_b32_e32 v46, 0xffff, v54
	v_and_b32_e32 v49, 0xffff, v57
	v_dot4_i32_iu8 v53, 0x1010101, v42, 0 neg_lo:[1,1,0]
	v_lshrrev_b16 v45, 8, v45
	v_dot4_i32_iu8 v42, v4, v42, 0 neg_lo:[1,1,0]
	v_mul_lo_u32 v46, v48, v46
	v_mul_lo_u32 v43, v43, v49
	v_dot4_i32_iu8 v48, 0x1010101, v41, v53 neg_lo:[1,1,0]
	v_and_b32_e32 v45, 0xffff, v45
	v_lshrrev_b16 v44, 8, v44
	v_dot4_i32_iu8 v41, v5, v41, v42 neg_lo:[1,1,0]
	v_dot4_i32_iu8 v72, 0x1010101, v82, 0 neg_lo:[1,1,0]
	v_mul_f32_e32 v47, v47, v67
	v_cvt_f32_i32_e32 v46, v46
	v_cvt_f32_i32_e32 v43, v43
	v_mul_lo_u32 v45, v48, v45
	v_and_b32_e32 v42, 0xffff, v44
	v_dot4_i32_iu8 v55, 0x1010101, v75, v72 neg_lo:[1,1,0]
	v_fma_mix_f32 v44, v40, v46, 0 op_sel_hi:[1,0,0]
	v_fma_mix_f32 v40, v40, v43, 0 op_sel_hi:[1,0,0]
	v_dot4_i32_iu8 v43, v62, v38, 0 neg_lo:[1,1,0]
	v_dot4_i32_iu8 v38, 0x1010101, v38, 0 neg_lo:[1,1,0]
	v_mul_lo_u32 v41, v41, v42
	v_cvt_f32_i32_e32 v42, v45
	v_and_b32_e32 v45, 0xff, v36
	v_dot4_i32_iu8 v43, v61, v35, v43 neg_lo:[1,1,0]
	v_dot4_i32_iu8 v35, 0x1010101, v35, v38 neg_lo:[1,1,0]
	v_and_b32_e32 v38, 0xff, v37
	v_dot4_i32_iu8 v46, v4, v34, 0 neg_lo:[1,1,0]
	v_and_b32_e32 v45, 0xffff, v45
	v_dot4_i32_iu8 v34, 0x1010101, v34, 0 neg_lo:[1,1,0]
	v_lshrrev_b16 v37, 8, v37
	v_and_b32_e32 v38, 0xffff, v38
	v_lshrrev_b16 v36, 8, v36
	v_mul_lo_u32 v43, v43, v45
	v_dot4_i32_iu8 v45, v5, v33, v46 neg_lo:[1,1,0]
	v_dot4_i32_iu8 v33, 0x1010101, v33, v34 neg_lo:[1,1,0]
	v_mul_lo_u32 v34, v35, v38
	v_and_b32_e32 v35, 0xffff, v36
	v_and_b32_e32 v36, 0xffff, v37
	v_cvt_f32_i32_e32 v37, v41
	v_fma_mix_f32 v38, v39, v42, v40 op_sel_hi:[1,0,0]
	v_cvt_f32_i32_e32 v40, v43
	v_mul_lo_u32 v35, v45, v35
	v_mul_lo_u32 v33, v33, v36
	v_cvt_f32_i32_e32 v34, v34
	v_fma_mix_f32 v36, v39, v37, v44 op_sel_hi:[1,0,0]
	v_mul_f32_e32 v37, v38, v67
	v_dot4_i32_iu8 v38, v62, v30, 0 neg_lo:[1,1,0]
	v_fma_mix_f32 v39, v32, v40, 0 op_sel_hi:[1,0,0]
	v_fma_mix_f32 v32, v32, v34, 0 op_sel_hi:[1,0,0]
	v_cvt_f32_i32_e32 v34, v35
	v_cvt_f32_i32_e32 v33, v33
	v_dot4_i32_iu8 v30, 0x1010101, v30, 0 neg_lo:[1,1,0]
	v_dot4_i32_iu8 v4, v4, v29, 0 neg_lo:[1,1,0]
	v_dot4_i32_iu8 v35, v61, v28, v38 neg_lo:[1,1,0]
	v_fma_mix_f32 v34, v31, v34, v39 op_sel_hi:[1,0,0]
	v_fma_mix_f32 v31, v31, v33, v32 op_sel_hi:[1,0,0]
	v_dot4_i32_iu8 v28, 0x1010101, v28, v30 neg_lo:[1,1,0]
	v_dot4_i32_iu8 v29, 0x1010101, v29, 0 neg_lo:[1,1,0]
	v_lshrrev_b16 v32, 8, v27
	v_dot4_i32_iu8 v4, v5, v26, v4 neg_lo:[1,1,0]
	v_and_b32_e32 v5, 0xff, v27
	v_and_b32_e32 v33, 0xff00ff, v60
	v_bfe_u32 v38, v27, 16, 8
	v_dot4_i32_iu8 v26, 0x1010101, v26, v29 neg_lo:[1,1,0]
	v_and_b32_e32 v29, 0xffff, v32
	v_mul_lo_u32 v5, v28, v5
	v_lshrrev_b32_e32 v28, 16, v33
	v_pk_lshrrev_b16 v32, 8, v60 op_sel_hi:[0,1]
	v_mul_lo_u32 v30, v35, v38
	v_and_b32_e32 v33, 0xff, v33
	v_lshrrev_b32_e32 v27, 24, v27
	v_mul_lo_u32 v28, v64, v28
	v_lshrrev_b32_e32 v35, 16, v32
	v_cvt_f32_i32_e32 v5, v5
	v_mul_lo_u32 v26, v26, v29
	v_mul_lo_u32 v29, v58, v33
	v_cvt_f32_i32_e32 v30, v30
	v_and_b32_e32 v32, 0xff, v32
	v_mul_lo_u32 v33, v55, v35
	v_mul_lo_u32 v4, v4, v27
	v_cvt_f32_i32_e32 v27, v28
	v_fma_mix_f32 v30, v25, v30, 0 op_sel_hi:[1,0,0]
	v_fma_mix_f32 v5, v25, v5, 0 op_sel_hi:[1,0,0]
	v_mul_lo_u32 v25, v78, v32
	v_cvt_f32_i32_e32 v26, v26
	v_cvt_f32_i32_e32 v28, v29
	v_fma_mix_f32 v27, v50, v27, 0 op_sel_hi:[1,0,0]
	v_cvt_f32_i32_e32 v29, v33
	v_cvt_f32_i32_e32 v4, v4
	v_fma_mix_f32 v5, v24, v26, v5 op_sel_hi:[1,0,0]
	v_fma_mix_f32 v26, v50, v28, 0 op_sel_hi:[1,0,0]
	v_cvt_f32_i32_e32 v25, v25
	s_wait_loadcnt 0x0
	v_fma_mix_f32 v27, v52, v29, v27 op_sel_hi:[1,0,0]
	v_mul_f32_e32 v28, v31, v67
	v_fma_mix_f32 v4, v24, v4, v30 op_sel_hi:[1,0,0]
	v_mul_f32_e32 v5, v5, v67
	;; [unrolled: 2-line block ×3, first 2 shown]
	v_fma_mix_f32 v47, v51, v23, -v47 op_sel_hi:[0,1,0]
	v_fma_mix_f32 v26, v36, v23, -v37 op_sel_hi:[0,1,0]
	;; [unrolled: 1-line block ×5, first 2 shown]
	v_dual_add_f32 v10, v10, v56 :: v_dual_add_f32 v11, v11, v47
	v_add_f32_e32 v12, v12, v26
	v_add_f32_e32 v14, v14, v27
	;; [unrolled: 1-line block ×4, first 2 shown]
	s_and_not1_b32 exec_lo, exec_lo, s21
	s_cbranch_execz .LBB143_33
.LBB143_3:                              ; =>This Inner Loop Header: Depth=1
	v_add_nc_u32_e32 v4, s4, v15
                                        ; implicit-def: $vgpr64
                                        ; implicit-def: $vgpr27
	s_delay_alu instid0(VALU_DEP_1) | instskip(NEXT) | instid1(VALU_DEP_1)
	v_mad_co_i64_i32 v[4:5], null, 0xb0, v4, s[12:13]
	v_add_co_u32 v25, s2, v4, v17
	s_wait_alu 0xf1ff
	s_delay_alu instid0(VALU_DEP_2)
	v_add_co_ci_u32_e64 v26, null, 0, v5, s2
	v_add_co_u32 v23, s2, v4, v18
	s_wait_alu 0xf1ff
	v_add_co_ci_u32_e64 v24, null, 0, v5, s2
	v_add_co_u32 v25, s2, v25, v18
	s_wait_alu 0xf1ff
	v_add_co_ci_u32_e64 v26, null, 0, v26, s2
	v_add_co_u32 v31, s2, v2, v18
	s_wait_alu 0xf1ff
	v_add_co_ci_u32_e64 v32, null, 0, v3, s2
	s_clause 0x4
	global_load_b32 v58, v[25:26], off offset:48
	global_load_b32 v57, v[25:26], off offset:64
	;; [unrolled: 1-line block ×4, first 2 shown]
	global_load_b32 v23, v[4:5], off
	s_clause 0x5
	global_load_b32 v25, v[2:3], off offset:-36
	global_load_b32 v28, v[31:32], off offset:-32
	;; [unrolled: 1-line block ×3, first 2 shown]
	global_load_b32 v24, v[2:3], off
	global_load_b32 v26, v[31:32], off offset:4
	global_load_b32 v29, v[31:32], off offset:20
	v_add_co_u32 v4, s2, v4, v21
	s_wait_alu 0xf1ff
	v_add_co_ci_u32_e64 v5, null, 0, v5, s2
	s_and_saveexec_b32 s2, vcc_lo
	s_wait_alu 0xfffe
	s_xor_b32 s2, exec_lo, s2
	s_cbranch_execz .LBB143_5
; %bb.4:                                ;   in Loop: Header=BB143_3 Depth=1
	s_clause 0x1
	global_load_u16 v27, v[4:5], off offset:8
	global_load_u16 v31, v[4:5], off offset:4
	s_wait_loadcnt 0x1
	v_mov_b32_e32 v32, v27
	s_wait_loadcnt 0x0
	v_perm_b32 v64, v27, v31, 0x5040100
	s_delay_alu instid0(VALU_DEP_1) | instskip(NEXT) | instid1(VALU_DEP_1)
	v_pk_lshrrev_b16 v27, 2, v64
	v_and_b32_e32 v27, 0xf0f3030, v27
	global_load_d16_hi_b16 v32, v[4:5], off
	s_wait_loadcnt 0x0
	v_pk_lshrrev_b16 v31, 0x20004, v32
	s_delay_alu instid0(VALU_DEP_1)
	v_and_or_b32 v27, 0x30300f0f, v31, v27
.LBB143_5:                              ;   in Loop: Header=BB143_3 Depth=1
	s_wait_alu 0xfffe
	s_and_not1_saveexec_b32 s2, s2
	s_cbranch_execz .LBB143_7
; %bb.6:                                ;   in Loop: Header=BB143_3 Depth=1
	s_clause 0x1
	global_load_u16 v31, v[4:5], off offset:4
	global_load_u16 v32, v[4:5], off offset:8
	s_wait_loadcnt 0x0
	v_perm_b32 v27, v31, v32, 0x5040100
	v_perm_b32 v64, v32, v31, 0x5040100
	s_delay_alu instid0(VALU_DEP_2)
	v_and_b32_e32 v27, 0x3f3f3f3f, v27
.LBB143_7:                              ;   in Loop: Header=BB143_3 Depth=1
	s_wait_alu 0xfffe
	s_or_b32 exec_lo, exec_lo, s2
	v_add_nc_u32_e32 v31, s5, v20
	v_lshrrev_b32_e32 v75, 16, v64
	v_lshrrev_b16 v60, 2, v64
	s_delay_alu instid0(VALU_DEP_3) | instskip(NEXT) | instid1(VALU_DEP_3)
	v_mad_co_u64_u32 v[36:37], null, v31, 36, v[0:1]
	v_and_b32_e32 v50, 0xf0f, v75
	s_delay_alu instid0(VALU_DEP_2) | instskip(SKIP_1) | instid1(VALU_DEP_3)
	v_add_co_u32 v39, s2, v36, v22
	s_wait_alu 0xf1ff
	v_add_co_ci_u32_e64 v40, null, 0, v37, s2
	s_clause 0x5
	global_load_b32 v32, v[36:37], off
	global_load_b32 v35, v[39:40], off offset:4
	global_load_b32 v38, v[39:40], off offset:20
	;; [unrolled: 1-line block ×5, first 2 shown]
	v_lshrrev_b32_e32 v36, 20, v64
                                        ; implicit-def: $vgpr37
	s_delay_alu instid0(VALU_DEP_1)
	v_and_b32_e32 v52, 0xf0f, v36
                                        ; implicit-def: $vgpr36
	s_and_saveexec_b32 s2, vcc_lo
	s_wait_alu 0xfffe
	s_xor_b32 s2, exec_lo, s2
	s_cbranch_execz .LBB143_9
; %bb.8:                                ;   in Loop: Header=BB143_3 Depth=1
	global_load_u16 v36, v[4:5], off
	v_and_b32_e32 v37, 0x3030, v60
	s_delay_alu instid0(VALU_DEP_1) | instskip(SKIP_2) | instid1(VALU_DEP_1)
	v_or_b32_e32 v37, v37, v52
	s_wait_loadcnt 0x0
	v_lshrrev_b16 v36, 2, v36
	v_and_b32_e32 v36, 0x3030, v36
	s_delay_alu instid0(VALU_DEP_1)
	v_or_b32_e32 v36, v36, v50
.LBB143_9:                              ;   in Loop: Header=BB143_3 Depth=1
	s_wait_alu 0xfffe
	s_or_saveexec_b32 s2, s2
	v_and_b32_e32 v65, 0x3f3f, v64
	v_and_b32_e32 v67, 0x3f3f, v75
	s_wait_alu 0xfffe
	s_xor_b32 exec_lo, exec_lo, s2
; %bb.10:                               ;   in Loop: Header=BB143_3 Depth=1
	v_and_b32_e32 v36, 0x3f3f, v64
	v_and_b32_e32 v37, 0x3f3f, v75
; %bb.11:                               ;   in Loop: Header=BB143_3 Depth=1
	s_or_b32 exec_lo, exec_lo, s2
	v_add_nc_u32_e32 v39, s7, v20
	s_delay_alu instid0(VALU_DEP_1) | instskip(NEXT) | instid1(VALU_DEP_1)
	v_mad_co_u64_u32 v[44:45], null, v39, 36, v[0:1]
	v_add_co_u32 v47, s2, v44, v22
	s_wait_alu 0xf1ff
	s_delay_alu instid0(VALU_DEP_2)
	v_add_co_ci_u32_e64 v48, null, 0, v45, s2
	s_clause 0x5
	global_load_b32 v40, v[44:45], off
	global_load_b32 v43, v[47:48], off offset:4
	global_load_b32 v46, v[47:48], off offset:20
	;; [unrolled: 1-line block ×5, first 2 shown]
                                        ; implicit-def: $vgpr44
                                        ; implicit-def: $vgpr45
	s_and_saveexec_b32 s2, vcc_lo
	s_wait_alu 0xfffe
	s_xor_b32 s2, exec_lo, s2
	s_cbranch_execz .LBB143_13
; %bb.12:                               ;   in Loop: Header=BB143_3 Depth=1
	global_load_u16 v44, v[4:5], off
	v_and_b32_e32 v45, 0x3030, v60
	s_delay_alu instid0(VALU_DEP_1) | instskip(SKIP_2) | instid1(VALU_DEP_1)
	v_or_b32_e32 v45, v45, v52
	s_wait_loadcnt 0x0
	v_lshrrev_b16 v44, 2, v44
	v_and_b32_e32 v44, 0x3030, v44
	s_delay_alu instid0(VALU_DEP_1)
	v_or_b32_e32 v44, v44, v50
.LBB143_13:                             ;   in Loop: Header=BB143_3 Depth=1
	s_wait_alu 0xfffe
	s_and_not1_saveexec_b32 s2, s2
; %bb.14:                               ;   in Loop: Header=BB143_3 Depth=1
	v_and_b32_e32 v44, 0x3f3f, v64
	v_and_b32_e32 v45, 0x3f3f, v75
; %bb.15:                               ;   in Loop: Header=BB143_3 Depth=1
	s_wait_alu 0xfffe
	s_or_b32 exec_lo, exec_lo, s2
	v_add_nc_u32_e32 v47, s8, v20
	s_delay_alu instid0(VALU_DEP_1) | instskip(NEXT) | instid1(VALU_DEP_1)
	v_mad_co_u64_u32 v[55:56], null, v47, 36, v[0:1]
	v_add_co_u32 v68, s2, v55, v22
	s_wait_alu 0xf1ff
	s_delay_alu instid0(VALU_DEP_2)
	v_add_co_ci_u32_e64 v69, null, 0, v56, s2
	s_clause 0x5
	global_load_b32 v48, v[55:56], off
	global_load_b32 v51, v[68:69], off offset:4
	global_load_b32 v54, v[68:69], off offset:20
	global_load_b32 v49, v[68:69], off offset:40
	global_load_b32 v53, v[68:69], off offset:56
	global_load_b32 v47, v[55:56], off offset:36
                                        ; implicit-def: $vgpr56
                                        ; implicit-def: $vgpr55
	s_and_saveexec_b32 s2, vcc_lo
	s_wait_alu 0xfffe
	s_xor_b32 s2, exec_lo, s2
	s_cbranch_execz .LBB143_17
; %bb.16:                               ;   in Loop: Header=BB143_3 Depth=1
	global_load_u16 v55, v[4:5], off
	v_and_b32_e32 v59, 0x3030, v60
	s_wait_loadcnt 0x0
	v_lshrrev_b16 v55, 2, v55
	s_delay_alu instid0(VALU_DEP_1) | instskip(NEXT) | instid1(VALU_DEP_1)
	v_and_b32_e32 v55, 0x3030, v55
	v_or_b32_e32 v56, v55, v50
	v_or_b32_e32 v55, v59, v52
.LBB143_17:                             ;   in Loop: Header=BB143_3 Depth=1
	s_wait_alu 0xfffe
	s_and_not1_saveexec_b32 s2, s2
; %bb.18:                               ;   in Loop: Header=BB143_3 Depth=1
	v_and_b32_e32 v56, 0x3f3f, v64
	v_and_b32_e32 v55, 0x3f3f, v75
; %bb.19:                               ;   in Loop: Header=BB143_3 Depth=1
	s_wait_alu 0xfffe
	s_or_b32 exec_lo, exec_lo, s2
	v_add_nc_u32_e32 v59, s9, v20
	s_delay_alu instid0(VALU_DEP_1) | instskip(NEXT) | instid1(VALU_DEP_1)
	v_mad_co_u64_u32 v[70:71], null, v59, 36, v[0:1]
	v_add_co_u32 v73, s2, v70, v22
	s_wait_alu 0xf1ff
	s_delay_alu instid0(VALU_DEP_2)
	v_add_co_ci_u32_e64 v74, null, 0, v71, s2
	s_clause 0x5
	global_load_b32 v63, v[70:71], off
	global_load_b32 v68, v[73:74], off offset:4
	global_load_b32 v72, v[73:74], off offset:20
	;; [unrolled: 1-line block ×5, first 2 shown]
                                        ; implicit-def: $vgpr70
                                        ; implicit-def: $vgpr71
	s_and_saveexec_b32 s2, vcc_lo
	s_wait_alu 0xfffe
	s_xor_b32 s2, exec_lo, s2
	s_cbranch_execz .LBB143_21
; %bb.20:                               ;   in Loop: Header=BB143_3 Depth=1
	global_load_u16 v70, v[4:5], off
	v_and_b32_e32 v71, 0x3030, v60
	s_delay_alu instid0(VALU_DEP_1) | instskip(SKIP_2) | instid1(VALU_DEP_1)
	v_or_b32_e32 v71, v71, v52
	s_wait_loadcnt 0x0
	v_lshrrev_b16 v70, 2, v70
	v_and_b32_e32 v70, 0x3030, v70
	s_delay_alu instid0(VALU_DEP_1)
	v_or_b32_e32 v70, v70, v50
.LBB143_21:                             ;   in Loop: Header=BB143_3 Depth=1
	s_wait_alu 0xfffe
	s_and_not1_saveexec_b32 s2, s2
; %bb.22:                               ;   in Loop: Header=BB143_3 Depth=1
	v_and_b32_e32 v70, 0x3f3f, v64
	v_and_b32_e32 v71, 0x3f3f, v75
; %bb.23:                               ;   in Loop: Header=BB143_3 Depth=1
	s_wait_alu 0xfffe
	s_or_b32 exec_lo, exec_lo, s2
	v_add_nc_u32_e32 v73, s11, v20
	s_delay_alu instid0(VALU_DEP_1) | instskip(NEXT) | instid1(VALU_DEP_1)
	v_mad_co_u64_u32 v[79:80], null, v73, 36, v[0:1]
	v_add_co_u32 v82, s2, v79, v22
	s_wait_alu 0xf1ff
	s_delay_alu instid0(VALU_DEP_2)
	v_add_co_ci_u32_e64 v83, null, 0, v80, s2
	s_clause 0x5
	global_load_b32 v74, v[79:80], off
	global_load_b32 v77, v[82:83], off offset:4
	global_load_b32 v81, v[82:83], off offset:20
	;; [unrolled: 1-line block ×5, first 2 shown]
                                        ; implicit-def: $vgpr79
                                        ; implicit-def: $vgpr80
	s_and_saveexec_b32 s2, vcc_lo
	s_wait_alu 0xfffe
	s_xor_b32 s2, exec_lo, s2
	s_cbranch_execz .LBB143_25
; %bb.24:                               ;   in Loop: Header=BB143_3 Depth=1
	global_load_u16 v75, v[4:5], off
	v_and_b32_e32 v80, 0x3030, v60
	s_delay_alu instid0(VALU_DEP_1) | instskip(SKIP_2) | instid1(VALU_DEP_1)
	v_or_b32_e32 v80, v80, v52
	s_wait_loadcnt 0x0
	v_lshrrev_b16 v75, 2, v75
	v_and_b32_e32 v75, 0x3030, v75
	s_delay_alu instid0(VALU_DEP_1)
	v_or_b32_e32 v79, v75, v50
                                        ; implicit-def: $vgpr75
.LBB143_25:                             ;   in Loop: Header=BB143_3 Depth=1
	s_wait_alu 0xfffe
	s_and_not1_saveexec_b32 s2, s2
; %bb.26:                               ;   in Loop: Header=BB143_3 Depth=1
	v_and_b32_e32 v79, 0x3f3f, v64
	v_and_b32_e32 v80, 0x3f3f, v75
; %bb.27:                               ;   in Loop: Header=BB143_3 Depth=1
	s_wait_alu 0xfffe
	s_or_b32 exec_lo, exec_lo, s2
	v_add_nc_u32_e32 v75, s14, v20
	s_delay_alu instid0(VALU_DEP_1) | instskip(NEXT) | instid1(VALU_DEP_1)
	v_mad_co_u64_u32 v[82:83], null, v75, 36, v[0:1]
	v_add_co_u32 v85, s2, v82, v22
	s_wait_alu 0xf1ff
	s_delay_alu instid0(VALU_DEP_2)
	v_add_co_ci_u32_e64 v86, null, 0, v83, s2
	s_clause 0x5
	global_load_b32 v84, v[82:83], off
	global_load_b32 v89, v[85:86], off offset:4
	global_load_b32 v90, v[85:86], off offset:20
	global_load_b32 v87, v[85:86], off offset:40
	global_load_b32 v88, v[85:86], off offset:56
	global_load_b32 v85, v[82:83], off offset:36
	s_and_saveexec_b32 s2, vcc_lo
	s_wait_alu 0xfffe
	s_xor_b32 s2, exec_lo, s2
	s_cbranch_execz .LBB143_29
; %bb.28:                               ;   in Loop: Header=BB143_3 Depth=1
	global_load_u16 v65, v[4:5], off
	v_and_b32_e32 v60, 0x3030, v60
	s_delay_alu instid0(VALU_DEP_1) | instskip(SKIP_2) | instid1(VALU_DEP_1)
	v_or_b32_e32 v67, v60, v52
	s_wait_loadcnt 0x0
	v_lshrrev_b16 v65, 2, v65
	v_and_b32_e32 v65, 0x3030, v65
	s_delay_alu instid0(VALU_DEP_1)
	v_or_b32_e32 v65, v65, v50
.LBB143_29:                             ;   in Loop: Header=BB143_3 Depth=1
	s_wait_alu 0xfffe
	s_and_not1_saveexec_b32 s2, s2
	s_wait_alu 0xfffe
	s_or_b32 exec_lo, exec_lo, s2
	v_add_nc_u32_e32 v50, s15, v20
                                        ; implicit-def: $vgpr60
	s_delay_alu instid0(VALU_DEP_1) | instskip(NEXT) | instid1(VALU_DEP_1)
	v_mad_co_u64_u32 v[91:92], null, v50, 36, v[0:1]
	v_add_co_u32 v93, s2, v91, v22
	s_wait_alu 0xf1ff
	s_delay_alu instid0(VALU_DEP_2)
	v_add_co_ci_u32_e64 v94, null, 0, v92, s2
	s_clause 0x5
	global_load_b32 v50, v[91:92], off
	global_load_b32 v83, v[93:94], off offset:4
	global_load_b32 v86, v[93:94], off offset:20
	;; [unrolled: 1-line block ×5, first 2 shown]
	s_and_saveexec_b32 s2, vcc_lo
	s_wait_alu 0xfffe
	s_xor_b32 s2, exec_lo, s2
	s_cbranch_execz .LBB143_31
; %bb.30:                               ;   in Loop: Header=BB143_3 Depth=1
	global_load_u16 v4, v[4:5], off
	v_pk_lshrrev_b16 v5, 4, v64 op_sel:[1,1] op_sel_hi:[0,1]
	s_delay_alu instid0(VALU_DEP_1) | instskip(SKIP_2) | instid1(VALU_DEP_1)
	v_and_b32_e32 v5, 0xf0f0f0f, v5
	s_wait_loadcnt 0x0
	v_perm_b32 v4, v64, v4, 0x5040100
                                        ; implicit-def: $vgpr64
	v_pk_lshrrev_b16 v4, 2, v4 op_sel_hi:[0,1]
	s_delay_alu instid0(VALU_DEP_1)
	v_and_or_b32 v60, 0x30303030, v4, v5
.LBB143_31:                             ;   in Loop: Header=BB143_3 Depth=1
	s_wait_alu 0xfffe
	s_and_not1_saveexec_b32 s2, s2
	s_cbranch_execz .LBB143_2
; %bb.32:                               ;   in Loop: Header=BB143_3 Depth=1
	v_and_b32_e32 v60, 0x3f3f3f3f, v64
	s_branch .LBB143_2
.LBB143_33:
	s_or_b32 exec_lo, exec_lo, s21
.LBB143_34:
	s_delay_alu instid0(SALU_CYCLE_1)
	s_or_b32 exec_lo, exec_lo, s23
	s_mov_b32 s3, 0
	; wave barrier
	global_inv scope:SCOPE_SE
	s_mov_b32 s2, exec_lo
	v_cmpx_eq_u32_e32 0, v13
	s_cbranch_execz .LBB143_51
; %bb.35:
	v_mbcnt_lo_u32_b32 v4, -1, 0
	s_load_b64 s[0:1], s[0:1], 0x38
	s_mul_i32 s2, s10, s19
	s_mul_i32 s4, s18, s22
	s_wait_alu 0xfffe
	s_add_co_i32 s2, s2, ttmp9
	v_xor_b32_e32 v0, 16, v4
	v_xor_b32_e32 v1, 8, v4
	;; [unrolled: 1-line block ×3, first 2 shown]
	s_wait_alu 0xfffe
	s_add_co_i32 s2, s2, s4
	s_wait_alu 0xfffe
	s_lshl_b64 s[2:3], s[2:3], 2
	v_cmp_gt_i32_e32 vcc_lo, 32, v0
	v_cndmask_b32_e32 v0, v4, v0, vcc_lo
	v_cmp_gt_i32_e32 vcc_lo, 32, v1
	s_wait_kmcnt 0x0
	s_wait_alu 0xfffe
	s_add_nc_u64 s[0:1], s[0:1], s[2:3]
	s_wait_alu 0xfffd
	v_cndmask_b32_e32 v1, v4, v1, vcc_lo
	s_delay_alu instid0(VALU_DEP_1)
	v_lshlrev_b32_e32 v1, 2, v1
	v_lshlrev_b32_e32 v0, 2, v0
	ds_bpermute_b32 v2, v0, v16
	s_wait_dscnt 0x0
	v_add_f32_e32 v3, v16, v2
	v_xor_b32_e32 v2, 4, v4
	ds_bpermute_b32 v5, v1, v3
	v_cmp_gt_i32_e32 vcc_lo, 32, v2
	s_wait_dscnt 0x0
	s_wait_alu 0xfffd
	v_dual_cndmask_b32 v2, v4, v2 :: v_dual_add_f32 v5, v3, v5
	s_delay_alu instid0(VALU_DEP_1)
	v_lshlrev_b32_e32 v2, 2, v2
	v_xor_b32_e32 v3, 2, v4
	ds_bpermute_b32 v13, v2, v5
	v_cmp_gt_i32_e32 vcc_lo, 32, v3
	s_wait_alu 0xfffd
	v_cndmask_b32_e32 v3, v4, v3, vcc_lo
	v_cmp_gt_i32_e32 vcc_lo, 32, v15
	s_wait_alu 0xfffd
	v_cndmask_b32_e32 v4, v4, v15, vcc_lo
	v_cmp_eq_u32_e32 vcc_lo, 0, v9
	s_delay_alu instid0(VALU_DEP_2)
	v_lshlrev_b32_e32 v4, 2, v4
	v_lshlrev_b32_e32 v3, 2, v3
	s_wait_dscnt 0x0
	v_add_f32_e32 v5, v5, v13
	ds_bpermute_b32 v13, v3, v5
	s_wait_dscnt 0x0
	v_add_f32_e32 v5, v5, v13
	ds_bpermute_b32 v13, v4, v5
	s_and_saveexec_b32 s2, vcc_lo
	s_cbranch_execz .LBB143_37
; %bb.36:
	s_wait_dscnt 0x0
	v_add_f32_e32 v5, v5, v13
	v_mov_b32_e32 v9, 0
	global_store_b32 v9, v5, s[0:1]
.LBB143_37:
	s_wait_alu 0xfffe
	s_or_b32 exec_lo, exec_lo, s2
	ds_bpermute_b32 v5, v0, v14
	s_wait_dscnt 0x0
	v_add_f32_e32 v5, v14, v5
	ds_bpermute_b32 v9, v1, v5
	s_wait_dscnt 0x0
	v_add_f32_e32 v5, v5, v9
	;; [unrolled: 3-line block ×4, first 2 shown]
	ds_bpermute_b32 v9, v4, v5
	s_and_saveexec_b32 s2, vcc_lo
	s_cbranch_execz .LBB143_39
; %bb.38:
	s_mov_b32 s7, 0
	s_wait_dscnt 0x0
	v_add_f32_e32 v5, v5, v9
	v_mov_b32_e32 v9, 0
	s_wait_alu 0xfffe
	s_lshl_b64 s[4:5], s[6:7], 2
	s_wait_alu 0xfffe
	s_add_nc_u64 s[4:5], s[0:1], s[4:5]
	global_store_b32 v9, v5, s[4:5]
.LBB143_39:
	s_wait_alu 0xfffe
	s_or_b32 exec_lo, exec_lo, s2
	ds_bpermute_b32 v5, v0, v12
	s_wait_dscnt 0x0
	v_add_f32_e32 v5, v12, v5
	ds_bpermute_b32 v9, v1, v5
	s_wait_dscnt 0x0
	v_add_f32_e32 v5, v5, v9
	;; [unrolled: 3-line block ×4, first 2 shown]
	ds_bpermute_b32 v9, v4, v5
	s_and_saveexec_b32 s2, vcc_lo
	s_cbranch_execz .LBB143_41
; %bb.40:
	s_lshl_b32 s4, s6, 1
	s_mov_b32 s5, 0
	s_wait_dscnt 0x0
	v_add_f32_e32 v5, v5, v9
	v_mov_b32_e32 v9, 0
	s_wait_alu 0xfffe
	s_lshl_b64 s[4:5], s[4:5], 2
	s_wait_alu 0xfffe
	s_add_nc_u64 s[4:5], s[0:1], s[4:5]
	global_store_b32 v9, v5, s[4:5]
.LBB143_41:
	s_wait_alu 0xfffe
	s_or_b32 exec_lo, exec_lo, s2
	ds_bpermute_b32 v5, v0, v11
	s_wait_dscnt 0x0
	v_add_f32_e32 v5, v11, v5
	ds_bpermute_b32 v9, v1, v5
	s_wait_dscnt 0x0
	v_add_f32_e32 v5, v5, v9
	;; [unrolled: 3-line block ×4, first 2 shown]
	ds_bpermute_b32 v9, v4, v5
	s_and_saveexec_b32 s2, vcc_lo
	s_cbranch_execz .LBB143_43
; %bb.42:
	s_mul_i32 s4, s6, 3
	s_mov_b32 s5, 0
	s_wait_dscnt 0x0
	v_add_f32_e32 v5, v5, v9
	v_mov_b32_e32 v9, 0
	s_wait_alu 0xfffe
	s_lshl_b64 s[4:5], s[4:5], 2
	s_wait_alu 0xfffe
	s_add_nc_u64 s[4:5], s[0:1], s[4:5]
	global_store_b32 v9, v5, s[4:5]
.LBB143_43:
	s_wait_alu 0xfffe
	s_or_b32 exec_lo, exec_lo, s2
	ds_bpermute_b32 v5, v0, v10
	s_wait_dscnt 0x0
	v_add_f32_e32 v5, v10, v5
	ds_bpermute_b32 v9, v1, v5
	s_wait_dscnt 0x0
	v_add_f32_e32 v5, v5, v9
	;; [unrolled: 3-line block ×4, first 2 shown]
	ds_bpermute_b32 v9, v4, v5
	s_and_saveexec_b32 s2, vcc_lo
	s_cbranch_execz .LBB143_45
; %bb.44:
	s_lshl_b32 s4, s6, 2
	s_mov_b32 s5, 0
	s_wait_dscnt 0x0
	v_add_f32_e32 v5, v5, v9
	v_mov_b32_e32 v9, 0
	s_wait_alu 0xfffe
	s_lshl_b64 s[4:5], s[4:5], 2
	s_wait_alu 0xfffe
	s_add_nc_u64 s[4:5], s[0:1], s[4:5]
	global_store_b32 v9, v5, s[4:5]
.LBB143_45:
	s_wait_alu 0xfffe
	s_or_b32 exec_lo, exec_lo, s2
	ds_bpermute_b32 v5, v0, v8
	s_wait_dscnt 0x0
	v_add_f32_e32 v5, v8, v5
	ds_bpermute_b32 v8, v1, v5
	s_wait_dscnt 0x0
	v_add_f32_e32 v5, v5, v8
	;; [unrolled: 3-line block ×4, first 2 shown]
	ds_bpermute_b32 v8, v4, v5
	s_and_saveexec_b32 s2, vcc_lo
	s_cbranch_execz .LBB143_47
; %bb.46:
	s_mul_i32 s4, s6, 5
	s_mov_b32 s5, 0
	s_wait_dscnt 0x0
	v_dual_add_f32 v5, v5, v8 :: v_dual_mov_b32 v8, 0
	s_wait_alu 0xfffe
	s_lshl_b64 s[4:5], s[4:5], 2
	s_wait_alu 0xfffe
	s_add_nc_u64 s[4:5], s[0:1], s[4:5]
	global_store_b32 v8, v5, s[4:5]
.LBB143_47:
	s_wait_alu 0xfffe
	s_or_b32 exec_lo, exec_lo, s2
	ds_bpermute_b32 v5, v0, v7
	s_wait_dscnt 0x0
	v_add_f32_e32 v5, v7, v5
	ds_bpermute_b32 v7, v1, v5
	s_wait_dscnt 0x0
	v_add_f32_e32 v5, v5, v7
	;; [unrolled: 3-line block ×4, first 2 shown]
	ds_bpermute_b32 v7, v4, v5
	s_and_saveexec_b32 s2, vcc_lo
	s_cbranch_execz .LBB143_49
; %bb.48:
	s_mul_i32 s4, s6, 6
	s_mov_b32 s5, 0
	s_wait_dscnt 0x0
	v_add_f32_e32 v5, v5, v7
	v_mov_b32_e32 v7, 0
	s_wait_alu 0xfffe
	s_lshl_b64 s[4:5], s[4:5], 2
	s_wait_alu 0xfffe
	s_add_nc_u64 s[4:5], s[0:1], s[4:5]
	global_store_b32 v7, v5, s[4:5]
.LBB143_49:
	s_wait_alu 0xfffe
	s_or_b32 exec_lo, exec_lo, s2
	ds_bpermute_b32 v0, v0, v6
	s_wait_dscnt 0x0
	v_add_f32_e32 v0, v6, v0
	ds_bpermute_b32 v1, v1, v0
	s_wait_dscnt 0x0
	v_add_f32_e32 v0, v0, v1
	;; [unrolled: 3-line block ×4, first 2 shown]
	ds_bpermute_b32 v1, v4, v0
	s_and_b32 exec_lo, exec_lo, vcc_lo
	s_cbranch_execz .LBB143_51
; %bb.50:
	s_mul_i32 s2, s6, 7
	s_mov_b32 s3, 0
	s_wait_dscnt 0x0
	v_dual_add_f32 v0, v0, v1 :: v_dual_mov_b32 v1, 0
	s_wait_alu 0xfffe
	s_lshl_b64 s[2:3], s[2:3], 2
	s_wait_alu 0xfffe
	s_add_nc_u64 s[0:1], s[0:1], s[2:3]
	global_store_b32 v1, v0, s[0:1]
.LBB143_51:
	s_endpgm
	.section	.rodata,"a",@progbits
	.p2align	6, 0x0
	.amdhsa_kernel _ZL13mul_mat_vec_qIL9ggml_type13ELi8ELb0ELb0EEvPKvS2_PKi31ggml_cuda_mm_fusion_args_devicePfj15HIP_vector_typeIjLj3EEjjjS8_jjjS8_jjjj
		.amdhsa_group_segment_fixed_size 0
		.amdhsa_private_segment_fixed_size 0
		.amdhsa_kernarg_size 144
		.amdhsa_user_sgpr_count 2
		.amdhsa_user_sgpr_dispatch_ptr 0
		.amdhsa_user_sgpr_queue_ptr 0
		.amdhsa_user_sgpr_kernarg_segment_ptr 1
		.amdhsa_user_sgpr_dispatch_id 0
		.amdhsa_user_sgpr_private_segment_size 0
		.amdhsa_wavefront_size32 1
		.amdhsa_uses_dynamic_stack 0
		.amdhsa_enable_private_segment 0
		.amdhsa_system_sgpr_workgroup_id_x 1
		.amdhsa_system_sgpr_workgroup_id_y 1
		.amdhsa_system_sgpr_workgroup_id_z 1
		.amdhsa_system_sgpr_workgroup_info 0
		.amdhsa_system_vgpr_workitem_id 1
		.amdhsa_next_free_vgpr 95
		.amdhsa_next_free_sgpr 28
		.amdhsa_reserve_vcc 1
		.amdhsa_float_round_mode_32 0
		.amdhsa_float_round_mode_16_64 0
		.amdhsa_float_denorm_mode_32 3
		.amdhsa_float_denorm_mode_16_64 3
		.amdhsa_fp16_overflow 0
		.amdhsa_workgroup_processor_mode 1
		.amdhsa_memory_ordered 1
		.amdhsa_forward_progress 1
		.amdhsa_inst_pref_size 46
		.amdhsa_round_robin_scheduling 0
		.amdhsa_exception_fp_ieee_invalid_op 0
		.amdhsa_exception_fp_denorm_src 0
		.amdhsa_exception_fp_ieee_div_zero 0
		.amdhsa_exception_fp_ieee_overflow 0
		.amdhsa_exception_fp_ieee_underflow 0
		.amdhsa_exception_fp_ieee_inexact 0
		.amdhsa_exception_int_div_zero 0
	.end_amdhsa_kernel
	.section	.text._ZL13mul_mat_vec_qIL9ggml_type13ELi8ELb0ELb0EEvPKvS2_PKi31ggml_cuda_mm_fusion_args_devicePfj15HIP_vector_typeIjLj3EEjjjS8_jjjS8_jjjj,"axG",@progbits,_ZL13mul_mat_vec_qIL9ggml_type13ELi8ELb0ELb0EEvPKvS2_PKi31ggml_cuda_mm_fusion_args_devicePfj15HIP_vector_typeIjLj3EEjjjS8_jjjS8_jjjj,comdat
.Lfunc_end143:
	.size	_ZL13mul_mat_vec_qIL9ggml_type13ELi8ELb0ELb0EEvPKvS2_PKi31ggml_cuda_mm_fusion_args_devicePfj15HIP_vector_typeIjLj3EEjjjS8_jjjS8_jjjj, .Lfunc_end143-_ZL13mul_mat_vec_qIL9ggml_type13ELi8ELb0ELb0EEvPKvS2_PKi31ggml_cuda_mm_fusion_args_devicePfj15HIP_vector_typeIjLj3EEjjjS8_jjjS8_jjjj
                                        ; -- End function
	.set _ZL13mul_mat_vec_qIL9ggml_type13ELi8ELb0ELb0EEvPKvS2_PKi31ggml_cuda_mm_fusion_args_devicePfj15HIP_vector_typeIjLj3EEjjjS8_jjjS8_jjjj.num_vgpr, 95
	.set _ZL13mul_mat_vec_qIL9ggml_type13ELi8ELb0ELb0EEvPKvS2_PKi31ggml_cuda_mm_fusion_args_devicePfj15HIP_vector_typeIjLj3EEjjjS8_jjjS8_jjjj.num_agpr, 0
	.set _ZL13mul_mat_vec_qIL9ggml_type13ELi8ELb0ELb0EEvPKvS2_PKi31ggml_cuda_mm_fusion_args_devicePfj15HIP_vector_typeIjLj3EEjjjS8_jjjS8_jjjj.numbered_sgpr, 28
	.set _ZL13mul_mat_vec_qIL9ggml_type13ELi8ELb0ELb0EEvPKvS2_PKi31ggml_cuda_mm_fusion_args_devicePfj15HIP_vector_typeIjLj3EEjjjS8_jjjS8_jjjj.num_named_barrier, 0
	.set _ZL13mul_mat_vec_qIL9ggml_type13ELi8ELb0ELb0EEvPKvS2_PKi31ggml_cuda_mm_fusion_args_devicePfj15HIP_vector_typeIjLj3EEjjjS8_jjjS8_jjjj.private_seg_size, 0
	.set _ZL13mul_mat_vec_qIL9ggml_type13ELi8ELb0ELb0EEvPKvS2_PKi31ggml_cuda_mm_fusion_args_devicePfj15HIP_vector_typeIjLj3EEjjjS8_jjjS8_jjjj.uses_vcc, 1
	.set _ZL13mul_mat_vec_qIL9ggml_type13ELi8ELb0ELb0EEvPKvS2_PKi31ggml_cuda_mm_fusion_args_devicePfj15HIP_vector_typeIjLj3EEjjjS8_jjjS8_jjjj.uses_flat_scratch, 0
	.set _ZL13mul_mat_vec_qIL9ggml_type13ELi8ELb0ELb0EEvPKvS2_PKi31ggml_cuda_mm_fusion_args_devicePfj15HIP_vector_typeIjLj3EEjjjS8_jjjS8_jjjj.has_dyn_sized_stack, 0
	.set _ZL13mul_mat_vec_qIL9ggml_type13ELi8ELb0ELb0EEvPKvS2_PKi31ggml_cuda_mm_fusion_args_devicePfj15HIP_vector_typeIjLj3EEjjjS8_jjjS8_jjjj.has_recursion, 0
	.set _ZL13mul_mat_vec_qIL9ggml_type13ELi8ELb0ELb0EEvPKvS2_PKi31ggml_cuda_mm_fusion_args_devicePfj15HIP_vector_typeIjLj3EEjjjS8_jjjS8_jjjj.has_indirect_call, 0
	.section	.AMDGPU.csdata,"",@progbits
; Kernel info:
; codeLenInByte = 5864
; TotalNumSgprs: 30
; NumVgprs: 95
; ScratchSize: 0
; MemoryBound: 0
; FloatMode: 240
; IeeeMode: 1
; LDSByteSize: 0 bytes/workgroup (compile time only)
; SGPRBlocks: 0
; VGPRBlocks: 11
; NumSGPRsForWavesPerEU: 30
; NumVGPRsForWavesPerEU: 95
; Occupancy: 16
; WaveLimiterHint : 0
; COMPUTE_PGM_RSRC2:SCRATCH_EN: 0
; COMPUTE_PGM_RSRC2:USER_SGPR: 2
; COMPUTE_PGM_RSRC2:TRAP_HANDLER: 0
; COMPUTE_PGM_RSRC2:TGID_X_EN: 1
; COMPUTE_PGM_RSRC2:TGID_Y_EN: 1
; COMPUTE_PGM_RSRC2:TGID_Z_EN: 1
; COMPUTE_PGM_RSRC2:TIDIG_COMP_CNT: 1
	.section	.text._ZL17mul_mat_vec_q_moeIL9ggml_type14ELi2EEvPKvS2_PKiPfj15HIP_vector_typeIjLj3EEjjjjjjjjj,"axG",@progbits,_ZL17mul_mat_vec_q_moeIL9ggml_type14ELi2EEvPKvS2_PKiPfj15HIP_vector_typeIjLj3EEjjjjjjjjj,comdat
	.globl	_ZL17mul_mat_vec_q_moeIL9ggml_type14ELi2EEvPKvS2_PKiPfj15HIP_vector_typeIjLj3EEjjjjjjjjj ; -- Begin function _ZL17mul_mat_vec_q_moeIL9ggml_type14ELi2EEvPKvS2_PKiPfj15HIP_vector_typeIjLj3EEjjjjjjjjj
	.p2align	8
	.type	_ZL17mul_mat_vec_q_moeIL9ggml_type14ELi2EEvPKvS2_PKiPfj15HIP_vector_typeIjLj3EEjjjjjjjjj,@function
_ZL17mul_mat_vec_q_moeIL9ggml_type14ELi2EEvPKvS2_PKiPfj15HIP_vector_typeIjLj3EEjjjjjjjjj: ; @_ZL17mul_mat_vec_q_moeIL9ggml_type14ELi2EEvPKvS2_PKiPfj15HIP_vector_typeIjLj3EEjjjjjjjjj
; %bb.0:
	s_load_b256 s[4:11], s[0:1], 0x30
	v_bfe_u32 v6, v0, 10, 10
	s_mov_b32 s2, exec_lo
	s_wait_kmcnt 0x0
	s_delay_alu instid0(VALU_DEP_1)
	v_cmpx_gt_u32_e64 s11, v6
	s_cbranch_execz .LBB144_7
; %bb.1:
	s_clause 0x2
	s_load_b32 s2, s[0:1], 0x20
	s_load_b32 s20, s[0:1], 0x50
	s_load_b256 s[12:19], s[0:1], 0x0
	v_bfe_u32 v8, v0, 5, 5
	v_dual_mov_b32 v0, 0 :: v_dual_and_b32 v7, 0x3ff, v0
	v_mov_b32_e32 v1, 0
	s_mov_b32 s11, exec_lo
	s_wait_kmcnt 0x0
	s_lshr_b32 s3, s2, 8
	s_lshl_b32 s2, ttmp9, 1
	v_cmpx_gt_u32_e64 s3, v8
	s_cbranch_execz .LBB144_5
; %bb.2:
	s_mov_b32 s22, ttmp7
	v_lshrrev_b32_e32 v11, 5, v7
	v_mad_co_u64_u32 v[0:1], null, s20, v6, s[22:23]
	v_dual_mov_b32 v1, 0 :: v_dual_and_b32 v4, 31, v7
	s_load_b96 s[20:22], s[0:1], 0x24
	v_and_b32_e32 v9, 15, v7
	v_bfe_u32 v5, v7, 4, 1
	v_and_b32_e32 v10, 7, v7
	v_lshlrev_b64_e32 v[2:3], 2, v[0:1]
	v_lshlrev_b32_e32 v14, 1, v4
	v_lshrrev_b16 v12, 3, v9
	v_lshlrev_b32_e32 v4, 3, v5
	s_add_co_i32 s0, s2, 1
	s_delay_alu instid0(VALU_DEP_4) | instskip(NEXT) | instid1(VALU_DEP_1)
	v_add_co_u32 v2, vcc_lo, s16, v2
	v_add_co_ci_u32_e64 v3, null, s17, v3, vcc_lo
	v_and_b32_e32 v15, 0xffff, v12
	v_or_b32_e32 v12, v4, v10
	global_load_b32 v0, v[2:3], off
	v_mul_lo_u32 v2, s6, v6
	v_lshl_or_b32 v5, v5, 2, v15
	s_wait_kmcnt 0x0
	s_mul_hi_u32 s1, s20, ttmp7
	v_lshlrev_b32_e32 v16, 1, v12
	s_add_co_i32 s1, ttmp7, s1
	s_delay_alu instid0(SALU_CYCLE_1) | instskip(NEXT) | instid1(VALU_DEP_3)
	s_lshr_b32 s1, s1, s21
	v_mad_co_u64_u32 v[2:3], null, v2, 36, 0
	s_mul_i32 s1, s1, s22
	s_delay_alu instid0(SALU_CYCLE_1) | instskip(NEXT) | instid1(SALU_CYCLE_1)
	s_sub_co_i32 s1, ttmp7, s1
	s_mul_i32 s1, s1, s9
	v_mad_co_u64_u32 v[2:3], null, 0x120, v11, v[2:3]
	v_lshrrev_b16 v11, 2, v9
	v_lshlrev_b32_e32 v9, 2, v10
	v_lshlrev_b32_e32 v10, 1, v15
	s_delay_alu instid0(VALU_DEP_3)
	v_and_b32_e32 v11, 0xffff, v11
	v_mad_co_u64_u32 v[2:3], null, s1, 36, v[2:3]
	s_mov_b32 s1, 0
	v_or_b32_e32 v11, v4, v11
	v_mad_co_u64_u32 v[12:13], null, v5, 36, v[2:3]
	s_wait_loadcnt 0x0
	v_mul_lo_u32 v0, v0, s8
	s_delay_alu instid0(VALU_DEP_1) | instskip(SKIP_1) | instid1(VALU_DEP_4)
	v_mad_co_u64_u32 v[2:3], null, s2, s5, v[0:1]
	v_mad_co_u64_u32 v[3:4], null, s5, s0, v[0:1]
	v_add_co_u32 v4, vcc_lo, s14, v12
	s_wait_alu 0xfffd
	v_add_co_ci_u32_e64 v5, null, s15, v13, vcc_lo
	v_lshlrev_b32_e32 v12, 1, v14
	v_dual_mov_b32 v0, v1 :: v_dual_lshlrev_b32 v13, 1, v16
.LBB144_3:                              ; =>This Inner Loop Header: Depth=1
	v_add_nc_u32_e32 v14, v2, v8
	v_add_nc_u32_e32 v16, v3, v8
	;; [unrolled: 1-line block ×3, first 2 shown]
	s_delay_alu instid0(VALU_DEP_3) | instskip(NEXT) | instid1(VALU_DEP_3)
	v_mad_co_i64_i32 v[14:15], null, 0xd2, v14, s[12:13]
	v_mad_co_i64_i32 v[16:17], null, 0xd2, v16, s[12:13]
	s_delay_alu instid0(VALU_DEP_3) | instskip(NEXT) | instid1(VALU_DEP_3)
	v_cmp_le_u32_e64 s0, s3, v8
	v_add_co_u32 v18, vcc_lo, v14, v12
	s_wait_alu 0xfffd
	s_delay_alu instid0(VALU_DEP_4)
	v_add_co_ci_u32_e64 v19, null, 0, v15, vcc_lo
	v_add_co_u32 v20, vcc_lo, v14, v13
	s_wait_alu 0xfffd
	v_add_co_ci_u32_e64 v21, null, 0, v15, vcc_lo
	v_add_co_u32 v22, vcc_lo, v16, v13
	s_wait_alu 0xfffd
	;; [unrolled: 3-line block ×3, first 2 shown]
	v_add_co_ci_u32_e64 v25, null, 0, v17, vcc_lo
	s_clause 0x3
	global_load_b32 v26, v[20:21], off offset:128
	global_load_b32 v27, v[18:19], off
	global_load_b32 v28, v[22:23], off offset:128
	global_load_b32 v24, v[24:25], off
	v_add_co_u32 v18, vcc_lo, v4, v9
	s_wait_alu 0xfffd
	v_add_co_ci_u32_e64 v19, null, 0, v5, vcc_lo
	v_add_co_u32 v20, vcc_lo, v14, v11
	s_wait_alu 0xfffd
	v_add_co_ci_u32_e64 v21, null, 0, v15, vcc_lo
	global_load_b32 v25, v[18:19], off offset:4
	v_add_co_u32 v22, vcc_lo, v16, v11
	s_wait_alu 0xfffd
	v_add_co_ci_u32_e64 v23, null, 0, v17, vcc_lo
	global_load_b32 v18, v[18:19], off offset:76
	s_clause 0x3
	global_load_i8 v19, v[20:21], off offset:192
	global_load_i8 v29, v[22:23], off offset:192
	;; [unrolled: 1-line block ×4, first 2 shown]
	s_clause 0x1
	global_load_b32 v22, v[4:5], off
	global_load_b32 v23, v[4:5], off offset:72
	s_clause 0x1
	global_load_u16 v16, v[16:17], off offset:208
	global_load_u16 v14, v[14:15], off offset:208
	v_add_co_u32 v4, vcc_lo, 0x120, v4
	s_wait_alu 0xfffd
	v_add_co_ci_u32_e64 v5, null, 0, v5, vcc_lo
	s_wait_alu 0xfffe
	s_or_b32 s1, s0, s1
	s_wait_loadcnt 0xd
	v_ashrrev_i32_e32 v15, v10, v26
	s_wait_loadcnt 0xc
	v_and_b32_e32 v17, 0xf0f0f0f, v27
	v_lshrrev_b32_e32 v26, 4, v27
	s_wait_loadcnt 0xb
	v_ashrrev_i32_e32 v27, v10, v28
	s_wait_loadcnt 0xa
	v_and_b32_e32 v28, 0xf0f0f0f, v24
	v_lshrrev_b32_e32 v24, 4, v24
	v_lshlrev_b32_e32 v30, 4, v15
	v_and_b32_e32 v26, 0xf0f0f0f, v26
	v_lshlrev_b32_e32 v31, 4, v27
	s_delay_alu instid0(VALU_DEP_4) | instskip(NEXT) | instid1(VALU_DEP_4)
	v_and_b32_e32 v24, 0xf0f0f0f, v24
	v_and_or_b32 v17, 0x30303030, v30, v17
	s_delay_alu instid0(VALU_DEP_4) | instskip(NEXT) | instid1(VALU_DEP_4)
	v_and_or_b32 v15, 0x30303030, v15, v26
	v_and_or_b32 v26, 0x30303030, v31, v28
	s_delay_alu instid0(VALU_DEP_4) | instskip(NEXT) | instid1(VALU_DEP_4)
	v_and_or_b32 v24, 0x30303030, v27, v24
	v_lshrrev_b32_e32 v27, 16, v17
	v_and_b32_e32 v28, 0x3f00, v17
	v_lshlrev_b16 v17, 8, v17
	v_lshrrev_b32_e32 v30, 16, v15
	v_lshrrev_b32_e32 v32, 16, v26
	v_and_b32_e32 v31, 0x3f00, v15
	v_lshlrev_b16 v15, 8, v15
	v_and_b32_e32 v33, 0x3f00, v26
	v_lshlrev_b16 v26, 8, v26
	v_lshrrev_b32_e32 v34, 16, v24
	v_add_nc_u16 v17, 0xe000, v17
	v_and_b32_e32 v36, 0x3f00, v27
	v_lshlrev_b16 v27, 8, v27
	v_and_b32_e32 v37, 0x3f00, v30
	v_lshlrev_b16 v30, 8, v30
	v_and_b32_e32 v38, 0x3f00, v32
	v_lshlrev_b16 v32, 8, v32
	v_and_b32_e32 v35, 0x3f00, v24
	v_lshlrev_b16 v24, 8, v24
	v_add_nc_u16 v15, 0xe000, v15
	v_add_nc_u16 v26, 0xe000, v26
	v_and_b32_e32 v39, 0x3f00, v34
	v_lshlrev_b16 v34, 8, v34
	v_lshrrev_b16 v17, 8, v17
	v_add_nc_u16 v27, 0xe000, v27
	v_add_nc_u16 v30, 0xe000, v30
	;; [unrolled: 1-line block ×4, first 2 shown]
	v_lshrrev_b16 v15, 8, v15
	v_lshrrev_b16 v26, 8, v26
	v_add_nc_u16 v34, 0xe000, v34
	v_or_b32_e32 v17, v28, v17
	v_lshrrev_b16 v27, 8, v27
	v_lshrrev_b16 v28, 8, v30
	;; [unrolled: 1-line block ×4, first 2 shown]
	v_or_b32_e32 v15, v31, v15
	v_or_b32_e32 v26, v33, v26
	v_lshrrev_b16 v31, 8, v34
	v_or_b32_e32 v27, v36, v27
	v_or_b32_e32 v30, v38, v30
	;; [unrolled: 1-line block ×3, first 2 shown]
	v_add_nc_u16 v17, 0xe000, v17
	v_or_b32_e32 v28, v37, v28
	v_add_nc_u16 v26, 0xe000, v26
	v_or_b32_e32 v31, v39, v31
	v_add_nc_u16 v27, 0xe000, v27
	v_add_nc_u16 v30, 0xe000, v30
	;; [unrolled: 1-line block ×4, first 2 shown]
	v_and_b32_e32 v17, 0xffff, v17
	v_add_nc_u16 v28, 0xe000, v28
	v_and_b32_e32 v26, 0xffff, v26
	v_add_nc_u16 v31, 0xe000, v31
	v_lshlrev_b32_e32 v27, 16, v27
	v_lshlrev_b32_e32 v30, 16, v30
	v_and_b32_e32 v15, 0xffff, v15
	v_and_b32_e32 v24, 0xffff, v24
	v_lshlrev_b32_e32 v28, 16, v28
	v_lshlrev_b32_e32 v31, 16, v31
	v_or_b32_e32 v17, v17, v27
	v_or_b32_e32 v26, v26, v30
	s_delay_alu instid0(VALU_DEP_4) | instskip(NEXT) | instid1(VALU_DEP_4)
	v_or_b32_e32 v15, v15, v28
	v_or_b32_e32 v24, v24, v31
	s_wait_loadcnt 0x9
	v_dot4_i32_iu8 v17, v17, v25, 0 neg_lo:[1,1,0]
	v_dot4_i32_iu8 v25, v26, v25, 0 neg_lo:[1,1,0]
	s_wait_loadcnt 0x8
	v_dot4_i32_iu8 v15, v15, v18, 0 neg_lo:[1,1,0]
	v_dot4_i32_iu8 v18, v24, v18, 0 neg_lo:[1,1,0]
	s_wait_loadcnt 0x7
	v_mul_lo_u32 v17, v17, v19
	s_wait_loadcnt 0x6
	v_mul_lo_u32 v19, v25, v29
	;; [unrolled: 2-line block ×4, first 2 shown]
	s_delay_alu instid0(VALU_DEP_4) | instskip(NEXT) | instid1(VALU_DEP_4)
	v_cvt_f32_i32_e32 v17, v17
	v_cvt_f32_i32_e32 v19, v19
	s_delay_alu instid0(VALU_DEP_4) | instskip(NEXT) | instid1(VALU_DEP_4)
	v_cvt_f32_i32_e32 v15, v15
	v_cvt_f32_i32_e32 v18, v18
	s_wait_loadcnt 0x3
	v_fma_mix_f32 v17, v22, v17, 0 op_sel_hi:[1,0,0]
	v_fma_mix_f32 v19, v22, v19, 0 op_sel_hi:[1,0,0]
	s_wait_loadcnt 0x2
	s_delay_alu instid0(VALU_DEP_2) | instskip(NEXT) | instid1(VALU_DEP_2)
	v_fma_mix_f32 v15, v23, v15, v17 op_sel_hi:[1,0,0]
	v_fma_mix_f32 v17, v23, v18, v19 op_sel_hi:[1,0,0]
	s_wait_loadcnt 0x0
	s_delay_alu instid0(VALU_DEP_2) | instskip(NEXT) | instid1(VALU_DEP_2)
	v_fma_mix_f32 v1, v15, v14, v1 op_sel_hi:[0,1,0]
	v_fma_mix_f32 v0, v17, v16, v0 op_sel_hi:[0,1,0]
	s_wait_alu 0xfffe
	s_and_not1_b32 exec_lo, exec_lo, s1
	s_cbranch_execnz .LBB144_3
; %bb.4:
	s_or_b32 exec_lo, exec_lo, s1
.LBB144_5:
	s_wait_alu 0xfffe
	s_or_b32 exec_lo, exec_lo, s11
	v_mbcnt_lo_u32_b32 v2, -1, 0
	s_delay_alu instid0(VALU_DEP_1) | instskip(SKIP_1) | instid1(VALU_DEP_2)
	v_xor_b32_e32 v3, 16, v2
	v_xor_b32_e32 v5, 8, v2
	v_cmp_gt_i32_e32 vcc_lo, 32, v3
	s_wait_alu 0xfffd
	v_cndmask_b32_e32 v3, v2, v3, vcc_lo
	s_delay_alu instid0(VALU_DEP_3) | instskip(NEXT) | instid1(VALU_DEP_2)
	v_cmp_gt_i32_e32 vcc_lo, 32, v5
	v_lshlrev_b32_e32 v3, 2, v3
	ds_bpermute_b32 v4, v3, v1
	ds_bpermute_b32 v3, v3, v0
	s_wait_alu 0xfffd
	v_cndmask_b32_e32 v5, v2, v5, vcc_lo
	s_wait_dscnt 0x0
	v_dual_add_f32 v1, v1, v4 :: v_dual_add_f32 v0, v0, v3
	s_delay_alu instid0(VALU_DEP_2) | instskip(SKIP_3) | instid1(VALU_DEP_1)
	v_lshlrev_b32_e32 v5, 2, v5
	ds_bpermute_b32 v3, v5, v1
	ds_bpermute_b32 v4, v5, v0
	v_xor_b32_e32 v5, 4, v2
	v_cmp_gt_i32_e32 vcc_lo, 32, v5
	s_wait_alu 0xfffd
	v_cndmask_b32_e32 v5, v2, v5, vcc_lo
	s_delay_alu instid0(VALU_DEP_1)
	v_lshlrev_b32_e32 v5, 2, v5
	s_wait_dscnt 0x0
	v_dual_add_f32 v1, v1, v3 :: v_dual_add_f32 v0, v0, v4
	ds_bpermute_b32 v3, v5, v1
	ds_bpermute_b32 v4, v5, v0
	v_xor_b32_e32 v5, 2, v2
	s_delay_alu instid0(VALU_DEP_1) | instskip(SKIP_2) | instid1(VALU_DEP_1)
	v_cmp_gt_i32_e32 vcc_lo, 32, v5
	s_wait_alu 0xfffd
	v_cndmask_b32_e32 v5, v2, v5, vcc_lo
	v_lshlrev_b32_e32 v5, 2, v5
	s_wait_dscnt 0x1
	v_add_f32_e32 v1, v1, v3
	s_wait_dscnt 0x0
	v_add_f32_e32 v3, v0, v4
	ds_bpermute_b32 v0, v5, v1
	ds_bpermute_b32 v4, v5, v3
	v_xor_b32_e32 v5, 1, v2
	s_delay_alu instid0(VALU_DEP_1) | instskip(SKIP_4) | instid1(VALU_DEP_2)
	v_cmp_gt_i32_e32 vcc_lo, 32, v5
	s_wait_alu 0xfffd
	v_cndmask_b32_e32 v2, v2, v5, vcc_lo
	v_cmp_gt_u32_e32 vcc_lo, 2, v7
	s_wait_dscnt 0x1
	v_dual_add_f32 v0, v1, v0 :: v_dual_lshlrev_b32 v5, 2, v2
	s_wait_dscnt 0x0
	v_dual_add_f32 v1, v3, v4 :: v_dual_add_nc_u32 v4, s2, v7
	ds_bpermute_b32 v2, v5, v0
	ds_bpermute_b32 v3, v5, v1
	v_cmp_gt_u32_e64 s0, s4, v4
	s_and_b32 s0, vcc_lo, s0
	s_wait_alu 0xfffe
	s_and_b32 exec_lo, exec_lo, s0
	s_cbranch_execz .LBB144_7
; %bb.6:
	v_mul_lo_u32 v4, s7, v6
	v_or_b32_e32 v6, s2, v7
	s_mul_i32 s0, s10, ttmp7
	s_wait_dscnt 0x1
	v_dual_mov_b32 v5, 0 :: v_dual_add_f32 v2, v0, v2
	s_wait_dscnt 0x0
	v_add_f32_e32 v3, v1, v3
	v_cmp_eq_u32_e32 vcc_lo, 1, v7
	s_wait_alu 0xfffe
	v_add3_u32 v4, v6, v4, s0
	s_wait_alu 0xfffd
	v_cndmask_b32_e32 v2, v2, v3, vcc_lo
	s_delay_alu instid0(VALU_DEP_2) | instskip(NEXT) | instid1(VALU_DEP_1)
	v_lshlrev_b64_e32 v[0:1], 2, v[4:5]
	v_add_co_u32 v0, vcc_lo, s18, v0
	s_wait_alu 0xfffd
	s_delay_alu instid0(VALU_DEP_2)
	v_add_co_ci_u32_e64 v1, null, s19, v1, vcc_lo
	global_store_b32 v[0:1], v2, off
.LBB144_7:
	s_endpgm
	.section	.rodata,"a",@progbits
	.p2align	6, 0x0
	.amdhsa_kernel _ZL17mul_mat_vec_q_moeIL9ggml_type14ELi2EEvPKvS2_PKiPfj15HIP_vector_typeIjLj3EEjjjjjjjjj
		.amdhsa_group_segment_fixed_size 0
		.amdhsa_private_segment_fixed_size 0
		.amdhsa_kernarg_size 84
		.amdhsa_user_sgpr_count 2
		.amdhsa_user_sgpr_dispatch_ptr 0
		.amdhsa_user_sgpr_queue_ptr 0
		.amdhsa_user_sgpr_kernarg_segment_ptr 1
		.amdhsa_user_sgpr_dispatch_id 0
		.amdhsa_user_sgpr_private_segment_size 0
		.amdhsa_wavefront_size32 1
		.amdhsa_uses_dynamic_stack 0
		.amdhsa_enable_private_segment 0
		.amdhsa_system_sgpr_workgroup_id_x 1
		.amdhsa_system_sgpr_workgroup_id_y 1
		.amdhsa_system_sgpr_workgroup_id_z 0
		.amdhsa_system_sgpr_workgroup_info 0
		.amdhsa_system_vgpr_workitem_id 1
		.amdhsa_next_free_vgpr 40
		.amdhsa_next_free_sgpr 24
		.amdhsa_reserve_vcc 1
		.amdhsa_float_round_mode_32 0
		.amdhsa_float_round_mode_16_64 0
		.amdhsa_float_denorm_mode_32 3
		.amdhsa_float_denorm_mode_16_64 3
		.amdhsa_fp16_overflow 0
		.amdhsa_workgroup_processor_mode 1
		.amdhsa_memory_ordered 1
		.amdhsa_forward_progress 1
		.amdhsa_inst_pref_size 17
		.amdhsa_round_robin_scheduling 0
		.amdhsa_exception_fp_ieee_invalid_op 0
		.amdhsa_exception_fp_denorm_src 0
		.amdhsa_exception_fp_ieee_div_zero 0
		.amdhsa_exception_fp_ieee_overflow 0
		.amdhsa_exception_fp_ieee_underflow 0
		.amdhsa_exception_fp_ieee_inexact 0
		.amdhsa_exception_int_div_zero 0
	.end_amdhsa_kernel
	.section	.text._ZL17mul_mat_vec_q_moeIL9ggml_type14ELi2EEvPKvS2_PKiPfj15HIP_vector_typeIjLj3EEjjjjjjjjj,"axG",@progbits,_ZL17mul_mat_vec_q_moeIL9ggml_type14ELi2EEvPKvS2_PKiPfj15HIP_vector_typeIjLj3EEjjjjjjjjj,comdat
.Lfunc_end144:
	.size	_ZL17mul_mat_vec_q_moeIL9ggml_type14ELi2EEvPKvS2_PKiPfj15HIP_vector_typeIjLj3EEjjjjjjjjj, .Lfunc_end144-_ZL17mul_mat_vec_q_moeIL9ggml_type14ELi2EEvPKvS2_PKiPfj15HIP_vector_typeIjLj3EEjjjjjjjjj
                                        ; -- End function
	.set _ZL17mul_mat_vec_q_moeIL9ggml_type14ELi2EEvPKvS2_PKiPfj15HIP_vector_typeIjLj3EEjjjjjjjjj.num_vgpr, 40
	.set _ZL17mul_mat_vec_q_moeIL9ggml_type14ELi2EEvPKvS2_PKiPfj15HIP_vector_typeIjLj3EEjjjjjjjjj.num_agpr, 0
	.set _ZL17mul_mat_vec_q_moeIL9ggml_type14ELi2EEvPKvS2_PKiPfj15HIP_vector_typeIjLj3EEjjjjjjjjj.numbered_sgpr, 24
	.set _ZL17mul_mat_vec_q_moeIL9ggml_type14ELi2EEvPKvS2_PKiPfj15HIP_vector_typeIjLj3EEjjjjjjjjj.num_named_barrier, 0
	.set _ZL17mul_mat_vec_q_moeIL9ggml_type14ELi2EEvPKvS2_PKiPfj15HIP_vector_typeIjLj3EEjjjjjjjjj.private_seg_size, 0
	.set _ZL17mul_mat_vec_q_moeIL9ggml_type14ELi2EEvPKvS2_PKiPfj15HIP_vector_typeIjLj3EEjjjjjjjjj.uses_vcc, 1
	.set _ZL17mul_mat_vec_q_moeIL9ggml_type14ELi2EEvPKvS2_PKiPfj15HIP_vector_typeIjLj3EEjjjjjjjjj.uses_flat_scratch, 0
	.set _ZL17mul_mat_vec_q_moeIL9ggml_type14ELi2EEvPKvS2_PKiPfj15HIP_vector_typeIjLj3EEjjjjjjjjj.has_dyn_sized_stack, 0
	.set _ZL17mul_mat_vec_q_moeIL9ggml_type14ELi2EEvPKvS2_PKiPfj15HIP_vector_typeIjLj3EEjjjjjjjjj.has_recursion, 0
	.set _ZL17mul_mat_vec_q_moeIL9ggml_type14ELi2EEvPKvS2_PKiPfj15HIP_vector_typeIjLj3EEjjjjjjjjj.has_indirect_call, 0
	.section	.AMDGPU.csdata,"",@progbits
; Kernel info:
; codeLenInByte = 2084
; TotalNumSgprs: 26
; NumVgprs: 40
; ScratchSize: 0
; MemoryBound: 0
; FloatMode: 240
; IeeeMode: 1
; LDSByteSize: 0 bytes/workgroup (compile time only)
; SGPRBlocks: 0
; VGPRBlocks: 4
; NumSGPRsForWavesPerEU: 26
; NumVGPRsForWavesPerEU: 40
; Occupancy: 16
; WaveLimiterHint : 1
; COMPUTE_PGM_RSRC2:SCRATCH_EN: 0
; COMPUTE_PGM_RSRC2:USER_SGPR: 2
; COMPUTE_PGM_RSRC2:TRAP_HANDLER: 0
; COMPUTE_PGM_RSRC2:TGID_X_EN: 1
; COMPUTE_PGM_RSRC2:TGID_Y_EN: 1
; COMPUTE_PGM_RSRC2:TGID_Z_EN: 0
; COMPUTE_PGM_RSRC2:TIDIG_COMP_CNT: 1
	.section	.text._ZL13mul_mat_vec_qIL9ggml_type14ELi1ELb1ELb1EEvPKvS2_PKi31ggml_cuda_mm_fusion_args_devicePfj15HIP_vector_typeIjLj3EEjjjS8_jjjS8_jjjj,"axG",@progbits,_ZL13mul_mat_vec_qIL9ggml_type14ELi1ELb1ELb1EEvPKvS2_PKi31ggml_cuda_mm_fusion_args_devicePfj15HIP_vector_typeIjLj3EEjjjS8_jjjS8_jjjj,comdat
	.globl	_ZL13mul_mat_vec_qIL9ggml_type14ELi1ELb1ELb1EEvPKvS2_PKi31ggml_cuda_mm_fusion_args_devicePfj15HIP_vector_typeIjLj3EEjjjS8_jjjS8_jjjj ; -- Begin function _ZL13mul_mat_vec_qIL9ggml_type14ELi1ELb1ELb1EEvPKvS2_PKi31ggml_cuda_mm_fusion_args_devicePfj15HIP_vector_typeIjLj3EEjjjS8_jjjS8_jjjj
	.p2align	8
	.type	_ZL13mul_mat_vec_qIL9ggml_type14ELi1ELb1ELb1EEvPKvS2_PKi31ggml_cuda_mm_fusion_args_devicePfj15HIP_vector_typeIjLj3EEjjjS8_jjjS8_jjjj,@function
_ZL13mul_mat_vec_qIL9ggml_type14ELi1ELb1ELb1EEvPKvS2_PKi31ggml_cuda_mm_fusion_args_devicePfj15HIP_vector_typeIjLj3EEjjjS8_jjjS8_jjjj: ; @_ZL13mul_mat_vec_qIL9ggml_type14ELi1ELb1ELb1EEvPKvS2_PKi31ggml_cuda_mm_fusion_args_devicePfj15HIP_vector_typeIjLj3EEjjjS8_jjjS8_jjjj
; %bb.0:
	s_clause 0x3
	s_load_b256 s[8:15], s[0:1], 0x0
	s_load_b128 s[16:19], s[0:1], 0x20
	s_load_b128 s[20:23], s[0:1], 0x40
	;; [unrolled: 1-line block ×3, first 2 shown]
	s_and_b32 s27, ttmp7, 0xffff
	s_wait_kmcnt 0x0
	s_cmp_lg_u64 s[12:13], 0
	s_cselect_b32 s2, -1, 0
	s_cmp_eq_u64 s[12:13], 0
	s_cbranch_scc1 .LBB145_42
; %bb.1:
	s_lshl_b32 s3, s27, 2
	s_load_b32 s28, s[12:13], s3 offset:0x0
	s_clause 0x1
	s_load_b32 s29, s[0:1], 0x50
	s_load_b32 s30, s[0:1], 0x78
	s_cbranch_execnz .LBB145_3
.LBB145_2:
	s_load_b64 s[12:13], s[0:1], 0x5c
	s_wait_kmcnt 0x0
	s_mul_hi_u32 s3, s12, s27
	s_delay_alu instid0(SALU_CYCLE_1) | instskip(NEXT) | instid1(SALU_CYCLE_1)
	s_add_co_i32 s3, s27, s3
	s_lshr_b32 s28, s3, s13
.LBB145_3:
	s_and_not1_b32 vcc_lo, exec_lo, s2
	s_mov_b32 s3, s27
	s_mov_b32 s31, s27
	s_cbranch_vccnz .LBB145_5
; %bb.4:
	s_mul_hi_u32 s2, s21, s27
	s_wait_kmcnt 0x0
	s_mov_b32 s3, s28
	s_add_co_i32 s2, s27, s2
	s_delay_alu instid0(SALU_CYCLE_1) | instskip(NEXT) | instid1(SALU_CYCLE_1)
	s_lshr_b32 s2, s2, s22
	s_mul_i32 s2, s2, s23
	s_delay_alu instid0(SALU_CYCLE_1)
	s_sub_co_i32 s31, s27, s2
.LBB145_5:
	s_load_b96 s[24:26], s[0:1], 0x80
	v_bfe_u32 v8, v0, 10, 10
	v_dual_mov_b32 v4, 0 :: v_dual_and_b32 v3, 0x3ff, v0
	s_lshr_b32 s21, ttmp7, 16
	s_cmp_lg_u64 s[14:15], 0
	s_delay_alu instid0(VALU_DEP_1) | instskip(SKIP_4) | instid1(VALU_DEP_1)
	v_dual_mov_b32 v5, 0 :: v_dual_lshlrev_b32 v2, 2, v3
	v_or_b32_e32 v0, v3, v8
	s_cselect_b32 s2, -1, 0
	s_mov_b32 s23, 0
	s_mul_i32 s12, s3, s6
	v_cmp_eq_u32_e32 vcc_lo, 0, v0
	s_and_b32 s13, s2, vcc_lo
	s_delay_alu instid0(SALU_CYCLE_1)
	s_and_saveexec_b32 s3, s13
	s_cbranch_execz .LBB145_7
; %bb.6:
	s_wait_kmcnt 0x0
	s_mul_i32 s22, s26, s21
	s_mov_b32 s13, s23
	s_lshl_b64 s[36:37], s[22:23], 2
	s_mov_b32 s34, ttmp9
	s_add_nc_u64 s[14:15], s[14:15], s[36:37]
	s_lshl_b64 s[22:23], s[12:13], 2
	s_ashr_i32 s35, ttmp9, 31
	s_add_nc_u64 s[14:15], s[14:15], s[22:23]
	s_lshl_b64 s[22:23], s[34:35], 2
	s_delay_alu instid0(SALU_CYCLE_1)
	s_add_nc_u64 s[14:15], s[14:15], s[22:23]
	global_load_b32 v5, v2, s[14:15]
.LBB145_7:
	s_or_b32 exec_lo, exec_lo, s3
	s_cmp_lg_u64 s[16:17], 0
	s_cselect_b32 s14, -1, 0
	s_cmp_lg_u64 s[18:19], 0
	s_cselect_b32 s3, -1, 0
	s_delay_alu instid0(SALU_CYCLE_1) | instskip(NEXT) | instid1(SALU_CYCLE_1)
	s_and_b32 s13, s3, s14
	s_and_b32 s13, s13, vcc_lo
	s_delay_alu instid0(SALU_CYCLE_1)
	s_and_saveexec_b32 s15, s13
	s_cbranch_execz .LBB145_9
; %bb.8:
	s_wait_kmcnt 0x0
	s_mul_i32 s34, s26, s21
	s_mov_b32 s35, 0
	s_mov_b32 s22, ttmp9
	s_lshl_b64 s[36:37], s[34:35], 2
	s_mov_b32 s13, s35
	s_add_nc_u64 s[18:19], s[18:19], s[36:37]
	s_lshl_b64 s[12:13], s[12:13], 2
	s_ashr_i32 s23, ttmp9, 31
	s_add_nc_u64 s[12:13], s[18:19], s[12:13]
	s_lshl_b64 s[18:19], s[22:23], 2
	s_delay_alu instid0(SALU_CYCLE_1)
	s_add_nc_u64 s[12:13], s[12:13], s[18:19]
	global_load_b32 v4, v2, s[12:13]
.LBB145_9:
	s_or_b32 exec_lo, exec_lo, s15
	v_lshrrev_b32_e32 v0, 5, v3
	v_cndmask_b32_e64 v6, 0, 1, s14
	v_mov_b32_e32 v7, 0
	s_lshr_b32 s15, s20, 8
	s_mov_b32 s18, exec_lo
	v_dual_mov_b32 v9, 0 :: v_dual_add_nc_u32 v10, v0, v8
	s_wait_alu 0xfffe
	s_delay_alu instid0(VALU_DEP_1)
	v_cmpx_gt_u32_e64 s15, v10
	s_cbranch_execz .LBB145_15
; %bb.10:
	s_mul_i32 s12, s31, s5
	s_mov_b32 s13, 0
	v_and_b32_e32 v7, 15, v3
	s_mul_u64 s[22:23], s[12:13], 36
	s_mul_hi_u32 s7, s7, s21
	v_mad_co_u64_u32 v[0:1], null, 0x120, v10, s[22:23]
	s_delay_alu instid0(VALU_DEP_2)
	v_lshrrev_b16 v11, 3, v7
	s_add_co_i32 s5, s21, s7
	v_bfe_u32 v9, v3, 4, 1
	s_wait_kmcnt 0x0
	s_mul_i32 s7, s25, s21
	v_and_b32_e32 v13, 7, v3
	v_and_b32_e32 v11, 0xffff, v11
	v_mad_co_u64_u32 v[0:1], null, s7, 36, v[0:1]
	v_lshlrev_b32_e32 v12, 3, v9
	v_lshrrev_b16 v7, 2, v7
	s_delay_alu instid0(VALU_DEP_4)
	v_lshl_or_b32 v9, v9, 2, v11
	v_and_b32_e32 v14, 31, v3
	s_lshr_b32 s5, s5, s30
	s_mul_i32 s29, s29, ttmp9
	v_and_b32_e32 v7, 0xffff, v7
	v_mad_co_u64_u32 v[0:1], null, v9, 36, v[0:1]
	v_mov_b32_e32 v9, 0
	v_or_b32_e32 v15, v12, v13
	s_delay_alu instid0(VALU_DEP_4) | instskip(SKIP_2) | instid1(VALU_DEP_3)
	v_or_b32_e32 v12, v12, v7
	v_dual_mov_b32 v7, 0 :: v_dual_lshlrev_b32 v14, 1, v14
	s_mul_i32 s5, s5, s24
	v_lshlrev_b32_e32 v15, 1, v15
	v_add_co_u32 v0, vcc_lo, s10, v0
	v_lshlrev_b32_e32 v11, 1, v11
	v_lshlrev_b32_e32 v13, 2, v13
	v_add_co_ci_u32_e64 v1, null, s11, v1, vcc_lo
	v_lshlrev_b32_e32 v14, 1, v14
	v_lshlrev_b32_e32 v15, 1, v15
	s_mul_i32 s4, s28, s4
	s_add_co_i32 s5, s5, s29
	s_delay_alu instid0(SALU_CYCLE_1)
	s_add_co_i32 s5, s4, s5
	s_branch .LBB145_12
.LBB145_11:                             ;   in Loop: Header=BB145_12 Depth=1
	s_wait_loadcnt 0x3
	v_ashrrev_i32_e32 v24, v11, v24
	v_and_b32_e32 v25, 0xf0f0f0f, v23
	v_lshrrev_b32_e32 v23, 4, v23
	s_wait_loadcnt 0x1
	v_bfe_i32 v22, v22, 0, 8
	s_wait_loadcnt 0x0
	v_bfe_i32 v21, v21, 0, 8
	v_lshlrev_b32_e32 v26, 4, v24
	v_add_nc_u32_e32 v10, 8, v10
	v_and_b32_e32 v23, 0xf0f0f0f, v23
	v_add_co_u32 v0, s4, 0x900, v0
	s_delay_alu instid0(VALU_DEP_4) | instskip(NEXT) | instid1(VALU_DEP_4)
	v_and_or_b32 v25, 0x30303030, v26, v25
	v_cmp_le_u32_e32 vcc_lo, s15, v10
	s_delay_alu instid0(VALU_DEP_4)
	v_and_or_b32 v23, 0x30303030, v24, v23
	s_wait_alu 0xf1ff
	v_add_co_ci_u32_e64 v1, null, 0, v1, s4
	v_lshrrev_b32_e32 v24, 16, v25
	v_and_b32_e32 v26, 0x3f00, v25
	v_lshlrev_b16 v25, 8, v25
	v_lshrrev_b32_e32 v27, 16, v23
	v_and_b32_e32 v29, 0x3f00, v23
	v_lshlrev_b16 v28, 8, v24
	v_lshlrev_b16 v23, 8, v23
	v_add_nc_u16 v25, 0xe000, v25
	v_lshlrev_b16 v30, 8, v27
	v_and_b32_e32 v24, 0x3f00, v24
	v_add_nc_u16 v28, 0xe000, v28
	v_add_nc_u16 v23, 0xe000, v23
	v_lshrrev_b16 v25, 8, v25
	v_add_nc_u16 v30, 0xe000, v30
	v_and_b32_e32 v27, 0x3f00, v27
	v_lshrrev_b16 v28, 8, v28
	v_lshrrev_b16 v23, 8, v23
	v_or_b32_e32 v25, v26, v25
	v_lshrrev_b16 v26, 8, v30
	s_or_b32 s13, vcc_lo, s13
	v_or_b32_e32 v24, v24, v28
	v_or_b32_e32 v23, v29, v23
	v_add_nc_u16 v25, 0xe000, v25
	v_or_b32_e32 v26, v27, v26
	s_delay_alu instid0(VALU_DEP_4) | instskip(NEXT) | instid1(VALU_DEP_4)
	v_add_nc_u16 v24, 0xe000, v24
	v_add_nc_u16 v23, 0xe000, v23
	s_delay_alu instid0(VALU_DEP_4) | instskip(NEXT) | instid1(VALU_DEP_4)
	v_and_b32_e32 v25, 0xffff, v25
	v_add_nc_u16 v26, 0xe000, v26
	s_delay_alu instid0(VALU_DEP_4) | instskip(NEXT) | instid1(VALU_DEP_4)
	v_lshlrev_b32_e32 v24, 16, v24
	v_and_b32_e32 v23, 0xffff, v23
	s_delay_alu instid0(VALU_DEP_3) | instskip(NEXT) | instid1(VALU_DEP_3)
	v_lshlrev_b32_e32 v26, 16, v26
	v_or_b32_e32 v24, v25, v24
	s_delay_alu instid0(VALU_DEP_2) | instskip(NEXT) | instid1(VALU_DEP_2)
	v_or_b32_e32 v23, v23, v26
	v_dot4_i32_iu8 v17, v24, v17, 0 neg_lo:[1,1,0]
	s_delay_alu instid0(VALU_DEP_2) | instskip(NEXT) | instid1(VALU_DEP_2)
	v_dot4_i32_iu8 v18, v23, v18, 0 neg_lo:[1,1,0]
	v_mul_lo_u32 v17, v17, v22
	s_delay_alu instid0(VALU_DEP_2) | instskip(NEXT) | instid1(VALU_DEP_2)
	v_mul_lo_u32 v18, v18, v21
	v_cvt_f32_i32_e32 v17, v17
	s_delay_alu instid0(VALU_DEP_2) | instskip(NEXT) | instid1(VALU_DEP_2)
	v_cvt_f32_i32_e32 v18, v18
	v_fma_f32 v17, v20, v17, 0
	s_delay_alu instid0(VALU_DEP_1) | instskip(NEXT) | instid1(VALU_DEP_1)
	v_fmac_f32_e32 v17, v19, v18
	v_fma_mix_f32 v9, v17, v16, v9 op_sel_hi:[0,1,0]
	s_and_not1_b32 exec_lo, exec_lo, s13
	s_cbranch_execz .LBB145_14
.LBB145_12:                             ; =>This Inner Loop Header: Depth=1
	v_add_nc_u32_e32 v25, s5, v10
	v_add_co_u32 v21, vcc_lo, v0, v13
	s_wait_alu 0xfffd
	v_add_co_ci_u32_e64 v22, null, 0, v1, vcc_lo
	s_delay_alu instid0(VALU_DEP_3)
	v_mad_co_i64_i32 v[19:20], null, 0xd2, v25, s[8:9]
	s_clause 0x1
	global_load_b32 v17, v[21:22], off offset:4
	global_load_b32 v18, v[21:22], off offset:76
	v_add_co_u32 v23, vcc_lo, v19, v14
	s_wait_alu 0xfffd
	v_add_co_ci_u32_e64 v24, null, 0, v20, vcc_lo
	v_add_co_u32 v26, vcc_lo, v19, v15
	s_wait_alu 0xfffd
	v_add_co_ci_u32_e64 v27, null, 0, v20, vcc_lo
	;; [unrolled: 3-line block ×3, first 2 shown]
	s_clause 0x1
	global_load_b32 v30, v[0:1], off
	global_load_b32 v31, v[0:1], off offset:72
	s_clause 0x4
	global_load_b32 v23, v[23:24], off
	global_load_b32 v24, v[26:27], off offset:128
	global_load_u16 v16, v[19:20], off offset:208
	global_load_u8 v22, v[28:29], off offset:192
	global_load_u8 v21, v[28:29], off offset:196
	s_and_not1_b32 vcc_lo, exec_lo, s14
	s_wait_loadcnt 0x6
	v_cvt_f32_f16_e32 v20, v30
	s_wait_loadcnt 0x5
	v_cvt_f32_f16_e32 v19, v31
	s_wait_alu 0xfffe
	s_cbranch_vccnz .LBB145_11
; %bb.13:                               ;   in Loop: Header=BB145_12 Depth=1
	v_mad_co_i64_i32 v[25:26], null, 0xd2, v25, s[16:17]
	s_delay_alu instid0(VALU_DEP_1) | instskip(SKIP_1) | instid1(VALU_DEP_2)
	v_add_co_u32 v27, vcc_lo, v25, v15
	s_wait_alu 0xfffd
	v_add_co_ci_u32_e64 v28, null, 0, v26, vcc_lo
	v_add_co_u32 v29, vcc_lo, v25, v14
	s_wait_alu 0xfffd
	v_add_co_ci_u32_e64 v30, null, 0, v26, vcc_lo
	s_clause 0x1
	global_load_b32 v31, v[27:28], off offset:128
	global_load_b32 v29, v[29:30], off
	v_add_co_u32 v27, vcc_lo, v25, v12
	s_wait_alu 0xfffd
	v_add_co_ci_u32_e64 v28, null, 0, v26, vcc_lo
	s_clause 0x2
	global_load_i8 v30, v[27:28], off offset:192
	global_load_i8 v27, v[27:28], off offset:196
	global_load_u16 v25, v[25:26], off offset:208
	s_wait_loadcnt 0x4
	v_ashrrev_i32_e32 v26, v11, v31
	s_wait_loadcnt 0x3
	v_and_b32_e32 v28, 0xf0f0f0f, v29
	v_lshrrev_b32_e32 v29, 4, v29
	s_delay_alu instid0(VALU_DEP_3) | instskip(NEXT) | instid1(VALU_DEP_2)
	v_lshlrev_b32_e32 v31, 4, v26
	v_and_b32_e32 v29, 0xf0f0f0f, v29
	s_delay_alu instid0(VALU_DEP_2) | instskip(NEXT) | instid1(VALU_DEP_2)
	v_and_or_b32 v28, 0x30303030, v31, v28
	v_and_or_b32 v26, 0x30303030, v26, v29
	s_delay_alu instid0(VALU_DEP_2) | instskip(SKIP_2) | instid1(VALU_DEP_4)
	v_lshrrev_b32_e32 v31, 16, v28
	v_and_b32_e32 v29, 0x3f00, v28
	v_lshlrev_b16 v28, 8, v28
	v_lshrrev_b32_e32 v33, 16, v26
	v_and_b32_e32 v34, 0x3f00, v26
	v_lshlrev_b16 v32, 8, v31
	v_lshlrev_b16 v26, 8, v26
	v_add_nc_u16 v28, 0xe000, v28
	v_lshlrev_b16 v35, 8, v33
	v_and_b32_e32 v31, 0x3f00, v31
	v_add_nc_u16 v32, 0xe000, v32
	v_add_nc_u16 v26, 0xe000, v26
	v_lshrrev_b16 v28, 8, v28
	v_add_nc_u16 v35, 0xe000, v35
	v_and_b32_e32 v33, 0x3f00, v33
	v_lshrrev_b16 v32, 8, v32
	v_lshrrev_b16 v26, 8, v26
	v_or_b32_e32 v28, v29, v28
	s_delay_alu instid0(VALU_DEP_3) | instskip(SKIP_1) | instid1(VALU_DEP_4)
	v_or_b32_e32 v29, v31, v32
	v_lshrrev_b16 v31, 8, v35
	v_or_b32_e32 v26, v34, v26
	s_delay_alu instid0(VALU_DEP_4) | instskip(NEXT) | instid1(VALU_DEP_4)
	v_add_nc_u16 v28, 0xe000, v28
	v_add_nc_u16 v29, 0xe000, v29
	s_delay_alu instid0(VALU_DEP_4) | instskip(NEXT) | instid1(VALU_DEP_4)
	v_or_b32_e32 v31, v33, v31
	v_add_nc_u16 v26, 0xe000, v26
	s_delay_alu instid0(VALU_DEP_4) | instskip(NEXT) | instid1(VALU_DEP_4)
	v_and_b32_e32 v28, 0xffff, v28
	v_lshlrev_b32_e32 v29, 16, v29
	s_delay_alu instid0(VALU_DEP_4) | instskip(NEXT) | instid1(VALU_DEP_4)
	v_add_nc_u16 v31, 0xe000, v31
	v_and_b32_e32 v26, 0xffff, v26
	s_delay_alu instid0(VALU_DEP_3) | instskip(NEXT) | instid1(VALU_DEP_3)
	v_or_b32_e32 v28, v28, v29
	v_lshlrev_b32_e32 v29, 16, v31
	s_delay_alu instid0(VALU_DEP_2) | instskip(NEXT) | instid1(VALU_DEP_2)
	v_dot4_i32_iu8 v28, v28, v17, 0 neg_lo:[1,1,0]
	v_or_b32_e32 v26, v26, v29
	s_wait_loadcnt 0x2
	s_delay_alu instid0(VALU_DEP_2) | instskip(NEXT) | instid1(VALU_DEP_2)
	v_mul_lo_u32 v28, v28, v30
	v_dot4_i32_iu8 v26, v26, v18, 0 neg_lo:[1,1,0]
	s_wait_loadcnt 0x1
	s_delay_alu instid0(VALU_DEP_1) | instskip(NEXT) | instid1(VALU_DEP_3)
	v_mul_lo_u32 v26, v26, v27
	v_cvt_f32_i32_e32 v27, v28
	s_delay_alu instid0(VALU_DEP_1) | instskip(NEXT) | instid1(VALU_DEP_3)
	v_fma_f32 v27, v20, v27, 0
	v_cvt_f32_i32_e32 v26, v26
	s_delay_alu instid0(VALU_DEP_1) | instskip(SKIP_1) | instid1(VALU_DEP_1)
	v_fmac_f32_e32 v27, v19, v26
	s_wait_loadcnt 0x0
	v_fma_mix_f32 v7, v27, v25, v7 op_sel_hi:[0,1,0]
	s_branch .LBB145_11
.LBB145_14:
	s_or_b32 exec_lo, exec_lo, s13
.LBB145_15:
	s_delay_alu instid0(SALU_CYCLE_1)
	s_or_b32 exec_lo, exec_lo, s18
	s_load_b32 s5, s[0:1], 0x30
	v_cmp_eq_u32_e64 s4, 0, v8
	s_mov_b32 s7, exec_lo
	v_cmpx_ne_u32_e32 0, v8
	s_cbranch_execz .LBB145_19
; %bb.16:
	v_add_nc_u32_e32 v0, -1, v8
	s_and_b32 vcc_lo, exec_lo, s14
	s_delay_alu instid0(VALU_DEP_1)
	v_lshlrev_b32_e32 v0, 7, v0
	s_wait_alu 0xfffe
	s_cbranch_vccz .LBB145_18
; %bb.17:
	s_delay_alu instid0(VALU_DEP_1)
	v_lshl_add_u32 v1, v3, 2, v0
	ds_store_b32 v1, v7 offset:896
.LBB145_18:
	s_delay_alu instid0(VALU_DEP_1)
	v_lshl_add_u32 v0, v3, 2, v0
	ds_store_b32 v0, v9
.LBB145_19:
	s_wait_alu 0xfffe
	s_or_b32 exec_lo, exec_lo, s7
	s_wait_loadcnt_dscnt 0x0
	s_barrier_signal -1
	s_barrier_wait -1
	global_inv scope:SCOPE_SE
	s_and_saveexec_b32 s7, s4
	s_cbranch_execz .LBB145_61
; %bb.20:
	ds_load_b32 v0, v2
	v_cmp_ne_u32_e32 vcc_lo, 1, v6
	v_add_nc_u32_e32 v1, 0x380, v2
	s_cbranch_vccnz .LBB145_22
; %bb.21:
	ds_load_b32 v8, v1
	s_wait_dscnt 0x0
	v_add_f32_e32 v7, v7, v8
.LBB145_22:
	ds_load_b32 v8, v2 offset:128
	v_cmp_ne_u32_e32 vcc_lo, 1, v6
	s_cbranch_vccnz .LBB145_24
; %bb.23:
	ds_load_b32 v10, v1 offset:128
	s_wait_dscnt 0x0
	v_add_f32_e32 v7, v7, v10
.LBB145_24:
	ds_load_b32 v10, v2 offset:256
	v_cmp_ne_u32_e32 vcc_lo, 1, v6
	s_cbranch_vccnz .LBB145_26
; %bb.25:
	ds_load_b32 v11, v1 offset:256
	s_wait_dscnt 0x0
	v_add_f32_e32 v7, v7, v11
.LBB145_26:
	ds_load_b32 v11, v2 offset:384
	v_cmp_ne_u32_e32 vcc_lo, 1, v6
	s_cbranch_vccnz .LBB145_28
; %bb.27:
	ds_load_b32 v12, v1 offset:384
	s_wait_dscnt 0x0
	v_add_f32_e32 v7, v7, v12
.LBB145_28:
	ds_load_b32 v12, v2 offset:512
	v_cmp_ne_u32_e32 vcc_lo, 1, v6
	s_cbranch_vccnz .LBB145_30
; %bb.29:
	ds_load_b32 v13, v1 offset:512
	s_wait_dscnt 0x0
	v_add_f32_e32 v7, v7, v13
.LBB145_30:
	ds_load_b32 v13, v2 offset:640
	v_cmp_ne_u32_e32 vcc_lo, 1, v6
	s_cbranch_vccnz .LBB145_32
; %bb.31:
	ds_load_b32 v14, v1 offset:640
	s_wait_dscnt 0x0
	v_add_f32_e32 v7, v7, v14
.LBB145_32:
	ds_load_b32 v14, v2 offset:768
	v_cmp_ne_u32_e32 vcc_lo, 1, v6
	s_cbranch_vccnz .LBB145_34
; %bb.33:
	ds_load_b32 v1, v1 offset:768
	s_wait_dscnt 0x0
	v_add_f32_e32 v7, v7, v1
.LBB145_34:
	s_wait_dscnt 0x6
	v_add_f32_e32 v0, v9, v0
	v_mbcnt_lo_u32_b32 v1, -1, 0
	s_delay_alu instid0(VALU_DEP_1) | instskip(SKIP_1) | instid1(VALU_DEP_3)
	v_xor_b32_e32 v9, 8, v1
	s_wait_dscnt 0x5
	v_add_f32_e32 v0, v0, v8
	v_xor_b32_e32 v8, 16, v1
	s_delay_alu instid0(VALU_DEP_1)
	v_cmp_gt_i32_e32 vcc_lo, 32, v8
	s_wait_alu 0xfffd
	v_cndmask_b32_e32 v8, v1, v8, vcc_lo
	v_cmp_gt_i32_e32 vcc_lo, 32, v9
	s_wait_dscnt 0x4
	s_wait_alu 0xfffd
	v_dual_cndmask_b32 v9, v1, v9 :: v_dual_add_f32 v0, v0, v10
	s_wait_dscnt 0x3
	s_delay_alu instid0(VALU_DEP_1) | instskip(SKIP_1) | instid1(VALU_DEP_1)
	v_dual_add_f32 v0, v0, v11 :: v_dual_lshlrev_b32 v9, 2, v9
	s_wait_dscnt 0x2
	v_add_f32_e32 v0, v0, v12
	s_wait_dscnt 0x1
	s_delay_alu instid0(VALU_DEP_1) | instskip(SKIP_1) | instid1(VALU_DEP_1)
	v_add_f32_e32 v0, v0, v13
	s_wait_dscnt 0x0
	v_add_f32_e32 v10, v0, v14
	v_lshlrev_b32_e32 v0, 2, v8
	ds_bpermute_b32 v8, v0, v10
	s_wait_dscnt 0x0
	v_add_f32_e32 v8, v10, v8
	v_xor_b32_e32 v10, 4, v1
	ds_bpermute_b32 v11, v9, v8
	v_cmp_gt_i32_e32 vcc_lo, 32, v10
	s_wait_alu 0xfffd
	v_cndmask_b32_e32 v10, v1, v10, vcc_lo
	s_delay_alu instid0(VALU_DEP_1)
	v_lshlrev_b32_e32 v10, 2, v10
	s_wait_dscnt 0x0
	v_add_f32_e32 v8, v8, v11
	v_xor_b32_e32 v11, 2, v1
	ds_bpermute_b32 v12, v10, v8
	v_cmp_gt_i32_e32 vcc_lo, 32, v11
	s_wait_alu 0xfffd
	v_cndmask_b32_e32 v11, v1, v11, vcc_lo
	s_wait_dscnt 0x0
	s_delay_alu instid0(VALU_DEP_1)
	v_dual_add_f32 v8, v8, v12 :: v_dual_lshlrev_b32 v11, 2, v11
	v_xor_b32_e32 v12, 1, v1
	ds_bpermute_b32 v13, v11, v8
	v_cmp_gt_i32_e32 vcc_lo, 32, v12
	s_wait_alu 0xfffd
	v_cndmask_b32_e32 v1, v1, v12, vcc_lo
	v_cmp_ne_u32_e32 vcc_lo, 1, v6
	s_delay_alu instid0(VALU_DEP_2)
	v_lshlrev_b32_e32 v12, 2, v1
	s_wait_dscnt 0x0
	v_add_f32_e32 v1, v8, v13
	ds_bpermute_b32 v8, v12, v1
	s_cbranch_vccnz .LBB145_36
; %bb.35:
	ds_bpermute_b32 v0, v0, v7
	s_wait_dscnt 0x0
	v_add_f32_e32 v0, v7, v0
	ds_bpermute_b32 v7, v9, v0
	s_wait_dscnt 0x0
	v_add_f32_e32 v0, v0, v7
	;; [unrolled: 3-line block ×5, first 2 shown]
.LBB145_36:
	v_cmp_eq_u32_e32 vcc_lo, 0, v3
	s_and_b32 exec_lo, exec_lo, vcc_lo
	s_cbranch_execz .LBB145_61
; %bb.37:
	s_wait_dscnt 0x0
	v_add_f32_e32 v0, v1, v8
	v_cmp_ne_u32_e32 vcc_lo, 1, v6
	s_delay_alu instid0(VALU_DEP_2) | instskip(NEXT) | instid1(VALU_DEP_1)
	v_add_f32_e32 v1, v5, v0
	v_cndmask_b32_e64 v0, v0, v1, s2
	s_cbranch_vccnz .LBB145_60
; %bb.38:
	v_add_f32_e32 v1, v4, v7
	s_wait_kmcnt 0x0
	s_cmp_lt_i32 s5, 2
	s_mov_b32 s2, 0
	s_delay_alu instid0(VALU_DEP_1)
	v_cndmask_b32_e64 v1, v7, v1, s3
	s_cbranch_scc1 .LBB145_43
; %bb.39:
	s_cmp_gt_i32 s5, 2
	s_cbranch_scc0 .LBB145_44
; %bb.40:
	s_cmp_eq_u32 s5, 3
	s_cbranch_scc0 .LBB145_45
; %bb.41:
	v_max_num_f32_e32 v3, v1, v1
	s_mov_b32 s3, 0xc0e00000
	s_delay_alu instid0(VALU_DEP_1) | instskip(NEXT) | instid1(VALU_DEP_1)
	v_min_num_f32_e32 v3, 0x40e00000, v3
	v_mul_f32_e32 v4, 0xbfd9db23, v3
	s_delay_alu instid0(VALU_DEP_1) | instskip(NEXT) | instid1(VALU_DEP_1)
	v_mul_f32_e32 v5, 0x3fb8aa3b, v4
	v_fma_f32 v6, 0x3fb8aa3b, v4, -v5
	v_rndne_f32_e32 v7, v5
	s_delay_alu instid0(VALU_DEP_1) | instskip(NEXT) | instid1(VALU_DEP_1)
	v_dual_fmamk_f32 v6, v4, 0x32a5705f, v6 :: v_dual_sub_f32 v5, v5, v7
	v_add_f32_e32 v5, v5, v6
	v_cvt_i32_f32_e32 v6, v7
	v_cmp_ngt_f32_e32 vcc_lo, 0xc2ce8ed0, v4
	s_delay_alu instid0(VALU_DEP_3) | instskip(NEXT) | instid1(TRANS32_DEP_1)
	v_exp_f32_e32 v5, v5
	v_ldexp_f32 v5, v5, v6
	s_wait_alu 0xfffd
	s_delay_alu instid0(VALU_DEP_1) | instskip(SKIP_2) | instid1(VALU_DEP_2)
	v_cndmask_b32_e32 v5, 0, v5, vcc_lo
	v_cmp_nlt_f32_e32 vcc_lo, 0x42b17218, v4
	s_wait_alu 0xfffd
	v_cndmask_b32_e32 v4, 0x7f800000, v5, vcc_lo
	s_delay_alu instid0(VALU_DEP_1) | instskip(NEXT) | instid1(VALU_DEP_1)
	v_add_f32_e32 v4, 1.0, v4
	v_div_scale_f32 v5, null, v4, v4, v3
	v_div_scale_f32 v8, vcc_lo, v3, v4, v3
	s_delay_alu instid0(VALU_DEP_2) | instskip(NEXT) | instid1(TRANS32_DEP_1)
	v_rcp_f32_e32 v6, v5
	v_fma_f32 v7, -v5, v6, 1.0
	s_delay_alu instid0(VALU_DEP_1) | instskip(NEXT) | instid1(VALU_DEP_1)
	v_fmac_f32_e32 v6, v7, v6
	v_mul_f32_e32 v7, v8, v6
	s_delay_alu instid0(VALU_DEP_1) | instskip(NEXT) | instid1(VALU_DEP_1)
	v_fma_f32 v9, -v5, v7, v8
	v_fmac_f32_e32 v7, v9, v6
	s_delay_alu instid0(VALU_DEP_1) | instskip(SKIP_2) | instid1(VALU_DEP_2)
	v_fma_f32 v5, -v5, v7, v8
	v_max_num_f32_e32 v8, v0, v0
	s_wait_alu 0xfffd
	v_div_fmas_f32 v5, v5, v6, v7
	s_wait_alu 0xfffe
	s_delay_alu instid0(VALU_DEP_2) | instskip(SKIP_1) | instid1(VALU_DEP_2)
	v_minmax_num_f32 v6, v8, 0x40e00000, s3
	s_mov_b32 s3, 0
	v_div_fixup_f32 v3, v5, v4, v3
	s_delay_alu instid0(VALU_DEP_2) | instskip(NEXT) | instid1(VALU_DEP_1)
	v_add_f32_e32 v4, 1.0, v6
	v_mul_f32_e32 v3, v4, v3
	s_branch .LBB145_46
.LBB145_42:
                                        ; implicit-def: $sgpr28
	s_clause 0x1
	s_load_b32 s29, s[0:1], 0x50
	s_load_b32 s30, s[0:1], 0x78
	s_branch .LBB145_2
.LBB145_43:
	s_mov_b32 s3, 0
                                        ; implicit-def: $vgpr3
	s_cbranch_execnz .LBB145_50
	s_branch .LBB145_51
.LBB145_44:
	s_mov_b32 s4, -1
	s_mov_b32 s3, 0
                                        ; implicit-def: $vgpr3
	s_branch .LBB145_47
.LBB145_45:
	s_mov_b32 s3, -1
                                        ; implicit-def: $vgpr3
.LBB145_46:
	s_mov_b32 s4, 0
.LBB145_47:
	s_wait_alu 0xfffe
	s_and_b32 vcc_lo, exec_lo, s4
	s_wait_alu 0xfffe
	s_cbranch_vccz .LBB145_49
; %bb.48:
	v_mul_f32_e32 v3, 0xbfb8aa3b, v1
	v_cmp_nlt_f32_e32 vcc_lo, 0x42ce8ed0, v1
	s_delay_alu instid0(VALU_DEP_2) | instskip(SKIP_1) | instid1(VALU_DEP_2)
	v_rndne_f32_e32 v4, v3
	v_fma_f32 v5, 0xbfb8aa3b, v1, -v3
	v_sub_f32_e32 v3, v3, v4
	s_delay_alu instid0(VALU_DEP_2) | instskip(SKIP_1) | instid1(VALU_DEP_2)
	v_fmamk_f32 v5, v1, 0xb2a5705f, v5
	v_cvt_i32_f32_e32 v4, v4
	v_add_f32_e32 v3, v3, v5
	s_delay_alu instid0(VALU_DEP_1) | instskip(NEXT) | instid1(TRANS32_DEP_1)
	v_exp_f32_e32 v3, v3
	v_ldexp_f32 v3, v3, v4
	s_wait_alu 0xfffd
	s_delay_alu instid0(VALU_DEP_1) | instskip(SKIP_2) | instid1(VALU_DEP_2)
	v_cndmask_b32_e32 v3, 0, v3, vcc_lo
	v_cmp_ngt_f32_e32 vcc_lo, 0xc2b17218, v1
	s_wait_alu 0xfffd
	v_cndmask_b32_e32 v3, 0x7f800000, v3, vcc_lo
	s_delay_alu instid0(VALU_DEP_1) | instskip(NEXT) | instid1(VALU_DEP_1)
	v_add_f32_e32 v3, 1.0, v3
	v_div_scale_f32 v4, null, v3, v3, v1
	s_delay_alu instid0(VALU_DEP_1) | instskip(NEXT) | instid1(TRANS32_DEP_1)
	v_rcp_f32_e32 v5, v4
	v_fma_f32 v6, -v4, v5, 1.0
	s_delay_alu instid0(VALU_DEP_1) | instskip(SKIP_1) | instid1(VALU_DEP_1)
	v_fmac_f32_e32 v5, v6, v5
	v_div_scale_f32 v6, vcc_lo, v1, v3, v1
	v_mul_f32_e32 v7, v6, v5
	s_delay_alu instid0(VALU_DEP_1) | instskip(NEXT) | instid1(VALU_DEP_1)
	v_fma_f32 v8, -v4, v7, v6
	v_fmac_f32_e32 v7, v8, v5
	s_delay_alu instid0(VALU_DEP_1) | instskip(SKIP_1) | instid1(VALU_DEP_1)
	v_fma_f32 v4, -v4, v7, v6
	s_wait_alu 0xfffd
	v_div_fmas_f32 v4, v4, v5, v7
	s_delay_alu instid0(VALU_DEP_1) | instskip(NEXT) | instid1(VALU_DEP_1)
	v_div_fixup_f32 v3, v4, v3, v1
	v_mul_f32_e32 v3, v0, v3
.LBB145_49:
	s_branch .LBB145_51
.LBB145_50:
	s_cmp_lg_u32 s5, 1
	s_mov_b32 s2, -1
	s_cselect_b32 s3, -1, 0
.LBB145_51:
	s_wait_alu 0xfffe
	s_and_not1_b32 vcc_lo, exec_lo, s3
	s_wait_alu 0xfffe
	s_cbranch_vccz .LBB145_53
; %bb.52:
	s_and_not1_b32 vcc_lo, exec_lo, s2
	s_wait_alu 0xfffe
	s_cbranch_vccz .LBB145_54
	s_branch .LBB145_59
.LBB145_53:
	v_mul_f32_e32 v3, v1, v0
	s_cbranch_execnz .LBB145_59
.LBB145_54:
	v_mul_f32_e32 v3, 0x3d372713, v1
	v_mul_f32_e32 v4, 0x3f4c422a, v1
	s_delay_alu instid0(VALU_DEP_2) | instskip(NEXT) | instid1(VALU_DEP_1)
	v_fma_f32 v3, v1, v3, 1.0
	v_mul_f32_e32 v3, v4, v3
                                        ; implicit-def: $vgpr4
	s_delay_alu instid0(VALU_DEP_1)
	v_cmp_ngt_f32_e64 s2, 0x3f200000, |v3|
	s_and_saveexec_b32 s3, s2
	s_wait_alu 0xfffe
	s_xor_b32 s2, exec_lo, s3
	s_cbranch_execz .LBB145_56
; %bb.55:
	v_add_f32_e64 v4, |v3|, |v3|
	s_delay_alu instid0(VALU_DEP_1) | instskip(SKIP_1) | instid1(VALU_DEP_2)
	v_mul_f32_e32 v5, 0x3fb8aa3b, v4
	v_cmp_ngt_f32_e32 vcc_lo, 0xc2ce8ed0, v4
	v_rndne_f32_e32 v6, v5
	v_fma_f32 v7, 0x3fb8aa3b, v4, -v5
	s_delay_alu instid0(VALU_DEP_2) | instskip(NEXT) | instid1(VALU_DEP_2)
	v_sub_f32_e32 v5, v5, v6
	v_fmamk_f32 v7, v4, 0x32a5705f, v7
	v_cvt_i32_f32_e32 v6, v6
	s_delay_alu instid0(VALU_DEP_2) | instskip(NEXT) | instid1(VALU_DEP_1)
	v_add_f32_e32 v5, v5, v7
	v_exp_f32_e32 v5, v5
	s_delay_alu instid0(TRANS32_DEP_1) | instskip(SKIP_1) | instid1(VALU_DEP_1)
	v_ldexp_f32 v5, v5, v6
	s_wait_alu 0xfffd
	v_cndmask_b32_e32 v5, 0, v5, vcc_lo
	v_cmp_nlt_f32_e32 vcc_lo, 0x42b17218, v4
	s_wait_alu 0xfffd
	s_delay_alu instid0(VALU_DEP_2) | instskip(NEXT) | instid1(VALU_DEP_1)
	v_cndmask_b32_e32 v4, 0x7f800000, v5, vcc_lo
	v_add_f32_e32 v4, 1.0, v4
	s_delay_alu instid0(VALU_DEP_1) | instskip(NEXT) | instid1(TRANS32_DEP_1)
	v_rcp_f32_e32 v4, v4
	v_fma_f32 v4, v4, -2.0, 1.0
.LBB145_56:
	s_wait_alu 0xfffe
	s_and_not1_saveexec_b32 s2, s2
	s_cbranch_execz .LBB145_58
; %bb.57:
	v_mul_f32_e32 v4, v3, v3
	s_mov_b32 s3, 0xbbbac73d
	s_wait_alu 0xfffe
	s_delay_alu instid0(VALU_DEP_1) | instskip(NEXT) | instid1(VALU_DEP_1)
	v_fmaak_f32 v5, s3, v4, 0x3ca908c9
	v_fmaak_f32 v5, v4, v5, 0xbd5c1c4e
	s_delay_alu instid0(VALU_DEP_1) | instskip(NEXT) | instid1(VALU_DEP_1)
	v_fmaak_f32 v5, v4, v5, 0x3e088382
	v_fmaak_f32 v5, v4, v5, 0xbeaaaa99
	s_delay_alu instid0(VALU_DEP_1) | instskip(NEXT) | instid1(VALU_DEP_1)
	v_mul_f32_e64 v5, |v3|, v5
	v_fma_f32 v4, v4, v5, |v3|
.LBB145_58:
	s_wait_alu 0xfffe
	s_or_b32 exec_lo, exec_lo, s2
	s_delay_alu instid0(VALU_DEP_1) | instskip(SKIP_1) | instid1(VALU_DEP_2)
	v_bfi_b32 v3, 0x7fffffff, v4, v3
	v_mul_f32_e32 v1, 0.5, v1
	v_add_f32_e32 v3, 1.0, v3
	s_delay_alu instid0(VALU_DEP_1) | instskip(NEXT) | instid1(VALU_DEP_1)
	v_mul_f32_e32 v1, v1, v3
	v_mul_f32_e32 v3, v0, v1
.LBB145_59:
	s_delay_alu instid0(VALU_DEP_1)
	v_mov_b32_e32 v0, v3
.LBB145_60:
	s_load_b64 s[0:1], s[0:1], 0x38
	s_mul_i32 s2, s6, s27
	s_wait_kmcnt 0x0
	s_mul_i32 s3, s26, s21
	s_wait_alu 0xfffe
	s_add_co_i32 s2, s2, ttmp9
	s_wait_alu 0xfffe
	s_add_co_i32 s2, s2, s3
	s_mov_b32 s3, 0
	s_wait_alu 0xfffe
	s_lshl_b64 s[2:3], s[2:3], 2
	s_wait_alu 0xfffe
	s_add_nc_u64 s[0:1], s[0:1], s[2:3]
	global_store_b32 v2, v0, s[0:1]
.LBB145_61:
	s_endpgm
	.section	.rodata,"a",@progbits
	.p2align	6, 0x0
	.amdhsa_kernel _ZL13mul_mat_vec_qIL9ggml_type14ELi1ELb1ELb1EEvPKvS2_PKi31ggml_cuda_mm_fusion_args_devicePfj15HIP_vector_typeIjLj3EEjjjS8_jjjS8_jjjj
		.amdhsa_group_segment_fixed_size 1792
		.amdhsa_private_segment_fixed_size 0
		.amdhsa_kernarg_size 144
		.amdhsa_user_sgpr_count 2
		.amdhsa_user_sgpr_dispatch_ptr 0
		.amdhsa_user_sgpr_queue_ptr 0
		.amdhsa_user_sgpr_kernarg_segment_ptr 1
		.amdhsa_user_sgpr_dispatch_id 0
		.amdhsa_user_sgpr_private_segment_size 0
		.amdhsa_wavefront_size32 1
		.amdhsa_uses_dynamic_stack 0
		.amdhsa_enable_private_segment 0
		.amdhsa_system_sgpr_workgroup_id_x 1
		.amdhsa_system_sgpr_workgroup_id_y 1
		.amdhsa_system_sgpr_workgroup_id_z 1
		.amdhsa_system_sgpr_workgroup_info 0
		.amdhsa_system_vgpr_workitem_id 1
		.amdhsa_next_free_vgpr 36
		.amdhsa_next_free_sgpr 38
		.amdhsa_reserve_vcc 1
		.amdhsa_float_round_mode_32 0
		.amdhsa_float_round_mode_16_64 0
		.amdhsa_float_denorm_mode_32 3
		.amdhsa_float_denorm_mode_16_64 3
		.amdhsa_fp16_overflow 0
		.amdhsa_workgroup_processor_mode 1
		.amdhsa_memory_ordered 1
		.amdhsa_forward_progress 1
		.amdhsa_inst_pref_size 31
		.amdhsa_round_robin_scheduling 0
		.amdhsa_exception_fp_ieee_invalid_op 0
		.amdhsa_exception_fp_denorm_src 0
		.amdhsa_exception_fp_ieee_div_zero 0
		.amdhsa_exception_fp_ieee_overflow 0
		.amdhsa_exception_fp_ieee_underflow 0
		.amdhsa_exception_fp_ieee_inexact 0
		.amdhsa_exception_int_div_zero 0
	.end_amdhsa_kernel
	.section	.text._ZL13mul_mat_vec_qIL9ggml_type14ELi1ELb1ELb1EEvPKvS2_PKi31ggml_cuda_mm_fusion_args_devicePfj15HIP_vector_typeIjLj3EEjjjS8_jjjS8_jjjj,"axG",@progbits,_ZL13mul_mat_vec_qIL9ggml_type14ELi1ELb1ELb1EEvPKvS2_PKi31ggml_cuda_mm_fusion_args_devicePfj15HIP_vector_typeIjLj3EEjjjS8_jjjS8_jjjj,comdat
.Lfunc_end145:
	.size	_ZL13mul_mat_vec_qIL9ggml_type14ELi1ELb1ELb1EEvPKvS2_PKi31ggml_cuda_mm_fusion_args_devicePfj15HIP_vector_typeIjLj3EEjjjS8_jjjS8_jjjj, .Lfunc_end145-_ZL13mul_mat_vec_qIL9ggml_type14ELi1ELb1ELb1EEvPKvS2_PKi31ggml_cuda_mm_fusion_args_devicePfj15HIP_vector_typeIjLj3EEjjjS8_jjjS8_jjjj
                                        ; -- End function
	.set _ZL13mul_mat_vec_qIL9ggml_type14ELi1ELb1ELb1EEvPKvS2_PKi31ggml_cuda_mm_fusion_args_devicePfj15HIP_vector_typeIjLj3EEjjjS8_jjjS8_jjjj.num_vgpr, 36
	.set _ZL13mul_mat_vec_qIL9ggml_type14ELi1ELb1ELb1EEvPKvS2_PKi31ggml_cuda_mm_fusion_args_devicePfj15HIP_vector_typeIjLj3EEjjjS8_jjjS8_jjjj.num_agpr, 0
	.set _ZL13mul_mat_vec_qIL9ggml_type14ELi1ELb1ELb1EEvPKvS2_PKi31ggml_cuda_mm_fusion_args_devicePfj15HIP_vector_typeIjLj3EEjjjS8_jjjS8_jjjj.numbered_sgpr, 38
	.set _ZL13mul_mat_vec_qIL9ggml_type14ELi1ELb1ELb1EEvPKvS2_PKi31ggml_cuda_mm_fusion_args_devicePfj15HIP_vector_typeIjLj3EEjjjS8_jjjS8_jjjj.num_named_barrier, 0
	.set _ZL13mul_mat_vec_qIL9ggml_type14ELi1ELb1ELb1EEvPKvS2_PKi31ggml_cuda_mm_fusion_args_devicePfj15HIP_vector_typeIjLj3EEjjjS8_jjjS8_jjjj.private_seg_size, 0
	.set _ZL13mul_mat_vec_qIL9ggml_type14ELi1ELb1ELb1EEvPKvS2_PKi31ggml_cuda_mm_fusion_args_devicePfj15HIP_vector_typeIjLj3EEjjjS8_jjjS8_jjjj.uses_vcc, 1
	.set _ZL13mul_mat_vec_qIL9ggml_type14ELi1ELb1ELb1EEvPKvS2_PKi31ggml_cuda_mm_fusion_args_devicePfj15HIP_vector_typeIjLj3EEjjjS8_jjjS8_jjjj.uses_flat_scratch, 0
	.set _ZL13mul_mat_vec_qIL9ggml_type14ELi1ELb1ELb1EEvPKvS2_PKi31ggml_cuda_mm_fusion_args_devicePfj15HIP_vector_typeIjLj3EEjjjS8_jjjS8_jjjj.has_dyn_sized_stack, 0
	.set _ZL13mul_mat_vec_qIL9ggml_type14ELi1ELb1ELb1EEvPKvS2_PKi31ggml_cuda_mm_fusion_args_devicePfj15HIP_vector_typeIjLj3EEjjjS8_jjjS8_jjjj.has_recursion, 0
	.set _ZL13mul_mat_vec_qIL9ggml_type14ELi1ELb1ELb1EEvPKvS2_PKi31ggml_cuda_mm_fusion_args_devicePfj15HIP_vector_typeIjLj3EEjjjS8_jjjS8_jjjj.has_indirect_call, 0
	.section	.AMDGPU.csdata,"",@progbits
; Kernel info:
; codeLenInByte = 3880
; TotalNumSgprs: 40
; NumVgprs: 36
; ScratchSize: 0
; MemoryBound: 0
; FloatMode: 240
; IeeeMode: 1
; LDSByteSize: 1792 bytes/workgroup (compile time only)
; SGPRBlocks: 0
; VGPRBlocks: 4
; NumSGPRsForWavesPerEU: 40
; NumVGPRsForWavesPerEU: 36
; Occupancy: 16
; WaveLimiterHint : 0
; COMPUTE_PGM_RSRC2:SCRATCH_EN: 0
; COMPUTE_PGM_RSRC2:USER_SGPR: 2
; COMPUTE_PGM_RSRC2:TRAP_HANDLER: 0
; COMPUTE_PGM_RSRC2:TGID_X_EN: 1
; COMPUTE_PGM_RSRC2:TGID_Y_EN: 1
; COMPUTE_PGM_RSRC2:TGID_Z_EN: 1
; COMPUTE_PGM_RSRC2:TIDIG_COMP_CNT: 1
	.section	.text._ZL13mul_mat_vec_qIL9ggml_type14ELi1ELb0ELb1EEvPKvS2_PKi31ggml_cuda_mm_fusion_args_devicePfj15HIP_vector_typeIjLj3EEjjjS8_jjjS8_jjjj,"axG",@progbits,_ZL13mul_mat_vec_qIL9ggml_type14ELi1ELb0ELb1EEvPKvS2_PKi31ggml_cuda_mm_fusion_args_devicePfj15HIP_vector_typeIjLj3EEjjjS8_jjjS8_jjjj,comdat
	.globl	_ZL13mul_mat_vec_qIL9ggml_type14ELi1ELb0ELb1EEvPKvS2_PKi31ggml_cuda_mm_fusion_args_devicePfj15HIP_vector_typeIjLj3EEjjjS8_jjjS8_jjjj ; -- Begin function _ZL13mul_mat_vec_qIL9ggml_type14ELi1ELb0ELb1EEvPKvS2_PKi31ggml_cuda_mm_fusion_args_devicePfj15HIP_vector_typeIjLj3EEjjjS8_jjjS8_jjjj
	.p2align	8
	.type	_ZL13mul_mat_vec_qIL9ggml_type14ELi1ELb0ELb1EEvPKvS2_PKi31ggml_cuda_mm_fusion_args_devicePfj15HIP_vector_typeIjLj3EEjjjS8_jjjS8_jjjj,@function
_ZL13mul_mat_vec_qIL9ggml_type14ELi1ELb0ELb1EEvPKvS2_PKi31ggml_cuda_mm_fusion_args_devicePfj15HIP_vector_typeIjLj3EEjjjS8_jjjS8_jjjj: ; @_ZL13mul_mat_vec_qIL9ggml_type14ELi1ELb0ELb1EEvPKvS2_PKi31ggml_cuda_mm_fusion_args_devicePfj15HIP_vector_typeIjLj3EEjjjS8_jjjS8_jjjj
; %bb.0:
	s_clause 0x1
	s_load_b64 s[2:3], s[0:1], 0x10
	s_load_b128 s[8:11], s[0:1], 0x40
	s_and_b32 s15, ttmp7, 0xffff
	s_wait_kmcnt 0x0
	s_cmp_lg_u64 s[2:3], 0
	s_cselect_b32 s12, -1, 0
	s_cmp_eq_u64 s[2:3], 0
	s_cbranch_scc1 .LBB146_15
; %bb.1:
	s_lshl_b32 s4, s15, 2
	s_load_b32 s19, s[2:3], s4 offset:0x0
	s_clause 0x1
	s_load_b128 s[4:7], s[0:1], 0x68
	s_load_b32 s2, s[0:1], 0x50
	s_cbranch_execnz .LBB146_3
.LBB146_2:
	s_load_b64 s[16:17], s[0:1], 0x5c
	s_wait_kmcnt 0x0
	s_mul_hi_u32 s3, s16, s15
	s_delay_alu instid0(SALU_CYCLE_1) | instskip(NEXT) | instid1(SALU_CYCLE_1)
	s_add_co_i32 s3, s15, s3
	s_lshr_b32 s19, s3, s17
.LBB146_3:
	s_load_b32 s20, s[0:1], 0x78
	s_and_not1_b32 vcc_lo, exec_lo, s12
	s_mov_b32 s3, s15
	s_cbranch_vccnz .LBB146_5
; %bb.4:
	s_mul_hi_u32 s3, s9, s15
	s_delay_alu instid0(SALU_CYCLE_1) | instskip(NEXT) | instid1(SALU_CYCLE_1)
	s_add_co_i32 s3, s15, s3
	s_lshr_b32 s3, s3, s10
	s_delay_alu instid0(SALU_CYCLE_1) | instskip(NEXT) | instid1(SALU_CYCLE_1)
	s_mul_i32 s3, s3, s11
	s_sub_co_i32 s3, s15, s3
.LBB146_5:
	s_load_b96 s[12:14], s[0:1], 0x80
	v_bfe_u32 v3, v0, 10, 10
	v_bfe_u32 v1, v0, 5, 5
	v_and_b32_e32 v2, 0x3ff, v0
	s_lshr_b32 s17, s8, 8
	v_mov_b32_e32 v5, 0
	s_lshr_b32 s16, ttmp7, 16
	v_add_nc_u32_e32 v4, v1, v3
	s_mov_b32 s18, exec_lo
	s_delay_alu instid0(VALU_DEP_1)
	v_cmpx_gt_u32_e64 s17, v4
	s_cbranch_execz .LBB146_9
; %bb.6:
	s_wait_kmcnt 0x0
	s_mul_i32 s21, s2, ttmp9
	s_mul_i32 s2, s3, s5
	s_mov_b32 s3, 0
	v_and_b32_e32 v5, 15, v2
	s_mul_u64 s[22:23], s[2:3], 36
	s_load_b128 s[8:11], s[0:1], 0x0
	v_mad_co_u64_u32 v[0:1], null, 0x120, v4, s[22:23]
	s_delay_alu instid0(VALU_DEP_2)
	v_lshrrev_b16 v7, 3, v5
	s_mul_hi_u32 s5, s7, s16
	v_bfe_u32 v6, v2, 4, 1
	s_add_co_i32 s2, s16, s5
	s_mul_i32 s5, s13, s16
	v_and_b32_e32 v7, 0xffff, v7
	s_delay_alu instid0(VALU_DEP_4)
	v_mad_co_u64_u32 v[0:1], null, s5, 36, v[0:1]
	v_lshlrev_b32_e32 v8, 3, v6
	v_and_b32_e32 v9, 7, v2
	v_lshrrev_b16 v5, 2, v5
	v_lshl_or_b32 v6, v6, 2, v7
	v_and_b32_e32 v10, 31, v2
	s_lshr_b32 s2, s2, s20
	s_mul_i32 s4, s19, s4
	v_and_b32_e32 v12, 0xffff, v5
	v_mad_co_u64_u32 v[0:1], null, v6, 36, v[0:1]
	v_mov_b32_e32 v5, 0
	v_or_b32_e32 v11, v8, v9
	v_lshlrev_b32_e32 v10, 1, v10
	s_mul_i32 s2, s2, s12
	v_lshlrev_b32_e32 v6, 1, v7
	v_or_b32_e32 v7, v8, v12
	v_lshlrev_b32_e32 v11, 1, v11
	s_wait_kmcnt 0x0
	v_add_co_u32 v0, vcc_lo, s10, v0
	v_lshlrev_b32_e32 v8, 2, v9
	v_add_co_ci_u32_e64 v1, null, s11, v1, vcc_lo
	v_lshlrev_b32_e32 v9, 1, v10
	v_lshlrev_b32_e32 v10, 1, v11
	s_add_co_i32 s2, s2, s21
	s_wait_alu 0xfffe
	s_add_co_i32 s4, s4, s2
.LBB146_7:                              ; =>This Inner Loop Header: Depth=1
	s_wait_alu 0xfffe
	v_add_nc_u32_e32 v11, s4, v4
	v_add_nc_u32_e32 v4, 8, v4
	s_delay_alu instid0(VALU_DEP_2) | instskip(NEXT) | instid1(VALU_DEP_2)
	v_mad_co_i64_i32 v[11:12], null, 0xd2, v11, s[8:9]
	v_cmp_le_u32_e64 s2, s17, v4
	s_or_b32 s3, s2, s3
	v_add_co_u32 v13, vcc_lo, v11, v10
	s_wait_alu 0xfffd
	v_add_co_ci_u32_e64 v14, null, 0, v12, vcc_lo
	v_add_co_u32 v15, vcc_lo, v11, v9
	s_wait_alu 0xfffd
	v_add_co_ci_u32_e64 v16, null, 0, v12, vcc_lo
	s_clause 0x1
	global_load_b32 v17, v[13:14], off offset:128
	global_load_b32 v18, v[15:16], off
	v_add_co_u32 v13, vcc_lo, v0, v8
	s_wait_alu 0xfffd
	v_add_co_ci_u32_e64 v14, null, 0, v1, vcc_lo
	v_add_co_u32 v15, vcc_lo, v11, v7
	s_wait_alu 0xfffd
	v_add_co_ci_u32_e64 v16, null, 0, v12, vcc_lo
	s_clause 0x1
	global_load_b32 v19, v[13:14], off offset:4
	global_load_b32 v13, v[13:14], off offset:76
	s_clause 0x1
	global_load_i8 v14, v[15:16], off offset:192
	global_load_i8 v15, v[15:16], off offset:196
	s_clause 0x1
	global_load_b32 v16, v[0:1], off
	global_load_b32 v20, v[0:1], off offset:72
	global_load_u16 v11, v[11:12], off offset:208
	v_add_co_u32 v0, vcc_lo, 0x900, v0
	s_wait_alu 0xfffd
	v_add_co_ci_u32_e64 v1, null, 0, v1, vcc_lo
	s_wait_loadcnt 0x8
	v_ashrrev_i32_e32 v12, v6, v17
	s_wait_loadcnt 0x7
	v_lshrrev_b32_e32 v17, 4, v18
	v_and_b32_e32 v18, 0xf0f0f0f, v18
	s_delay_alu instid0(VALU_DEP_3) | instskip(NEXT) | instid1(VALU_DEP_3)
	v_lshlrev_b32_e32 v21, 4, v12
	v_and_b32_e32 v17, 0xf0f0f0f, v17
	s_delay_alu instid0(VALU_DEP_2) | instskip(NEXT) | instid1(VALU_DEP_2)
	v_and_or_b32 v18, 0x30303030, v21, v18
	v_and_or_b32 v12, 0x30303030, v12, v17
	s_delay_alu instid0(VALU_DEP_2) | instskip(SKIP_2) | instid1(VALU_DEP_4)
	v_lshrrev_b32_e32 v17, 16, v18
	v_and_b32_e32 v21, 0x3f00, v18
	v_lshlrev_b16 v18, 8, v18
	v_lshrrev_b32_e32 v22, 16, v12
	v_lshlrev_b16 v23, 8, v12
	v_lshlrev_b16 v24, 8, v17
	v_and_b32_e32 v17, 0x3f00, v17
	v_add_nc_u16 v18, 0xe000, v18
	v_lshlrev_b16 v25, 8, v22
	v_add_nc_u16 v23, 0xe000, v23
	v_add_nc_u16 v24, 0xe000, v24
	v_and_b32_e32 v12, 0x3f00, v12
	v_lshrrev_b16 v18, 8, v18
	v_add_nc_u16 v25, 0xe000, v25
	v_and_b32_e32 v22, 0x3f00, v22
	v_lshrrev_b16 v24, 8, v24
	v_lshrrev_b16 v23, 8, v23
	v_or_b32_e32 v18, v21, v18
	v_lshrrev_b16 v21, 8, v25
	s_delay_alu instid0(VALU_DEP_4) | instskip(NEXT) | instid1(VALU_DEP_4)
	v_or_b32_e32 v17, v17, v24
	v_or_b32_e32 v12, v12, v23
	s_delay_alu instid0(VALU_DEP_4) | instskip(NEXT) | instid1(VALU_DEP_4)
	v_add_nc_u16 v18, 0xe000, v18
	v_or_b32_e32 v21, v22, v21
	s_delay_alu instid0(VALU_DEP_4) | instskip(NEXT) | instid1(VALU_DEP_4)
	v_add_nc_u16 v17, 0xe000, v17
	v_add_nc_u16 v12, 0xe000, v12
	s_delay_alu instid0(VALU_DEP_4) | instskip(NEXT) | instid1(VALU_DEP_4)
	v_and_b32_e32 v18, 0xffff, v18
	v_add_nc_u16 v21, 0xe000, v21
	s_delay_alu instid0(VALU_DEP_4) | instskip(NEXT) | instid1(VALU_DEP_4)
	v_lshlrev_b32_e32 v17, 16, v17
	v_and_b32_e32 v12, 0xffff, v12
	s_delay_alu instid0(VALU_DEP_3) | instskip(NEXT) | instid1(VALU_DEP_3)
	v_lshlrev_b32_e32 v21, 16, v21
	v_or_b32_e32 v17, v18, v17
	s_delay_alu instid0(VALU_DEP_2) | instskip(SKIP_1) | instid1(VALU_DEP_2)
	v_or_b32_e32 v12, v12, v21
	s_wait_loadcnt 0x6
	v_dot4_i32_iu8 v17, v17, v19, 0 neg_lo:[1,1,0]
	s_wait_loadcnt 0x5
	s_delay_alu instid0(VALU_DEP_2) | instskip(SKIP_1) | instid1(VALU_DEP_2)
	v_dot4_i32_iu8 v12, v12, v13, 0 neg_lo:[1,1,0]
	s_wait_loadcnt 0x4
	v_mul_lo_u32 v13, v17, v14
	s_wait_loadcnt 0x3
	s_delay_alu instid0(VALU_DEP_2) | instskip(NEXT) | instid1(VALU_DEP_2)
	v_mul_lo_u32 v12, v12, v15
	v_cvt_f32_i32_e32 v13, v13
	s_delay_alu instid0(VALU_DEP_2) | instskip(SKIP_1) | instid1(VALU_DEP_2)
	v_cvt_f32_i32_e32 v12, v12
	s_wait_loadcnt 0x2
	v_fma_mix_f32 v13, v16, v13, 0 op_sel_hi:[1,0,0]
	s_wait_loadcnt 0x1
	s_delay_alu instid0(VALU_DEP_1) | instskip(SKIP_1) | instid1(VALU_DEP_1)
	v_fma_mix_f32 v12, v20, v12, v13 op_sel_hi:[1,0,0]
	s_wait_loadcnt 0x0
	v_fma_mix_f32 v5, v12, v11, v5 op_sel_hi:[0,1,0]
	s_and_not1_b32 exec_lo, exec_lo, s3
	s_cbranch_execnz .LBB146_7
; %bb.8:
	s_or_b32 exec_lo, exec_lo, s3
.LBB146_9:
	s_delay_alu instid0(SALU_CYCLE_1)
	s_or_b32 exec_lo, exec_lo, s18
	v_lshlrev_b32_e32 v0, 2, v2
	s_mov_b32 s3, exec_lo
	v_cmp_eq_u32_e32 vcc_lo, 0, v3
	v_cmpx_ne_u32_e32 0, v3
; %bb.10:
	v_lshlrev_b32_e32 v1, 7, v3
	s_delay_alu instid0(VALU_DEP_1)
	v_add3_u32 v1, v1, v0, 0xffffff80
	ds_store_b32 v1, v5
; %bb.11:
	s_or_b32 exec_lo, exec_lo, s3
	s_wait_dscnt 0x0
	s_barrier_signal -1
	s_barrier_wait -1
	global_inv scope:SCOPE_SE
	s_wait_kmcnt 0x0
	s_and_saveexec_b32 s2, vcc_lo
	s_cbranch_execz .LBB146_14
; %bb.12:
	ds_load_2addr_b32 v[3:4], v0 offset1:32
	ds_load_2addr_b32 v[6:7], v0 offset0:64 offset1:96
	ds_load_2addr_b32 v[8:9], v0 offset0:128 offset1:160
	ds_load_b32 v0, v0 offset:768
	s_mov_b32 s3, 0
	s_wait_dscnt 0x3
	v_add_f32_e32 v1, v5, v3
	v_mbcnt_lo_u32_b32 v3, -1, 0
	s_delay_alu instid0(VALU_DEP_2) | instskip(NEXT) | instid1(VALU_DEP_2)
	v_add_f32_e32 v1, v1, v4
	v_xor_b32_e32 v4, 16, v3
	s_wait_dscnt 0x2
	s_delay_alu instid0(VALU_DEP_2) | instskip(NEXT) | instid1(VALU_DEP_2)
	v_add_f32_e32 v1, v1, v6
	v_cmp_gt_i32_e32 vcc_lo, 32, v4
	s_wait_alu 0xfffd
	s_delay_alu instid0(VALU_DEP_2) | instskip(SKIP_1) | instid1(VALU_DEP_1)
	v_dual_add_f32 v1, v1, v7 :: v_dual_cndmask_b32 v4, v3, v4
	s_wait_dscnt 0x1
	v_add_f32_e32 v1, v1, v8
	s_delay_alu instid0(VALU_DEP_1) | instskip(SKIP_1) | instid1(VALU_DEP_1)
	v_add_f32_e32 v1, v1, v9
	s_wait_dscnt 0x0
	v_add_f32_e32 v0, v1, v0
	v_lshlrev_b32_e32 v1, 2, v4
	v_xor_b32_e32 v4, 8, v3
	ds_bpermute_b32 v1, v1, v0
	v_cmp_gt_i32_e32 vcc_lo, 32, v4
	s_wait_alu 0xfffd
	v_cndmask_b32_e32 v4, v3, v4, vcc_lo
	s_delay_alu instid0(VALU_DEP_1) | instskip(SKIP_4) | instid1(VALU_DEP_1)
	v_lshlrev_b32_e32 v4, 2, v4
	s_wait_dscnt 0x0
	v_add_f32_e32 v0, v0, v1
	ds_bpermute_b32 v1, v4, v0
	v_xor_b32_e32 v4, 4, v3
	v_cmp_gt_i32_e32 vcc_lo, 32, v4
	s_wait_alu 0xfffd
	v_cndmask_b32_e32 v4, v3, v4, vcc_lo
	s_delay_alu instid0(VALU_DEP_1) | instskip(SKIP_4) | instid1(VALU_DEP_1)
	v_lshlrev_b32_e32 v4, 2, v4
	s_wait_dscnt 0x0
	v_add_f32_e32 v0, v0, v1
	ds_bpermute_b32 v1, v4, v0
	v_xor_b32_e32 v4, 2, v3
	;; [unrolled: 9-line block ×3, first 2 shown]
	v_cmp_gt_i32_e32 vcc_lo, 32, v4
	s_wait_alu 0xfffd
	v_cndmask_b32_e32 v3, v3, v4, vcc_lo
	v_cmp_eq_u32_e32 vcc_lo, 0, v2
	s_wait_dscnt 0x0
	s_delay_alu instid0(VALU_DEP_2)
	v_dual_add_f32 v0, v0, v1 :: v_dual_lshlrev_b32 v3, 2, v3
	ds_bpermute_b32 v1, v3, v0
	s_and_b32 exec_lo, exec_lo, vcc_lo
	s_cbranch_execz .LBB146_14
; %bb.13:
	s_load_b64 s[0:1], s[0:1], 0x38
	s_mul_i32 s2, s6, s15
	s_mul_i32 s4, s14, s16
	s_add_co_i32 s2, s2, ttmp9
	v_mov_b32_e32 v2, 0
	s_wait_alu 0xfffe
	s_add_co_i32 s2, s2, s4
	s_wait_dscnt 0x0
	v_add_f32_e32 v0, v0, v1
	s_lshl_b64 s[2:3], s[2:3], 2
	s_wait_kmcnt 0x0
	s_add_nc_u64 s[0:1], s[0:1], s[2:3]
	global_store_b32 v2, v0, s[0:1]
.LBB146_14:
	s_endpgm
.LBB146_15:
                                        ; implicit-def: $sgpr19
	s_clause 0x1
	s_load_b128 s[4:7], s[0:1], 0x68
	s_load_b32 s2, s[0:1], 0x50
	s_branch .LBB146_2
	.section	.rodata,"a",@progbits
	.p2align	6, 0x0
	.amdhsa_kernel _ZL13mul_mat_vec_qIL9ggml_type14ELi1ELb0ELb1EEvPKvS2_PKi31ggml_cuda_mm_fusion_args_devicePfj15HIP_vector_typeIjLj3EEjjjS8_jjjS8_jjjj
		.amdhsa_group_segment_fixed_size 896
		.amdhsa_private_segment_fixed_size 0
		.amdhsa_kernarg_size 144
		.amdhsa_user_sgpr_count 2
		.amdhsa_user_sgpr_dispatch_ptr 0
		.amdhsa_user_sgpr_queue_ptr 0
		.amdhsa_user_sgpr_kernarg_segment_ptr 1
		.amdhsa_user_sgpr_dispatch_id 0
		.amdhsa_user_sgpr_private_segment_size 0
		.amdhsa_wavefront_size32 1
		.amdhsa_uses_dynamic_stack 0
		.amdhsa_enable_private_segment 0
		.amdhsa_system_sgpr_workgroup_id_x 1
		.amdhsa_system_sgpr_workgroup_id_y 1
		.amdhsa_system_sgpr_workgroup_id_z 1
		.amdhsa_system_sgpr_workgroup_info 0
		.amdhsa_system_vgpr_workitem_id 1
		.amdhsa_next_free_vgpr 26
		.amdhsa_next_free_sgpr 24
		.amdhsa_reserve_vcc 1
		.amdhsa_float_round_mode_32 0
		.amdhsa_float_round_mode_16_64 0
		.amdhsa_float_denorm_mode_32 3
		.amdhsa_float_denorm_mode_16_64 3
		.amdhsa_fp16_overflow 0
		.amdhsa_workgroup_processor_mode 1
		.amdhsa_memory_ordered 1
		.amdhsa_forward_progress 1
		.amdhsa_inst_pref_size 14
		.amdhsa_round_robin_scheduling 0
		.amdhsa_exception_fp_ieee_invalid_op 0
		.amdhsa_exception_fp_denorm_src 0
		.amdhsa_exception_fp_ieee_div_zero 0
		.amdhsa_exception_fp_ieee_overflow 0
		.amdhsa_exception_fp_ieee_underflow 0
		.amdhsa_exception_fp_ieee_inexact 0
		.amdhsa_exception_int_div_zero 0
	.end_amdhsa_kernel
	.section	.text._ZL13mul_mat_vec_qIL9ggml_type14ELi1ELb0ELb1EEvPKvS2_PKi31ggml_cuda_mm_fusion_args_devicePfj15HIP_vector_typeIjLj3EEjjjS8_jjjS8_jjjj,"axG",@progbits,_ZL13mul_mat_vec_qIL9ggml_type14ELi1ELb0ELb1EEvPKvS2_PKi31ggml_cuda_mm_fusion_args_devicePfj15HIP_vector_typeIjLj3EEjjjS8_jjjS8_jjjj,comdat
.Lfunc_end146:
	.size	_ZL13mul_mat_vec_qIL9ggml_type14ELi1ELb0ELb1EEvPKvS2_PKi31ggml_cuda_mm_fusion_args_devicePfj15HIP_vector_typeIjLj3EEjjjS8_jjjS8_jjjj, .Lfunc_end146-_ZL13mul_mat_vec_qIL9ggml_type14ELi1ELb0ELb1EEvPKvS2_PKi31ggml_cuda_mm_fusion_args_devicePfj15HIP_vector_typeIjLj3EEjjjS8_jjjS8_jjjj
                                        ; -- End function
	.set _ZL13mul_mat_vec_qIL9ggml_type14ELi1ELb0ELb1EEvPKvS2_PKi31ggml_cuda_mm_fusion_args_devicePfj15HIP_vector_typeIjLj3EEjjjS8_jjjS8_jjjj.num_vgpr, 26
	.set _ZL13mul_mat_vec_qIL9ggml_type14ELi1ELb0ELb1EEvPKvS2_PKi31ggml_cuda_mm_fusion_args_devicePfj15HIP_vector_typeIjLj3EEjjjS8_jjjS8_jjjj.num_agpr, 0
	.set _ZL13mul_mat_vec_qIL9ggml_type14ELi1ELb0ELb1EEvPKvS2_PKi31ggml_cuda_mm_fusion_args_devicePfj15HIP_vector_typeIjLj3EEjjjS8_jjjS8_jjjj.numbered_sgpr, 24
	.set _ZL13mul_mat_vec_qIL9ggml_type14ELi1ELb0ELb1EEvPKvS2_PKi31ggml_cuda_mm_fusion_args_devicePfj15HIP_vector_typeIjLj3EEjjjS8_jjjS8_jjjj.num_named_barrier, 0
	.set _ZL13mul_mat_vec_qIL9ggml_type14ELi1ELb0ELb1EEvPKvS2_PKi31ggml_cuda_mm_fusion_args_devicePfj15HIP_vector_typeIjLj3EEjjjS8_jjjS8_jjjj.private_seg_size, 0
	.set _ZL13mul_mat_vec_qIL9ggml_type14ELi1ELb0ELb1EEvPKvS2_PKi31ggml_cuda_mm_fusion_args_devicePfj15HIP_vector_typeIjLj3EEjjjS8_jjjS8_jjjj.uses_vcc, 1
	.set _ZL13mul_mat_vec_qIL9ggml_type14ELi1ELb0ELb1EEvPKvS2_PKi31ggml_cuda_mm_fusion_args_devicePfj15HIP_vector_typeIjLj3EEjjjS8_jjjS8_jjjj.uses_flat_scratch, 0
	.set _ZL13mul_mat_vec_qIL9ggml_type14ELi1ELb0ELb1EEvPKvS2_PKi31ggml_cuda_mm_fusion_args_devicePfj15HIP_vector_typeIjLj3EEjjjS8_jjjS8_jjjj.has_dyn_sized_stack, 0
	.set _ZL13mul_mat_vec_qIL9ggml_type14ELi1ELb0ELb1EEvPKvS2_PKi31ggml_cuda_mm_fusion_args_devicePfj15HIP_vector_typeIjLj3EEjjjS8_jjjS8_jjjj.has_recursion, 0
	.set _ZL13mul_mat_vec_qIL9ggml_type14ELi1ELb0ELb1EEvPKvS2_PKi31ggml_cuda_mm_fusion_args_devicePfj15HIP_vector_typeIjLj3EEjjjS8_jjjS8_jjjj.has_indirect_call, 0
	.section	.AMDGPU.csdata,"",@progbits
; Kernel info:
; codeLenInByte = 1672
; TotalNumSgprs: 26
; NumVgprs: 26
; ScratchSize: 0
; MemoryBound: 0
; FloatMode: 240
; IeeeMode: 1
; LDSByteSize: 896 bytes/workgroup (compile time only)
; SGPRBlocks: 0
; VGPRBlocks: 3
; NumSGPRsForWavesPerEU: 26
; NumVGPRsForWavesPerEU: 26
; Occupancy: 16
; WaveLimiterHint : 0
; COMPUTE_PGM_RSRC2:SCRATCH_EN: 0
; COMPUTE_PGM_RSRC2:USER_SGPR: 2
; COMPUTE_PGM_RSRC2:TRAP_HANDLER: 0
; COMPUTE_PGM_RSRC2:TGID_X_EN: 1
; COMPUTE_PGM_RSRC2:TGID_Y_EN: 1
; COMPUTE_PGM_RSRC2:TGID_Z_EN: 1
; COMPUTE_PGM_RSRC2:TIDIG_COMP_CNT: 1
	.section	.text._ZL13mul_mat_vec_qIL9ggml_type14ELi1ELb1ELb0EEvPKvS2_PKi31ggml_cuda_mm_fusion_args_devicePfj15HIP_vector_typeIjLj3EEjjjS8_jjjS8_jjjj,"axG",@progbits,_ZL13mul_mat_vec_qIL9ggml_type14ELi1ELb1ELb0EEvPKvS2_PKi31ggml_cuda_mm_fusion_args_devicePfj15HIP_vector_typeIjLj3EEjjjS8_jjjS8_jjjj,comdat
	.globl	_ZL13mul_mat_vec_qIL9ggml_type14ELi1ELb1ELb0EEvPKvS2_PKi31ggml_cuda_mm_fusion_args_devicePfj15HIP_vector_typeIjLj3EEjjjS8_jjjS8_jjjj ; -- Begin function _ZL13mul_mat_vec_qIL9ggml_type14ELi1ELb1ELb0EEvPKvS2_PKi31ggml_cuda_mm_fusion_args_devicePfj15HIP_vector_typeIjLj3EEjjjS8_jjjS8_jjjj
	.p2align	8
	.type	_ZL13mul_mat_vec_qIL9ggml_type14ELi1ELb1ELb0EEvPKvS2_PKi31ggml_cuda_mm_fusion_args_devicePfj15HIP_vector_typeIjLj3EEjjjS8_jjjS8_jjjj,@function
_ZL13mul_mat_vec_qIL9ggml_type14ELi1ELb1ELb0EEvPKvS2_PKi31ggml_cuda_mm_fusion_args_devicePfj15HIP_vector_typeIjLj3EEjjjS8_jjjS8_jjjj: ; @_ZL13mul_mat_vec_qIL9ggml_type14ELi1ELb1ELb0EEvPKvS2_PKi31ggml_cuda_mm_fusion_args_devicePfj15HIP_vector_typeIjLj3EEjjjS8_jjjS8_jjjj
; %bb.0:
	s_clause 0x3
	s_load_b256 s[8:15], s[0:1], 0x0
	s_load_b128 s[16:19], s[0:1], 0x20
	s_load_b128 s[20:23], s[0:1], 0x40
	;; [unrolled: 1-line block ×3, first 2 shown]
	s_and_b32 s27, ttmp7, 0xffff
	s_wait_kmcnt 0x0
	s_cmp_lg_u64 s[12:13], 0
	s_cselect_b32 s2, -1, 0
	s_cmp_eq_u64 s[12:13], 0
	s_cbranch_scc1 .LBB147_42
; %bb.1:
	s_lshl_b32 s3, s27, 2
	s_load_b32 s28, s[12:13], s3 offset:0x0
	s_clause 0x1
	s_load_b32 s29, s[0:1], 0x50
	s_load_b32 s30, s[0:1], 0x78
	s_cbranch_execnz .LBB147_3
.LBB147_2:
	s_load_b64 s[12:13], s[0:1], 0x5c
	s_wait_kmcnt 0x0
	s_mul_hi_u32 s3, s12, s27
	s_delay_alu instid0(SALU_CYCLE_1) | instskip(NEXT) | instid1(SALU_CYCLE_1)
	s_add_co_i32 s3, s27, s3
	s_lshr_b32 s28, s3, s13
.LBB147_3:
	s_and_not1_b32 vcc_lo, exec_lo, s2
	s_mov_b32 s3, s27
	s_mov_b32 s31, s27
	s_cbranch_vccnz .LBB147_5
; %bb.4:
	s_mul_hi_u32 s2, s21, s27
	s_wait_kmcnt 0x0
	s_mov_b32 s3, s28
	s_add_co_i32 s2, s27, s2
	s_delay_alu instid0(SALU_CYCLE_1) | instskip(NEXT) | instid1(SALU_CYCLE_1)
	s_lshr_b32 s2, s2, s22
	s_mul_i32 s2, s2, s23
	s_delay_alu instid0(SALU_CYCLE_1)
	s_sub_co_i32 s31, s27, s2
.LBB147_5:
	s_load_b96 s[24:26], s[0:1], 0x80
	v_bfe_u32 v8, v0, 10, 10
	v_dual_mov_b32 v4, 0 :: v_dual_and_b32 v3, 0x3ff, v0
	s_lshr_b32 s21, ttmp7, 16
	s_cmp_lg_u64 s[14:15], 0
	s_delay_alu instid0(VALU_DEP_1) | instskip(SKIP_4) | instid1(VALU_DEP_1)
	v_dual_mov_b32 v5, 0 :: v_dual_lshlrev_b32 v2, 2, v3
	v_or_b32_e32 v0, v3, v8
	s_cselect_b32 s2, -1, 0
	s_mov_b32 s23, 0
	s_mul_i32 s12, s3, s6
	v_cmp_eq_u32_e32 vcc_lo, 0, v0
	s_and_b32 s13, s2, vcc_lo
	s_delay_alu instid0(SALU_CYCLE_1)
	s_and_saveexec_b32 s3, s13
	s_cbranch_execz .LBB147_7
; %bb.6:
	s_wait_kmcnt 0x0
	s_mul_i32 s22, s26, s21
	s_mov_b32 s13, s23
	s_lshl_b64 s[36:37], s[22:23], 2
	s_mov_b32 s34, ttmp9
	s_add_nc_u64 s[14:15], s[14:15], s[36:37]
	s_lshl_b64 s[22:23], s[12:13], 2
	s_ashr_i32 s35, ttmp9, 31
	s_add_nc_u64 s[14:15], s[14:15], s[22:23]
	s_lshl_b64 s[22:23], s[34:35], 2
	s_delay_alu instid0(SALU_CYCLE_1)
	s_add_nc_u64 s[14:15], s[14:15], s[22:23]
	global_load_b32 v5, v2, s[14:15]
.LBB147_7:
	s_or_b32 exec_lo, exec_lo, s3
	s_cmp_lg_u64 s[16:17], 0
	s_cselect_b32 s14, -1, 0
	s_cmp_lg_u64 s[18:19], 0
	s_cselect_b32 s3, -1, 0
	s_delay_alu instid0(SALU_CYCLE_1) | instskip(NEXT) | instid1(SALU_CYCLE_1)
	s_and_b32 s13, s3, s14
	s_and_b32 s13, s13, vcc_lo
	s_delay_alu instid0(SALU_CYCLE_1)
	s_and_saveexec_b32 s15, s13
	s_cbranch_execz .LBB147_9
; %bb.8:
	s_wait_kmcnt 0x0
	s_mul_i32 s34, s26, s21
	s_mov_b32 s35, 0
	s_mov_b32 s22, ttmp9
	s_lshl_b64 s[36:37], s[34:35], 2
	s_mov_b32 s13, s35
	s_add_nc_u64 s[18:19], s[18:19], s[36:37]
	s_lshl_b64 s[12:13], s[12:13], 2
	s_ashr_i32 s23, ttmp9, 31
	s_add_nc_u64 s[12:13], s[18:19], s[12:13]
	s_lshl_b64 s[18:19], s[22:23], 2
	s_delay_alu instid0(SALU_CYCLE_1)
	s_add_nc_u64 s[12:13], s[12:13], s[18:19]
	global_load_b32 v4, v2, s[12:13]
.LBB147_9:
	s_or_b32 exec_lo, exec_lo, s15
	v_lshrrev_b32_e32 v0, 5, v3
	v_cndmask_b32_e64 v6, 0, 1, s14
	v_mov_b32_e32 v7, 0
	s_lshr_b32 s15, s20, 8
	s_mov_b32 s18, exec_lo
	v_dual_mov_b32 v9, 0 :: v_dual_add_nc_u32 v10, v0, v8
	s_wait_alu 0xfffe
	s_delay_alu instid0(VALU_DEP_1)
	v_cmpx_gt_u32_e64 s15, v10
	s_cbranch_execz .LBB147_15
; %bb.10:
	s_mul_i32 s12, s31, s5
	s_mov_b32 s13, 0
	v_and_b32_e32 v7, 15, v3
	s_mul_u64 s[22:23], s[12:13], 36
	s_mul_hi_u32 s7, s7, s21
	v_mad_co_u64_u32 v[0:1], null, 0x120, v10, s[22:23]
	s_delay_alu instid0(VALU_DEP_2)
	v_lshrrev_b16 v11, 3, v7
	s_add_co_i32 s5, s21, s7
	v_bfe_u32 v9, v3, 4, 1
	s_wait_kmcnt 0x0
	s_mul_i32 s7, s25, s21
	v_and_b32_e32 v13, 7, v3
	v_and_b32_e32 v11, 0xffff, v11
	v_mad_co_u64_u32 v[0:1], null, s7, 36, v[0:1]
	v_lshlrev_b32_e32 v12, 3, v9
	v_lshrrev_b16 v7, 2, v7
	s_delay_alu instid0(VALU_DEP_4)
	v_lshl_or_b32 v9, v9, 2, v11
	v_and_b32_e32 v14, 31, v3
	s_lshr_b32 s5, s5, s30
	s_mul_i32 s29, s29, ttmp9
	v_and_b32_e32 v7, 0xffff, v7
	v_mad_co_u64_u32 v[0:1], null, v9, 36, v[0:1]
	v_mov_b32_e32 v9, 0
	v_or_b32_e32 v15, v12, v13
	s_delay_alu instid0(VALU_DEP_4) | instskip(SKIP_2) | instid1(VALU_DEP_3)
	v_or_b32_e32 v12, v12, v7
	v_dual_mov_b32 v7, 0 :: v_dual_lshlrev_b32 v14, 1, v14
	s_mul_i32 s5, s5, s24
	v_lshlrev_b32_e32 v15, 1, v15
	v_add_co_u32 v0, vcc_lo, s10, v0
	v_lshlrev_b32_e32 v11, 1, v11
	v_lshlrev_b32_e32 v13, 2, v13
	v_add_co_ci_u32_e64 v1, null, s11, v1, vcc_lo
	v_lshlrev_b32_e32 v14, 1, v14
	v_lshlrev_b32_e32 v15, 1, v15
	s_mul_i32 s4, s28, s4
	s_add_co_i32 s5, s5, s29
	s_delay_alu instid0(SALU_CYCLE_1)
	s_add_co_i32 s5, s4, s5
	s_branch .LBB147_12
.LBB147_11:                             ;   in Loop: Header=BB147_12 Depth=1
	s_wait_loadcnt 0x3
	v_ashrrev_i32_e32 v24, v11, v24
	v_and_b32_e32 v25, 0xf0f0f0f, v23
	v_lshrrev_b32_e32 v23, 4, v23
	s_wait_loadcnt 0x1
	v_bfe_i32 v22, v22, 0, 8
	s_wait_loadcnt 0x0
	v_bfe_i32 v21, v21, 0, 8
	v_lshlrev_b32_e32 v26, 4, v24
	v_add_nc_u32_e32 v10, 8, v10
	v_and_b32_e32 v23, 0xf0f0f0f, v23
	v_add_co_u32 v0, s4, 0x900, v0
	s_delay_alu instid0(VALU_DEP_4) | instskip(NEXT) | instid1(VALU_DEP_4)
	v_and_or_b32 v25, 0x30303030, v26, v25
	v_cmp_le_u32_e32 vcc_lo, s15, v10
	s_delay_alu instid0(VALU_DEP_4)
	v_and_or_b32 v23, 0x30303030, v24, v23
	s_wait_alu 0xf1ff
	v_add_co_ci_u32_e64 v1, null, 0, v1, s4
	v_lshrrev_b32_e32 v24, 16, v25
	v_and_b32_e32 v26, 0x3f00, v25
	v_lshlrev_b16 v25, 8, v25
	v_lshrrev_b32_e32 v27, 16, v23
	v_and_b32_e32 v29, 0x3f00, v23
	v_lshlrev_b16 v28, 8, v24
	v_lshlrev_b16 v23, 8, v23
	v_add_nc_u16 v25, 0xe000, v25
	v_lshlrev_b16 v30, 8, v27
	v_and_b32_e32 v24, 0x3f00, v24
	v_add_nc_u16 v28, 0xe000, v28
	v_add_nc_u16 v23, 0xe000, v23
	v_lshrrev_b16 v25, 8, v25
	v_add_nc_u16 v30, 0xe000, v30
	v_and_b32_e32 v27, 0x3f00, v27
	v_lshrrev_b16 v28, 8, v28
	v_lshrrev_b16 v23, 8, v23
	v_or_b32_e32 v25, v26, v25
	v_lshrrev_b16 v26, 8, v30
	s_or_b32 s13, vcc_lo, s13
	v_or_b32_e32 v24, v24, v28
	v_or_b32_e32 v23, v29, v23
	v_add_nc_u16 v25, 0xe000, v25
	v_or_b32_e32 v26, v27, v26
	s_delay_alu instid0(VALU_DEP_4) | instskip(NEXT) | instid1(VALU_DEP_4)
	v_add_nc_u16 v24, 0xe000, v24
	v_add_nc_u16 v23, 0xe000, v23
	s_delay_alu instid0(VALU_DEP_4) | instskip(NEXT) | instid1(VALU_DEP_4)
	v_and_b32_e32 v25, 0xffff, v25
	v_add_nc_u16 v26, 0xe000, v26
	s_delay_alu instid0(VALU_DEP_4) | instskip(NEXT) | instid1(VALU_DEP_4)
	v_lshlrev_b32_e32 v24, 16, v24
	v_and_b32_e32 v23, 0xffff, v23
	s_delay_alu instid0(VALU_DEP_3) | instskip(NEXT) | instid1(VALU_DEP_3)
	v_lshlrev_b32_e32 v26, 16, v26
	v_or_b32_e32 v24, v25, v24
	s_delay_alu instid0(VALU_DEP_2) | instskip(NEXT) | instid1(VALU_DEP_2)
	v_or_b32_e32 v23, v23, v26
	v_dot4_i32_iu8 v17, v24, v17, 0 neg_lo:[1,1,0]
	s_delay_alu instid0(VALU_DEP_2) | instskip(NEXT) | instid1(VALU_DEP_2)
	v_dot4_i32_iu8 v18, v23, v18, 0 neg_lo:[1,1,0]
	v_mul_lo_u32 v17, v17, v22
	s_delay_alu instid0(VALU_DEP_2) | instskip(NEXT) | instid1(VALU_DEP_2)
	v_mul_lo_u32 v18, v18, v21
	v_cvt_f32_i32_e32 v17, v17
	s_delay_alu instid0(VALU_DEP_2) | instskip(NEXT) | instid1(VALU_DEP_2)
	v_cvt_f32_i32_e32 v18, v18
	v_fma_f32 v17, v20, v17, 0
	s_delay_alu instid0(VALU_DEP_1) | instskip(NEXT) | instid1(VALU_DEP_1)
	v_fmac_f32_e32 v17, v19, v18
	v_fma_mix_f32 v9, v17, v16, v9 op_sel_hi:[0,1,0]
	s_and_not1_b32 exec_lo, exec_lo, s13
	s_cbranch_execz .LBB147_14
.LBB147_12:                             ; =>This Inner Loop Header: Depth=1
	v_add_nc_u32_e32 v25, s5, v10
	v_add_co_u32 v21, vcc_lo, v0, v13
	s_wait_alu 0xfffd
	v_add_co_ci_u32_e64 v22, null, 0, v1, vcc_lo
	s_delay_alu instid0(VALU_DEP_3)
	v_mad_co_i64_i32 v[19:20], null, 0xd2, v25, s[8:9]
	s_clause 0x1
	global_load_b32 v17, v[21:22], off offset:4
	global_load_b32 v18, v[21:22], off offset:76
	v_add_co_u32 v23, vcc_lo, v19, v14
	s_wait_alu 0xfffd
	v_add_co_ci_u32_e64 v24, null, 0, v20, vcc_lo
	v_add_co_u32 v26, vcc_lo, v19, v15
	s_wait_alu 0xfffd
	v_add_co_ci_u32_e64 v27, null, 0, v20, vcc_lo
	;; [unrolled: 3-line block ×3, first 2 shown]
	s_clause 0x1
	global_load_b32 v30, v[0:1], off
	global_load_b32 v31, v[0:1], off offset:72
	s_clause 0x4
	global_load_b32 v23, v[23:24], off
	global_load_b32 v24, v[26:27], off offset:128
	global_load_u16 v16, v[19:20], off offset:208
	global_load_u8 v22, v[28:29], off offset:192
	global_load_u8 v21, v[28:29], off offset:196
	s_and_not1_b32 vcc_lo, exec_lo, s14
	s_wait_loadcnt 0x6
	v_cvt_f32_f16_e32 v20, v30
	s_wait_loadcnt 0x5
	v_cvt_f32_f16_e32 v19, v31
	s_wait_alu 0xfffe
	s_cbranch_vccnz .LBB147_11
; %bb.13:                               ;   in Loop: Header=BB147_12 Depth=1
	v_mad_co_i64_i32 v[25:26], null, 0xd2, v25, s[16:17]
	s_delay_alu instid0(VALU_DEP_1) | instskip(SKIP_1) | instid1(VALU_DEP_2)
	v_add_co_u32 v27, vcc_lo, v25, v15
	s_wait_alu 0xfffd
	v_add_co_ci_u32_e64 v28, null, 0, v26, vcc_lo
	v_add_co_u32 v29, vcc_lo, v25, v14
	s_wait_alu 0xfffd
	v_add_co_ci_u32_e64 v30, null, 0, v26, vcc_lo
	s_clause 0x1
	global_load_b32 v31, v[27:28], off offset:128
	global_load_b32 v29, v[29:30], off
	v_add_co_u32 v27, vcc_lo, v25, v12
	s_wait_alu 0xfffd
	v_add_co_ci_u32_e64 v28, null, 0, v26, vcc_lo
	s_clause 0x2
	global_load_i8 v30, v[27:28], off offset:192
	global_load_i8 v27, v[27:28], off offset:196
	global_load_u16 v25, v[25:26], off offset:208
	s_wait_loadcnt 0x4
	v_ashrrev_i32_e32 v26, v11, v31
	s_wait_loadcnt 0x3
	v_and_b32_e32 v28, 0xf0f0f0f, v29
	v_lshrrev_b32_e32 v29, 4, v29
	s_delay_alu instid0(VALU_DEP_3) | instskip(NEXT) | instid1(VALU_DEP_2)
	v_lshlrev_b32_e32 v31, 4, v26
	v_and_b32_e32 v29, 0xf0f0f0f, v29
	s_delay_alu instid0(VALU_DEP_2) | instskip(NEXT) | instid1(VALU_DEP_2)
	v_and_or_b32 v28, 0x30303030, v31, v28
	v_and_or_b32 v26, 0x30303030, v26, v29
	s_delay_alu instid0(VALU_DEP_2) | instskip(SKIP_2) | instid1(VALU_DEP_4)
	v_lshrrev_b32_e32 v31, 16, v28
	v_and_b32_e32 v29, 0x3f00, v28
	v_lshlrev_b16 v28, 8, v28
	v_lshrrev_b32_e32 v33, 16, v26
	v_and_b32_e32 v34, 0x3f00, v26
	v_lshlrev_b16 v32, 8, v31
	v_lshlrev_b16 v26, 8, v26
	v_add_nc_u16 v28, 0xe000, v28
	v_lshlrev_b16 v35, 8, v33
	v_and_b32_e32 v31, 0x3f00, v31
	v_add_nc_u16 v32, 0xe000, v32
	v_add_nc_u16 v26, 0xe000, v26
	v_lshrrev_b16 v28, 8, v28
	v_add_nc_u16 v35, 0xe000, v35
	v_and_b32_e32 v33, 0x3f00, v33
	v_lshrrev_b16 v32, 8, v32
	v_lshrrev_b16 v26, 8, v26
	v_or_b32_e32 v28, v29, v28
	s_delay_alu instid0(VALU_DEP_3) | instskip(SKIP_1) | instid1(VALU_DEP_4)
	v_or_b32_e32 v29, v31, v32
	v_lshrrev_b16 v31, 8, v35
	v_or_b32_e32 v26, v34, v26
	s_delay_alu instid0(VALU_DEP_4) | instskip(NEXT) | instid1(VALU_DEP_4)
	v_add_nc_u16 v28, 0xe000, v28
	v_add_nc_u16 v29, 0xe000, v29
	s_delay_alu instid0(VALU_DEP_4) | instskip(NEXT) | instid1(VALU_DEP_4)
	v_or_b32_e32 v31, v33, v31
	v_add_nc_u16 v26, 0xe000, v26
	s_delay_alu instid0(VALU_DEP_4) | instskip(NEXT) | instid1(VALU_DEP_4)
	v_and_b32_e32 v28, 0xffff, v28
	v_lshlrev_b32_e32 v29, 16, v29
	s_delay_alu instid0(VALU_DEP_4) | instskip(NEXT) | instid1(VALU_DEP_4)
	v_add_nc_u16 v31, 0xe000, v31
	v_and_b32_e32 v26, 0xffff, v26
	s_delay_alu instid0(VALU_DEP_3) | instskip(NEXT) | instid1(VALU_DEP_3)
	v_or_b32_e32 v28, v28, v29
	v_lshlrev_b32_e32 v29, 16, v31
	s_delay_alu instid0(VALU_DEP_2) | instskip(NEXT) | instid1(VALU_DEP_2)
	v_dot4_i32_iu8 v28, v28, v17, 0 neg_lo:[1,1,0]
	v_or_b32_e32 v26, v26, v29
	s_wait_loadcnt 0x2
	s_delay_alu instid0(VALU_DEP_2) | instskip(NEXT) | instid1(VALU_DEP_2)
	v_mul_lo_u32 v28, v28, v30
	v_dot4_i32_iu8 v26, v26, v18, 0 neg_lo:[1,1,0]
	s_wait_loadcnt 0x1
	s_delay_alu instid0(VALU_DEP_1) | instskip(NEXT) | instid1(VALU_DEP_3)
	v_mul_lo_u32 v26, v26, v27
	v_cvt_f32_i32_e32 v27, v28
	s_delay_alu instid0(VALU_DEP_1) | instskip(NEXT) | instid1(VALU_DEP_3)
	v_fma_f32 v27, v20, v27, 0
	v_cvt_f32_i32_e32 v26, v26
	s_delay_alu instid0(VALU_DEP_1) | instskip(SKIP_1) | instid1(VALU_DEP_1)
	v_fmac_f32_e32 v27, v19, v26
	s_wait_loadcnt 0x0
	v_fma_mix_f32 v7, v27, v25, v7 op_sel_hi:[0,1,0]
	s_branch .LBB147_11
.LBB147_14:
	s_or_b32 exec_lo, exec_lo, s13
.LBB147_15:
	s_delay_alu instid0(SALU_CYCLE_1)
	s_or_b32 exec_lo, exec_lo, s18
	s_load_b32 s5, s[0:1], 0x30
	v_cmp_eq_u32_e64 s4, 0, v8
	s_mov_b32 s7, exec_lo
	v_cmpx_ne_u32_e32 0, v8
	s_cbranch_execz .LBB147_19
; %bb.16:
	v_add_nc_u32_e32 v0, -1, v8
	s_and_b32 vcc_lo, exec_lo, s14
	s_delay_alu instid0(VALU_DEP_1)
	v_lshlrev_b32_e32 v0, 7, v0
	s_wait_alu 0xfffe
	s_cbranch_vccz .LBB147_18
; %bb.17:
	s_delay_alu instid0(VALU_DEP_1)
	v_lshl_add_u32 v1, v3, 2, v0
	ds_store_b32 v1, v7 offset:896
.LBB147_18:
	s_delay_alu instid0(VALU_DEP_1)
	v_lshl_add_u32 v0, v3, 2, v0
	ds_store_b32 v0, v9
.LBB147_19:
	s_wait_alu 0xfffe
	s_or_b32 exec_lo, exec_lo, s7
	s_wait_loadcnt_dscnt 0x0
	s_barrier_signal -1
	s_barrier_wait -1
	global_inv scope:SCOPE_SE
	s_and_saveexec_b32 s7, s4
	s_cbranch_execz .LBB147_61
; %bb.20:
	ds_load_b32 v0, v2
	v_cmp_ne_u32_e32 vcc_lo, 1, v6
	v_add_nc_u32_e32 v1, 0x380, v2
	s_cbranch_vccnz .LBB147_22
; %bb.21:
	ds_load_b32 v8, v1
	s_wait_dscnt 0x0
	v_add_f32_e32 v7, v7, v8
.LBB147_22:
	ds_load_b32 v8, v2 offset:128
	v_cmp_ne_u32_e32 vcc_lo, 1, v6
	s_cbranch_vccnz .LBB147_24
; %bb.23:
	ds_load_b32 v10, v1 offset:128
	s_wait_dscnt 0x0
	v_add_f32_e32 v7, v7, v10
.LBB147_24:
	ds_load_b32 v10, v2 offset:256
	v_cmp_ne_u32_e32 vcc_lo, 1, v6
	s_cbranch_vccnz .LBB147_26
; %bb.25:
	ds_load_b32 v11, v1 offset:256
	s_wait_dscnt 0x0
	v_add_f32_e32 v7, v7, v11
.LBB147_26:
	;; [unrolled: 8-line block ×6, first 2 shown]
	s_wait_dscnt 0x6
	v_add_f32_e32 v0, v9, v0
	v_mbcnt_lo_u32_b32 v1, -1, 0
	s_delay_alu instid0(VALU_DEP_1) | instskip(SKIP_1) | instid1(VALU_DEP_3)
	v_xor_b32_e32 v9, 8, v1
	s_wait_dscnt 0x5
	v_add_f32_e32 v0, v0, v8
	v_xor_b32_e32 v8, 16, v1
	s_delay_alu instid0(VALU_DEP_1)
	v_cmp_gt_i32_e32 vcc_lo, 32, v8
	s_wait_alu 0xfffd
	v_cndmask_b32_e32 v8, v1, v8, vcc_lo
	v_cmp_gt_i32_e32 vcc_lo, 32, v9
	s_wait_dscnt 0x4
	s_wait_alu 0xfffd
	v_dual_cndmask_b32 v9, v1, v9 :: v_dual_add_f32 v0, v0, v10
	s_wait_dscnt 0x3
	s_delay_alu instid0(VALU_DEP_1) | instskip(SKIP_1) | instid1(VALU_DEP_1)
	v_dual_add_f32 v0, v0, v11 :: v_dual_lshlrev_b32 v9, 2, v9
	s_wait_dscnt 0x2
	v_add_f32_e32 v0, v0, v12
	s_wait_dscnt 0x1
	s_delay_alu instid0(VALU_DEP_1) | instskip(SKIP_1) | instid1(VALU_DEP_1)
	v_add_f32_e32 v0, v0, v13
	s_wait_dscnt 0x0
	v_add_f32_e32 v10, v0, v14
	v_lshlrev_b32_e32 v0, 2, v8
	ds_bpermute_b32 v8, v0, v10
	s_wait_dscnt 0x0
	v_add_f32_e32 v8, v10, v8
	v_xor_b32_e32 v10, 4, v1
	ds_bpermute_b32 v11, v9, v8
	v_cmp_gt_i32_e32 vcc_lo, 32, v10
	s_wait_alu 0xfffd
	v_cndmask_b32_e32 v10, v1, v10, vcc_lo
	s_delay_alu instid0(VALU_DEP_1)
	v_lshlrev_b32_e32 v10, 2, v10
	s_wait_dscnt 0x0
	v_add_f32_e32 v8, v8, v11
	v_xor_b32_e32 v11, 2, v1
	ds_bpermute_b32 v12, v10, v8
	v_cmp_gt_i32_e32 vcc_lo, 32, v11
	s_wait_alu 0xfffd
	v_cndmask_b32_e32 v11, v1, v11, vcc_lo
	s_wait_dscnt 0x0
	s_delay_alu instid0(VALU_DEP_1)
	v_dual_add_f32 v8, v8, v12 :: v_dual_lshlrev_b32 v11, 2, v11
	v_xor_b32_e32 v12, 1, v1
	ds_bpermute_b32 v13, v11, v8
	v_cmp_gt_i32_e32 vcc_lo, 32, v12
	s_wait_alu 0xfffd
	v_cndmask_b32_e32 v1, v1, v12, vcc_lo
	v_cmp_ne_u32_e32 vcc_lo, 1, v6
	s_delay_alu instid0(VALU_DEP_2)
	v_lshlrev_b32_e32 v12, 2, v1
	s_wait_dscnt 0x0
	v_add_f32_e32 v1, v8, v13
	ds_bpermute_b32 v8, v12, v1
	s_cbranch_vccnz .LBB147_36
; %bb.35:
	ds_bpermute_b32 v0, v0, v7
	s_wait_dscnt 0x0
	v_add_f32_e32 v0, v7, v0
	ds_bpermute_b32 v7, v9, v0
	s_wait_dscnt 0x0
	v_add_f32_e32 v0, v0, v7
	;; [unrolled: 3-line block ×5, first 2 shown]
.LBB147_36:
	v_cmp_eq_u32_e32 vcc_lo, 0, v3
	s_and_b32 exec_lo, exec_lo, vcc_lo
	s_cbranch_execz .LBB147_61
; %bb.37:
	s_wait_dscnt 0x0
	v_add_f32_e32 v0, v1, v8
	v_cmp_ne_u32_e32 vcc_lo, 1, v6
	s_delay_alu instid0(VALU_DEP_2) | instskip(NEXT) | instid1(VALU_DEP_1)
	v_add_f32_e32 v1, v5, v0
	v_cndmask_b32_e64 v0, v0, v1, s2
	s_cbranch_vccnz .LBB147_60
; %bb.38:
	v_add_f32_e32 v1, v4, v7
	s_wait_kmcnt 0x0
	s_cmp_lt_i32 s5, 2
	s_mov_b32 s2, 0
	s_delay_alu instid0(VALU_DEP_1)
	v_cndmask_b32_e64 v1, v7, v1, s3
	s_cbranch_scc1 .LBB147_43
; %bb.39:
	s_cmp_gt_i32 s5, 2
	s_cbranch_scc0 .LBB147_44
; %bb.40:
	s_cmp_eq_u32 s5, 3
	s_cbranch_scc0 .LBB147_45
; %bb.41:
	v_max_num_f32_e32 v3, v1, v1
	s_mov_b32 s3, 0xc0e00000
	s_delay_alu instid0(VALU_DEP_1) | instskip(NEXT) | instid1(VALU_DEP_1)
	v_min_num_f32_e32 v3, 0x40e00000, v3
	v_mul_f32_e32 v4, 0xbfd9db23, v3
	s_delay_alu instid0(VALU_DEP_1) | instskip(NEXT) | instid1(VALU_DEP_1)
	v_mul_f32_e32 v5, 0x3fb8aa3b, v4
	v_fma_f32 v6, 0x3fb8aa3b, v4, -v5
	v_rndne_f32_e32 v7, v5
	s_delay_alu instid0(VALU_DEP_1) | instskip(NEXT) | instid1(VALU_DEP_1)
	v_dual_fmamk_f32 v6, v4, 0x32a5705f, v6 :: v_dual_sub_f32 v5, v5, v7
	v_add_f32_e32 v5, v5, v6
	v_cvt_i32_f32_e32 v6, v7
	v_cmp_ngt_f32_e32 vcc_lo, 0xc2ce8ed0, v4
	s_delay_alu instid0(VALU_DEP_3) | instskip(NEXT) | instid1(TRANS32_DEP_1)
	v_exp_f32_e32 v5, v5
	v_ldexp_f32 v5, v5, v6
	s_wait_alu 0xfffd
	s_delay_alu instid0(VALU_DEP_1) | instskip(SKIP_2) | instid1(VALU_DEP_2)
	v_cndmask_b32_e32 v5, 0, v5, vcc_lo
	v_cmp_nlt_f32_e32 vcc_lo, 0x42b17218, v4
	s_wait_alu 0xfffd
	v_cndmask_b32_e32 v4, 0x7f800000, v5, vcc_lo
	s_delay_alu instid0(VALU_DEP_1) | instskip(NEXT) | instid1(VALU_DEP_1)
	v_add_f32_e32 v4, 1.0, v4
	v_div_scale_f32 v5, null, v4, v4, v3
	v_div_scale_f32 v8, vcc_lo, v3, v4, v3
	s_delay_alu instid0(VALU_DEP_2) | instskip(NEXT) | instid1(TRANS32_DEP_1)
	v_rcp_f32_e32 v6, v5
	v_fma_f32 v7, -v5, v6, 1.0
	s_delay_alu instid0(VALU_DEP_1) | instskip(NEXT) | instid1(VALU_DEP_1)
	v_fmac_f32_e32 v6, v7, v6
	v_mul_f32_e32 v7, v8, v6
	s_delay_alu instid0(VALU_DEP_1) | instskip(NEXT) | instid1(VALU_DEP_1)
	v_fma_f32 v9, -v5, v7, v8
	v_fmac_f32_e32 v7, v9, v6
	s_delay_alu instid0(VALU_DEP_1) | instskip(SKIP_2) | instid1(VALU_DEP_2)
	v_fma_f32 v5, -v5, v7, v8
	v_max_num_f32_e32 v8, v0, v0
	s_wait_alu 0xfffd
	v_div_fmas_f32 v5, v5, v6, v7
	s_wait_alu 0xfffe
	s_delay_alu instid0(VALU_DEP_2) | instskip(SKIP_1) | instid1(VALU_DEP_2)
	v_minmax_num_f32 v6, v8, 0x40e00000, s3
	s_mov_b32 s3, 0
	v_div_fixup_f32 v3, v5, v4, v3
	s_delay_alu instid0(VALU_DEP_2) | instskip(NEXT) | instid1(VALU_DEP_1)
	v_add_f32_e32 v4, 1.0, v6
	v_mul_f32_e32 v3, v4, v3
	s_branch .LBB147_46
.LBB147_42:
                                        ; implicit-def: $sgpr28
	s_clause 0x1
	s_load_b32 s29, s[0:1], 0x50
	s_load_b32 s30, s[0:1], 0x78
	s_branch .LBB147_2
.LBB147_43:
	s_mov_b32 s3, 0
                                        ; implicit-def: $vgpr3
	s_cbranch_execnz .LBB147_50
	s_branch .LBB147_51
.LBB147_44:
	s_mov_b32 s4, -1
	s_mov_b32 s3, 0
                                        ; implicit-def: $vgpr3
	s_branch .LBB147_47
.LBB147_45:
	s_mov_b32 s3, -1
                                        ; implicit-def: $vgpr3
.LBB147_46:
	s_mov_b32 s4, 0
.LBB147_47:
	s_wait_alu 0xfffe
	s_and_b32 vcc_lo, exec_lo, s4
	s_wait_alu 0xfffe
	s_cbranch_vccz .LBB147_49
; %bb.48:
	v_mul_f32_e32 v3, 0xbfb8aa3b, v1
	v_cmp_nlt_f32_e32 vcc_lo, 0x42ce8ed0, v1
	s_delay_alu instid0(VALU_DEP_2) | instskip(SKIP_1) | instid1(VALU_DEP_2)
	v_rndne_f32_e32 v4, v3
	v_fma_f32 v5, 0xbfb8aa3b, v1, -v3
	v_sub_f32_e32 v3, v3, v4
	s_delay_alu instid0(VALU_DEP_2) | instskip(SKIP_1) | instid1(VALU_DEP_2)
	v_fmamk_f32 v5, v1, 0xb2a5705f, v5
	v_cvt_i32_f32_e32 v4, v4
	v_add_f32_e32 v3, v3, v5
	s_delay_alu instid0(VALU_DEP_1) | instskip(NEXT) | instid1(TRANS32_DEP_1)
	v_exp_f32_e32 v3, v3
	v_ldexp_f32 v3, v3, v4
	s_wait_alu 0xfffd
	s_delay_alu instid0(VALU_DEP_1) | instskip(SKIP_2) | instid1(VALU_DEP_2)
	v_cndmask_b32_e32 v3, 0, v3, vcc_lo
	v_cmp_ngt_f32_e32 vcc_lo, 0xc2b17218, v1
	s_wait_alu 0xfffd
	v_cndmask_b32_e32 v3, 0x7f800000, v3, vcc_lo
	s_delay_alu instid0(VALU_DEP_1) | instskip(NEXT) | instid1(VALU_DEP_1)
	v_add_f32_e32 v3, 1.0, v3
	v_div_scale_f32 v4, null, v3, v3, v1
	s_delay_alu instid0(VALU_DEP_1) | instskip(NEXT) | instid1(TRANS32_DEP_1)
	v_rcp_f32_e32 v5, v4
	v_fma_f32 v6, -v4, v5, 1.0
	s_delay_alu instid0(VALU_DEP_1) | instskip(SKIP_1) | instid1(VALU_DEP_1)
	v_fmac_f32_e32 v5, v6, v5
	v_div_scale_f32 v6, vcc_lo, v1, v3, v1
	v_mul_f32_e32 v7, v6, v5
	s_delay_alu instid0(VALU_DEP_1) | instskip(NEXT) | instid1(VALU_DEP_1)
	v_fma_f32 v8, -v4, v7, v6
	v_fmac_f32_e32 v7, v8, v5
	s_delay_alu instid0(VALU_DEP_1) | instskip(SKIP_1) | instid1(VALU_DEP_1)
	v_fma_f32 v4, -v4, v7, v6
	s_wait_alu 0xfffd
	v_div_fmas_f32 v4, v4, v5, v7
	s_delay_alu instid0(VALU_DEP_1) | instskip(NEXT) | instid1(VALU_DEP_1)
	v_div_fixup_f32 v3, v4, v3, v1
	v_mul_f32_e32 v3, v0, v3
.LBB147_49:
	s_branch .LBB147_51
.LBB147_50:
	s_cmp_lg_u32 s5, 1
	s_mov_b32 s2, -1
	s_cselect_b32 s3, -1, 0
.LBB147_51:
	s_wait_alu 0xfffe
	s_and_not1_b32 vcc_lo, exec_lo, s3
	s_wait_alu 0xfffe
	s_cbranch_vccz .LBB147_53
; %bb.52:
	s_and_not1_b32 vcc_lo, exec_lo, s2
	s_wait_alu 0xfffe
	s_cbranch_vccz .LBB147_54
	s_branch .LBB147_59
.LBB147_53:
	v_mul_f32_e32 v3, v1, v0
	s_cbranch_execnz .LBB147_59
.LBB147_54:
	v_mul_f32_e32 v3, 0x3d372713, v1
	v_mul_f32_e32 v4, 0x3f4c422a, v1
	s_delay_alu instid0(VALU_DEP_2) | instskip(NEXT) | instid1(VALU_DEP_1)
	v_fma_f32 v3, v1, v3, 1.0
	v_mul_f32_e32 v3, v4, v3
                                        ; implicit-def: $vgpr4
	s_delay_alu instid0(VALU_DEP_1)
	v_cmp_ngt_f32_e64 s2, 0x3f200000, |v3|
	s_and_saveexec_b32 s3, s2
	s_wait_alu 0xfffe
	s_xor_b32 s2, exec_lo, s3
	s_cbranch_execz .LBB147_56
; %bb.55:
	v_add_f32_e64 v4, |v3|, |v3|
	s_delay_alu instid0(VALU_DEP_1) | instskip(SKIP_1) | instid1(VALU_DEP_2)
	v_mul_f32_e32 v5, 0x3fb8aa3b, v4
	v_cmp_ngt_f32_e32 vcc_lo, 0xc2ce8ed0, v4
	v_rndne_f32_e32 v6, v5
	v_fma_f32 v7, 0x3fb8aa3b, v4, -v5
	s_delay_alu instid0(VALU_DEP_2) | instskip(NEXT) | instid1(VALU_DEP_2)
	v_sub_f32_e32 v5, v5, v6
	v_fmamk_f32 v7, v4, 0x32a5705f, v7
	v_cvt_i32_f32_e32 v6, v6
	s_delay_alu instid0(VALU_DEP_2) | instskip(NEXT) | instid1(VALU_DEP_1)
	v_add_f32_e32 v5, v5, v7
	v_exp_f32_e32 v5, v5
	s_delay_alu instid0(TRANS32_DEP_1) | instskip(SKIP_1) | instid1(VALU_DEP_1)
	v_ldexp_f32 v5, v5, v6
	s_wait_alu 0xfffd
	v_cndmask_b32_e32 v5, 0, v5, vcc_lo
	v_cmp_nlt_f32_e32 vcc_lo, 0x42b17218, v4
	s_wait_alu 0xfffd
	s_delay_alu instid0(VALU_DEP_2) | instskip(NEXT) | instid1(VALU_DEP_1)
	v_cndmask_b32_e32 v4, 0x7f800000, v5, vcc_lo
	v_add_f32_e32 v4, 1.0, v4
	s_delay_alu instid0(VALU_DEP_1) | instskip(NEXT) | instid1(TRANS32_DEP_1)
	v_rcp_f32_e32 v4, v4
	v_fma_f32 v4, v4, -2.0, 1.0
.LBB147_56:
	s_wait_alu 0xfffe
	s_and_not1_saveexec_b32 s2, s2
	s_cbranch_execz .LBB147_58
; %bb.57:
	v_mul_f32_e32 v4, v3, v3
	s_mov_b32 s3, 0xbbbac73d
	s_wait_alu 0xfffe
	s_delay_alu instid0(VALU_DEP_1) | instskip(NEXT) | instid1(VALU_DEP_1)
	v_fmaak_f32 v5, s3, v4, 0x3ca908c9
	v_fmaak_f32 v5, v4, v5, 0xbd5c1c4e
	s_delay_alu instid0(VALU_DEP_1) | instskip(NEXT) | instid1(VALU_DEP_1)
	v_fmaak_f32 v5, v4, v5, 0x3e088382
	v_fmaak_f32 v5, v4, v5, 0xbeaaaa99
	s_delay_alu instid0(VALU_DEP_1) | instskip(NEXT) | instid1(VALU_DEP_1)
	v_mul_f32_e64 v5, |v3|, v5
	v_fma_f32 v4, v4, v5, |v3|
.LBB147_58:
	s_wait_alu 0xfffe
	s_or_b32 exec_lo, exec_lo, s2
	s_delay_alu instid0(VALU_DEP_1) | instskip(SKIP_1) | instid1(VALU_DEP_2)
	v_bfi_b32 v3, 0x7fffffff, v4, v3
	v_mul_f32_e32 v1, 0.5, v1
	v_add_f32_e32 v3, 1.0, v3
	s_delay_alu instid0(VALU_DEP_1) | instskip(NEXT) | instid1(VALU_DEP_1)
	v_mul_f32_e32 v1, v1, v3
	v_mul_f32_e32 v3, v0, v1
.LBB147_59:
	s_delay_alu instid0(VALU_DEP_1)
	v_mov_b32_e32 v0, v3
.LBB147_60:
	s_load_b64 s[0:1], s[0:1], 0x38
	s_mul_i32 s2, s6, s27
	s_wait_kmcnt 0x0
	s_mul_i32 s3, s26, s21
	s_wait_alu 0xfffe
	s_add_co_i32 s2, s2, ttmp9
	s_wait_alu 0xfffe
	s_add_co_i32 s2, s2, s3
	s_mov_b32 s3, 0
	s_wait_alu 0xfffe
	s_lshl_b64 s[2:3], s[2:3], 2
	s_wait_alu 0xfffe
	s_add_nc_u64 s[0:1], s[0:1], s[2:3]
	global_store_b32 v2, v0, s[0:1]
.LBB147_61:
	s_endpgm
	.section	.rodata,"a",@progbits
	.p2align	6, 0x0
	.amdhsa_kernel _ZL13mul_mat_vec_qIL9ggml_type14ELi1ELb1ELb0EEvPKvS2_PKi31ggml_cuda_mm_fusion_args_devicePfj15HIP_vector_typeIjLj3EEjjjS8_jjjS8_jjjj
		.amdhsa_group_segment_fixed_size 1792
		.amdhsa_private_segment_fixed_size 0
		.amdhsa_kernarg_size 144
		.amdhsa_user_sgpr_count 2
		.amdhsa_user_sgpr_dispatch_ptr 0
		.amdhsa_user_sgpr_queue_ptr 0
		.amdhsa_user_sgpr_kernarg_segment_ptr 1
		.amdhsa_user_sgpr_dispatch_id 0
		.amdhsa_user_sgpr_private_segment_size 0
		.amdhsa_wavefront_size32 1
		.amdhsa_uses_dynamic_stack 0
		.amdhsa_enable_private_segment 0
		.amdhsa_system_sgpr_workgroup_id_x 1
		.amdhsa_system_sgpr_workgroup_id_y 1
		.amdhsa_system_sgpr_workgroup_id_z 1
		.amdhsa_system_sgpr_workgroup_info 0
		.amdhsa_system_vgpr_workitem_id 1
		.amdhsa_next_free_vgpr 36
		.amdhsa_next_free_sgpr 38
		.amdhsa_reserve_vcc 1
		.amdhsa_float_round_mode_32 0
		.amdhsa_float_round_mode_16_64 0
		.amdhsa_float_denorm_mode_32 3
		.amdhsa_float_denorm_mode_16_64 3
		.amdhsa_fp16_overflow 0
		.amdhsa_workgroup_processor_mode 1
		.amdhsa_memory_ordered 1
		.amdhsa_forward_progress 1
		.amdhsa_inst_pref_size 31
		.amdhsa_round_robin_scheduling 0
		.amdhsa_exception_fp_ieee_invalid_op 0
		.amdhsa_exception_fp_denorm_src 0
		.amdhsa_exception_fp_ieee_div_zero 0
		.amdhsa_exception_fp_ieee_overflow 0
		.amdhsa_exception_fp_ieee_underflow 0
		.amdhsa_exception_fp_ieee_inexact 0
		.amdhsa_exception_int_div_zero 0
	.end_amdhsa_kernel
	.section	.text._ZL13mul_mat_vec_qIL9ggml_type14ELi1ELb1ELb0EEvPKvS2_PKi31ggml_cuda_mm_fusion_args_devicePfj15HIP_vector_typeIjLj3EEjjjS8_jjjS8_jjjj,"axG",@progbits,_ZL13mul_mat_vec_qIL9ggml_type14ELi1ELb1ELb0EEvPKvS2_PKi31ggml_cuda_mm_fusion_args_devicePfj15HIP_vector_typeIjLj3EEjjjS8_jjjS8_jjjj,comdat
.Lfunc_end147:
	.size	_ZL13mul_mat_vec_qIL9ggml_type14ELi1ELb1ELb0EEvPKvS2_PKi31ggml_cuda_mm_fusion_args_devicePfj15HIP_vector_typeIjLj3EEjjjS8_jjjS8_jjjj, .Lfunc_end147-_ZL13mul_mat_vec_qIL9ggml_type14ELi1ELb1ELb0EEvPKvS2_PKi31ggml_cuda_mm_fusion_args_devicePfj15HIP_vector_typeIjLj3EEjjjS8_jjjS8_jjjj
                                        ; -- End function
	.set _ZL13mul_mat_vec_qIL9ggml_type14ELi1ELb1ELb0EEvPKvS2_PKi31ggml_cuda_mm_fusion_args_devicePfj15HIP_vector_typeIjLj3EEjjjS8_jjjS8_jjjj.num_vgpr, 36
	.set _ZL13mul_mat_vec_qIL9ggml_type14ELi1ELb1ELb0EEvPKvS2_PKi31ggml_cuda_mm_fusion_args_devicePfj15HIP_vector_typeIjLj3EEjjjS8_jjjS8_jjjj.num_agpr, 0
	.set _ZL13mul_mat_vec_qIL9ggml_type14ELi1ELb1ELb0EEvPKvS2_PKi31ggml_cuda_mm_fusion_args_devicePfj15HIP_vector_typeIjLj3EEjjjS8_jjjS8_jjjj.numbered_sgpr, 38
	.set _ZL13mul_mat_vec_qIL9ggml_type14ELi1ELb1ELb0EEvPKvS2_PKi31ggml_cuda_mm_fusion_args_devicePfj15HIP_vector_typeIjLj3EEjjjS8_jjjS8_jjjj.num_named_barrier, 0
	.set _ZL13mul_mat_vec_qIL9ggml_type14ELi1ELb1ELb0EEvPKvS2_PKi31ggml_cuda_mm_fusion_args_devicePfj15HIP_vector_typeIjLj3EEjjjS8_jjjS8_jjjj.private_seg_size, 0
	.set _ZL13mul_mat_vec_qIL9ggml_type14ELi1ELb1ELb0EEvPKvS2_PKi31ggml_cuda_mm_fusion_args_devicePfj15HIP_vector_typeIjLj3EEjjjS8_jjjS8_jjjj.uses_vcc, 1
	.set _ZL13mul_mat_vec_qIL9ggml_type14ELi1ELb1ELb0EEvPKvS2_PKi31ggml_cuda_mm_fusion_args_devicePfj15HIP_vector_typeIjLj3EEjjjS8_jjjS8_jjjj.uses_flat_scratch, 0
	.set _ZL13mul_mat_vec_qIL9ggml_type14ELi1ELb1ELb0EEvPKvS2_PKi31ggml_cuda_mm_fusion_args_devicePfj15HIP_vector_typeIjLj3EEjjjS8_jjjS8_jjjj.has_dyn_sized_stack, 0
	.set _ZL13mul_mat_vec_qIL9ggml_type14ELi1ELb1ELb0EEvPKvS2_PKi31ggml_cuda_mm_fusion_args_devicePfj15HIP_vector_typeIjLj3EEjjjS8_jjjS8_jjjj.has_recursion, 0
	.set _ZL13mul_mat_vec_qIL9ggml_type14ELi1ELb1ELb0EEvPKvS2_PKi31ggml_cuda_mm_fusion_args_devicePfj15HIP_vector_typeIjLj3EEjjjS8_jjjS8_jjjj.has_indirect_call, 0
	.section	.AMDGPU.csdata,"",@progbits
; Kernel info:
; codeLenInByte = 3880
; TotalNumSgprs: 40
; NumVgprs: 36
; ScratchSize: 0
; MemoryBound: 0
; FloatMode: 240
; IeeeMode: 1
; LDSByteSize: 1792 bytes/workgroup (compile time only)
; SGPRBlocks: 0
; VGPRBlocks: 4
; NumSGPRsForWavesPerEU: 40
; NumVGPRsForWavesPerEU: 36
; Occupancy: 16
; WaveLimiterHint : 0
; COMPUTE_PGM_RSRC2:SCRATCH_EN: 0
; COMPUTE_PGM_RSRC2:USER_SGPR: 2
; COMPUTE_PGM_RSRC2:TRAP_HANDLER: 0
; COMPUTE_PGM_RSRC2:TGID_X_EN: 1
; COMPUTE_PGM_RSRC2:TGID_Y_EN: 1
; COMPUTE_PGM_RSRC2:TGID_Z_EN: 1
; COMPUTE_PGM_RSRC2:TIDIG_COMP_CNT: 1
	.section	.text._ZL13mul_mat_vec_qIL9ggml_type14ELi1ELb0ELb0EEvPKvS2_PKi31ggml_cuda_mm_fusion_args_devicePfj15HIP_vector_typeIjLj3EEjjjS8_jjjS8_jjjj,"axG",@progbits,_ZL13mul_mat_vec_qIL9ggml_type14ELi1ELb0ELb0EEvPKvS2_PKi31ggml_cuda_mm_fusion_args_devicePfj15HIP_vector_typeIjLj3EEjjjS8_jjjS8_jjjj,comdat
	.globl	_ZL13mul_mat_vec_qIL9ggml_type14ELi1ELb0ELb0EEvPKvS2_PKi31ggml_cuda_mm_fusion_args_devicePfj15HIP_vector_typeIjLj3EEjjjS8_jjjS8_jjjj ; -- Begin function _ZL13mul_mat_vec_qIL9ggml_type14ELi1ELb0ELb0EEvPKvS2_PKi31ggml_cuda_mm_fusion_args_devicePfj15HIP_vector_typeIjLj3EEjjjS8_jjjS8_jjjj
	.p2align	8
	.type	_ZL13mul_mat_vec_qIL9ggml_type14ELi1ELb0ELb0EEvPKvS2_PKi31ggml_cuda_mm_fusion_args_devicePfj15HIP_vector_typeIjLj3EEjjjS8_jjjS8_jjjj,@function
_ZL13mul_mat_vec_qIL9ggml_type14ELi1ELb0ELb0EEvPKvS2_PKi31ggml_cuda_mm_fusion_args_devicePfj15HIP_vector_typeIjLj3EEjjjS8_jjjS8_jjjj: ; @_ZL13mul_mat_vec_qIL9ggml_type14ELi1ELb0ELb0EEvPKvS2_PKi31ggml_cuda_mm_fusion_args_devicePfj15HIP_vector_typeIjLj3EEjjjS8_jjjS8_jjjj
; %bb.0:
	s_clause 0x1
	s_load_b64 s[2:3], s[0:1], 0x10
	s_load_b128 s[8:11], s[0:1], 0x40
	s_and_b32 s15, ttmp7, 0xffff
	s_wait_kmcnt 0x0
	s_cmp_lg_u64 s[2:3], 0
	s_cselect_b32 s12, -1, 0
	s_cmp_eq_u64 s[2:3], 0
	s_cbranch_scc1 .LBB148_15
; %bb.1:
	s_lshl_b32 s4, s15, 2
	s_load_b32 s19, s[2:3], s4 offset:0x0
	s_clause 0x1
	s_load_b128 s[4:7], s[0:1], 0x68
	s_load_b32 s2, s[0:1], 0x50
	s_cbranch_execnz .LBB148_3
.LBB148_2:
	s_load_b64 s[16:17], s[0:1], 0x5c
	s_wait_kmcnt 0x0
	s_mul_hi_u32 s3, s16, s15
	s_delay_alu instid0(SALU_CYCLE_1) | instskip(NEXT) | instid1(SALU_CYCLE_1)
	s_add_co_i32 s3, s15, s3
	s_lshr_b32 s19, s3, s17
.LBB148_3:
	s_load_b32 s20, s[0:1], 0x78
	s_and_not1_b32 vcc_lo, exec_lo, s12
	s_mov_b32 s3, s15
	s_cbranch_vccnz .LBB148_5
; %bb.4:
	s_mul_hi_u32 s3, s9, s15
	s_delay_alu instid0(SALU_CYCLE_1) | instskip(NEXT) | instid1(SALU_CYCLE_1)
	s_add_co_i32 s3, s15, s3
	s_lshr_b32 s3, s3, s10
	s_delay_alu instid0(SALU_CYCLE_1) | instskip(NEXT) | instid1(SALU_CYCLE_1)
	s_mul_i32 s3, s3, s11
	s_sub_co_i32 s3, s15, s3
.LBB148_5:
	s_load_b96 s[12:14], s[0:1], 0x80
	v_bfe_u32 v3, v0, 10, 10
	v_bfe_u32 v1, v0, 5, 5
	v_and_b32_e32 v2, 0x3ff, v0
	s_lshr_b32 s17, s8, 8
	v_mov_b32_e32 v5, 0
	s_lshr_b32 s16, ttmp7, 16
	v_add_nc_u32_e32 v4, v1, v3
	s_mov_b32 s18, exec_lo
	s_delay_alu instid0(VALU_DEP_1)
	v_cmpx_gt_u32_e64 s17, v4
	s_cbranch_execz .LBB148_9
; %bb.6:
	s_wait_kmcnt 0x0
	s_mul_i32 s21, s2, ttmp9
	s_mul_i32 s2, s3, s5
	s_mov_b32 s3, 0
	v_and_b32_e32 v5, 15, v2
	s_mul_u64 s[22:23], s[2:3], 36
	s_load_b128 s[8:11], s[0:1], 0x0
	v_mad_co_u64_u32 v[0:1], null, 0x120, v4, s[22:23]
	s_delay_alu instid0(VALU_DEP_2)
	v_lshrrev_b16 v7, 3, v5
	s_mul_hi_u32 s5, s7, s16
	v_bfe_u32 v6, v2, 4, 1
	s_add_co_i32 s2, s16, s5
	s_mul_i32 s5, s13, s16
	v_and_b32_e32 v7, 0xffff, v7
	s_delay_alu instid0(VALU_DEP_4)
	v_mad_co_u64_u32 v[0:1], null, s5, 36, v[0:1]
	v_lshlrev_b32_e32 v8, 3, v6
	v_and_b32_e32 v9, 7, v2
	v_lshrrev_b16 v5, 2, v5
	v_lshl_or_b32 v6, v6, 2, v7
	v_and_b32_e32 v10, 31, v2
	s_lshr_b32 s2, s2, s20
	s_mul_i32 s4, s19, s4
	v_and_b32_e32 v12, 0xffff, v5
	v_mad_co_u64_u32 v[0:1], null, v6, 36, v[0:1]
	v_mov_b32_e32 v5, 0
	v_or_b32_e32 v11, v8, v9
	v_lshlrev_b32_e32 v10, 1, v10
	s_mul_i32 s2, s2, s12
	v_lshlrev_b32_e32 v6, 1, v7
	v_or_b32_e32 v7, v8, v12
	v_lshlrev_b32_e32 v11, 1, v11
	s_wait_kmcnt 0x0
	v_add_co_u32 v0, vcc_lo, s10, v0
	v_lshlrev_b32_e32 v8, 2, v9
	v_add_co_ci_u32_e64 v1, null, s11, v1, vcc_lo
	v_lshlrev_b32_e32 v9, 1, v10
	v_lshlrev_b32_e32 v10, 1, v11
	s_add_co_i32 s2, s2, s21
	s_wait_alu 0xfffe
	s_add_co_i32 s4, s4, s2
.LBB148_7:                              ; =>This Inner Loop Header: Depth=1
	s_wait_alu 0xfffe
	v_add_nc_u32_e32 v11, s4, v4
	v_add_nc_u32_e32 v4, 8, v4
	s_delay_alu instid0(VALU_DEP_2) | instskip(NEXT) | instid1(VALU_DEP_2)
	v_mad_co_i64_i32 v[11:12], null, 0xd2, v11, s[8:9]
	v_cmp_le_u32_e64 s2, s17, v4
	s_or_b32 s3, s2, s3
	v_add_co_u32 v13, vcc_lo, v11, v10
	s_wait_alu 0xfffd
	v_add_co_ci_u32_e64 v14, null, 0, v12, vcc_lo
	v_add_co_u32 v15, vcc_lo, v11, v9
	s_wait_alu 0xfffd
	v_add_co_ci_u32_e64 v16, null, 0, v12, vcc_lo
	s_clause 0x1
	global_load_b32 v17, v[13:14], off offset:128
	global_load_b32 v18, v[15:16], off
	v_add_co_u32 v13, vcc_lo, v0, v8
	s_wait_alu 0xfffd
	v_add_co_ci_u32_e64 v14, null, 0, v1, vcc_lo
	v_add_co_u32 v15, vcc_lo, v11, v7
	s_wait_alu 0xfffd
	v_add_co_ci_u32_e64 v16, null, 0, v12, vcc_lo
	s_clause 0x1
	global_load_b32 v19, v[13:14], off offset:4
	global_load_b32 v13, v[13:14], off offset:76
	s_clause 0x1
	global_load_i8 v14, v[15:16], off offset:192
	global_load_i8 v15, v[15:16], off offset:196
	s_clause 0x1
	global_load_b32 v16, v[0:1], off
	global_load_b32 v20, v[0:1], off offset:72
	global_load_u16 v11, v[11:12], off offset:208
	v_add_co_u32 v0, vcc_lo, 0x900, v0
	s_wait_alu 0xfffd
	v_add_co_ci_u32_e64 v1, null, 0, v1, vcc_lo
	s_wait_loadcnt 0x8
	v_ashrrev_i32_e32 v12, v6, v17
	s_wait_loadcnt 0x7
	v_lshrrev_b32_e32 v17, 4, v18
	v_and_b32_e32 v18, 0xf0f0f0f, v18
	s_delay_alu instid0(VALU_DEP_3) | instskip(NEXT) | instid1(VALU_DEP_3)
	v_lshlrev_b32_e32 v21, 4, v12
	v_and_b32_e32 v17, 0xf0f0f0f, v17
	s_delay_alu instid0(VALU_DEP_2) | instskip(NEXT) | instid1(VALU_DEP_2)
	v_and_or_b32 v18, 0x30303030, v21, v18
	v_and_or_b32 v12, 0x30303030, v12, v17
	s_delay_alu instid0(VALU_DEP_2) | instskip(SKIP_2) | instid1(VALU_DEP_4)
	v_lshrrev_b32_e32 v17, 16, v18
	v_and_b32_e32 v21, 0x3f00, v18
	v_lshlrev_b16 v18, 8, v18
	v_lshrrev_b32_e32 v22, 16, v12
	v_lshlrev_b16 v23, 8, v12
	v_lshlrev_b16 v24, 8, v17
	v_and_b32_e32 v17, 0x3f00, v17
	v_add_nc_u16 v18, 0xe000, v18
	v_lshlrev_b16 v25, 8, v22
	v_add_nc_u16 v23, 0xe000, v23
	v_add_nc_u16 v24, 0xe000, v24
	v_and_b32_e32 v12, 0x3f00, v12
	v_lshrrev_b16 v18, 8, v18
	v_add_nc_u16 v25, 0xe000, v25
	v_and_b32_e32 v22, 0x3f00, v22
	v_lshrrev_b16 v24, 8, v24
	v_lshrrev_b16 v23, 8, v23
	v_or_b32_e32 v18, v21, v18
	v_lshrrev_b16 v21, 8, v25
	s_delay_alu instid0(VALU_DEP_4) | instskip(NEXT) | instid1(VALU_DEP_4)
	v_or_b32_e32 v17, v17, v24
	v_or_b32_e32 v12, v12, v23
	s_delay_alu instid0(VALU_DEP_4) | instskip(NEXT) | instid1(VALU_DEP_4)
	v_add_nc_u16 v18, 0xe000, v18
	v_or_b32_e32 v21, v22, v21
	s_delay_alu instid0(VALU_DEP_4) | instskip(NEXT) | instid1(VALU_DEP_4)
	v_add_nc_u16 v17, 0xe000, v17
	v_add_nc_u16 v12, 0xe000, v12
	s_delay_alu instid0(VALU_DEP_4) | instskip(NEXT) | instid1(VALU_DEP_4)
	v_and_b32_e32 v18, 0xffff, v18
	v_add_nc_u16 v21, 0xe000, v21
	s_delay_alu instid0(VALU_DEP_4) | instskip(NEXT) | instid1(VALU_DEP_4)
	v_lshlrev_b32_e32 v17, 16, v17
	v_and_b32_e32 v12, 0xffff, v12
	s_delay_alu instid0(VALU_DEP_3) | instskip(NEXT) | instid1(VALU_DEP_3)
	v_lshlrev_b32_e32 v21, 16, v21
	v_or_b32_e32 v17, v18, v17
	s_delay_alu instid0(VALU_DEP_2) | instskip(SKIP_1) | instid1(VALU_DEP_2)
	v_or_b32_e32 v12, v12, v21
	s_wait_loadcnt 0x6
	v_dot4_i32_iu8 v17, v17, v19, 0 neg_lo:[1,1,0]
	s_wait_loadcnt 0x5
	s_delay_alu instid0(VALU_DEP_2) | instskip(SKIP_1) | instid1(VALU_DEP_2)
	v_dot4_i32_iu8 v12, v12, v13, 0 neg_lo:[1,1,0]
	s_wait_loadcnt 0x4
	v_mul_lo_u32 v13, v17, v14
	s_wait_loadcnt 0x3
	s_delay_alu instid0(VALU_DEP_2) | instskip(NEXT) | instid1(VALU_DEP_2)
	v_mul_lo_u32 v12, v12, v15
	v_cvt_f32_i32_e32 v13, v13
	s_delay_alu instid0(VALU_DEP_2) | instskip(SKIP_1) | instid1(VALU_DEP_2)
	v_cvt_f32_i32_e32 v12, v12
	s_wait_loadcnt 0x2
	v_fma_mix_f32 v13, v16, v13, 0 op_sel_hi:[1,0,0]
	s_wait_loadcnt 0x1
	s_delay_alu instid0(VALU_DEP_1) | instskip(SKIP_1) | instid1(VALU_DEP_1)
	v_fma_mix_f32 v12, v20, v12, v13 op_sel_hi:[1,0,0]
	s_wait_loadcnt 0x0
	v_fma_mix_f32 v5, v12, v11, v5 op_sel_hi:[0,1,0]
	s_and_not1_b32 exec_lo, exec_lo, s3
	s_cbranch_execnz .LBB148_7
; %bb.8:
	s_or_b32 exec_lo, exec_lo, s3
.LBB148_9:
	s_delay_alu instid0(SALU_CYCLE_1)
	s_or_b32 exec_lo, exec_lo, s18
	v_lshlrev_b32_e32 v0, 2, v2
	s_mov_b32 s3, exec_lo
	v_cmp_eq_u32_e32 vcc_lo, 0, v3
	v_cmpx_ne_u32_e32 0, v3
; %bb.10:
	v_lshlrev_b32_e32 v1, 7, v3
	s_delay_alu instid0(VALU_DEP_1)
	v_add3_u32 v1, v1, v0, 0xffffff80
	ds_store_b32 v1, v5
; %bb.11:
	s_or_b32 exec_lo, exec_lo, s3
	s_wait_dscnt 0x0
	s_barrier_signal -1
	s_barrier_wait -1
	global_inv scope:SCOPE_SE
	s_wait_kmcnt 0x0
	s_and_saveexec_b32 s2, vcc_lo
	s_cbranch_execz .LBB148_14
; %bb.12:
	ds_load_2addr_b32 v[3:4], v0 offset1:32
	ds_load_2addr_b32 v[6:7], v0 offset0:64 offset1:96
	ds_load_2addr_b32 v[8:9], v0 offset0:128 offset1:160
	ds_load_b32 v0, v0 offset:768
	s_mov_b32 s3, 0
	s_wait_dscnt 0x3
	v_add_f32_e32 v1, v5, v3
	v_mbcnt_lo_u32_b32 v3, -1, 0
	s_delay_alu instid0(VALU_DEP_2) | instskip(NEXT) | instid1(VALU_DEP_2)
	v_add_f32_e32 v1, v1, v4
	v_xor_b32_e32 v4, 16, v3
	s_wait_dscnt 0x2
	s_delay_alu instid0(VALU_DEP_2) | instskip(NEXT) | instid1(VALU_DEP_2)
	v_add_f32_e32 v1, v1, v6
	v_cmp_gt_i32_e32 vcc_lo, 32, v4
	s_wait_alu 0xfffd
	s_delay_alu instid0(VALU_DEP_2) | instskip(SKIP_1) | instid1(VALU_DEP_1)
	v_dual_add_f32 v1, v1, v7 :: v_dual_cndmask_b32 v4, v3, v4
	s_wait_dscnt 0x1
	v_add_f32_e32 v1, v1, v8
	s_delay_alu instid0(VALU_DEP_1) | instskip(SKIP_1) | instid1(VALU_DEP_1)
	v_add_f32_e32 v1, v1, v9
	s_wait_dscnt 0x0
	v_add_f32_e32 v0, v1, v0
	v_lshlrev_b32_e32 v1, 2, v4
	v_xor_b32_e32 v4, 8, v3
	ds_bpermute_b32 v1, v1, v0
	v_cmp_gt_i32_e32 vcc_lo, 32, v4
	s_wait_alu 0xfffd
	v_cndmask_b32_e32 v4, v3, v4, vcc_lo
	s_delay_alu instid0(VALU_DEP_1) | instskip(SKIP_4) | instid1(VALU_DEP_1)
	v_lshlrev_b32_e32 v4, 2, v4
	s_wait_dscnt 0x0
	v_add_f32_e32 v0, v0, v1
	ds_bpermute_b32 v1, v4, v0
	v_xor_b32_e32 v4, 4, v3
	v_cmp_gt_i32_e32 vcc_lo, 32, v4
	s_wait_alu 0xfffd
	v_cndmask_b32_e32 v4, v3, v4, vcc_lo
	s_delay_alu instid0(VALU_DEP_1) | instskip(SKIP_4) | instid1(VALU_DEP_1)
	v_lshlrev_b32_e32 v4, 2, v4
	s_wait_dscnt 0x0
	v_add_f32_e32 v0, v0, v1
	ds_bpermute_b32 v1, v4, v0
	v_xor_b32_e32 v4, 2, v3
	;; [unrolled: 9-line block ×3, first 2 shown]
	v_cmp_gt_i32_e32 vcc_lo, 32, v4
	s_wait_alu 0xfffd
	v_cndmask_b32_e32 v3, v3, v4, vcc_lo
	v_cmp_eq_u32_e32 vcc_lo, 0, v2
	s_wait_dscnt 0x0
	s_delay_alu instid0(VALU_DEP_2)
	v_dual_add_f32 v0, v0, v1 :: v_dual_lshlrev_b32 v3, 2, v3
	ds_bpermute_b32 v1, v3, v0
	s_and_b32 exec_lo, exec_lo, vcc_lo
	s_cbranch_execz .LBB148_14
; %bb.13:
	s_load_b64 s[0:1], s[0:1], 0x38
	s_mul_i32 s2, s6, s15
	s_mul_i32 s4, s14, s16
	s_add_co_i32 s2, s2, ttmp9
	v_mov_b32_e32 v2, 0
	s_wait_alu 0xfffe
	s_add_co_i32 s2, s2, s4
	s_wait_dscnt 0x0
	v_add_f32_e32 v0, v0, v1
	s_lshl_b64 s[2:3], s[2:3], 2
	s_wait_kmcnt 0x0
	s_add_nc_u64 s[0:1], s[0:1], s[2:3]
	global_store_b32 v2, v0, s[0:1]
.LBB148_14:
	s_endpgm
.LBB148_15:
                                        ; implicit-def: $sgpr19
	s_clause 0x1
	s_load_b128 s[4:7], s[0:1], 0x68
	s_load_b32 s2, s[0:1], 0x50
	s_branch .LBB148_2
	.section	.rodata,"a",@progbits
	.p2align	6, 0x0
	.amdhsa_kernel _ZL13mul_mat_vec_qIL9ggml_type14ELi1ELb0ELb0EEvPKvS2_PKi31ggml_cuda_mm_fusion_args_devicePfj15HIP_vector_typeIjLj3EEjjjS8_jjjS8_jjjj
		.amdhsa_group_segment_fixed_size 896
		.amdhsa_private_segment_fixed_size 0
		.amdhsa_kernarg_size 144
		.amdhsa_user_sgpr_count 2
		.amdhsa_user_sgpr_dispatch_ptr 0
		.amdhsa_user_sgpr_queue_ptr 0
		.amdhsa_user_sgpr_kernarg_segment_ptr 1
		.amdhsa_user_sgpr_dispatch_id 0
		.amdhsa_user_sgpr_private_segment_size 0
		.amdhsa_wavefront_size32 1
		.amdhsa_uses_dynamic_stack 0
		.amdhsa_enable_private_segment 0
		.amdhsa_system_sgpr_workgroup_id_x 1
		.amdhsa_system_sgpr_workgroup_id_y 1
		.amdhsa_system_sgpr_workgroup_id_z 1
		.amdhsa_system_sgpr_workgroup_info 0
		.amdhsa_system_vgpr_workitem_id 1
		.amdhsa_next_free_vgpr 26
		.amdhsa_next_free_sgpr 24
		.amdhsa_reserve_vcc 1
		.amdhsa_float_round_mode_32 0
		.amdhsa_float_round_mode_16_64 0
		.amdhsa_float_denorm_mode_32 3
		.amdhsa_float_denorm_mode_16_64 3
		.amdhsa_fp16_overflow 0
		.amdhsa_workgroup_processor_mode 1
		.amdhsa_memory_ordered 1
		.amdhsa_forward_progress 1
		.amdhsa_inst_pref_size 14
		.amdhsa_round_robin_scheduling 0
		.amdhsa_exception_fp_ieee_invalid_op 0
		.amdhsa_exception_fp_denorm_src 0
		.amdhsa_exception_fp_ieee_div_zero 0
		.amdhsa_exception_fp_ieee_overflow 0
		.amdhsa_exception_fp_ieee_underflow 0
		.amdhsa_exception_fp_ieee_inexact 0
		.amdhsa_exception_int_div_zero 0
	.end_amdhsa_kernel
	.section	.text._ZL13mul_mat_vec_qIL9ggml_type14ELi1ELb0ELb0EEvPKvS2_PKi31ggml_cuda_mm_fusion_args_devicePfj15HIP_vector_typeIjLj3EEjjjS8_jjjS8_jjjj,"axG",@progbits,_ZL13mul_mat_vec_qIL9ggml_type14ELi1ELb0ELb0EEvPKvS2_PKi31ggml_cuda_mm_fusion_args_devicePfj15HIP_vector_typeIjLj3EEjjjS8_jjjS8_jjjj,comdat
.Lfunc_end148:
	.size	_ZL13mul_mat_vec_qIL9ggml_type14ELi1ELb0ELb0EEvPKvS2_PKi31ggml_cuda_mm_fusion_args_devicePfj15HIP_vector_typeIjLj3EEjjjS8_jjjS8_jjjj, .Lfunc_end148-_ZL13mul_mat_vec_qIL9ggml_type14ELi1ELb0ELb0EEvPKvS2_PKi31ggml_cuda_mm_fusion_args_devicePfj15HIP_vector_typeIjLj3EEjjjS8_jjjS8_jjjj
                                        ; -- End function
	.set _ZL13mul_mat_vec_qIL9ggml_type14ELi1ELb0ELb0EEvPKvS2_PKi31ggml_cuda_mm_fusion_args_devicePfj15HIP_vector_typeIjLj3EEjjjS8_jjjS8_jjjj.num_vgpr, 26
	.set _ZL13mul_mat_vec_qIL9ggml_type14ELi1ELb0ELb0EEvPKvS2_PKi31ggml_cuda_mm_fusion_args_devicePfj15HIP_vector_typeIjLj3EEjjjS8_jjjS8_jjjj.num_agpr, 0
	.set _ZL13mul_mat_vec_qIL9ggml_type14ELi1ELb0ELb0EEvPKvS2_PKi31ggml_cuda_mm_fusion_args_devicePfj15HIP_vector_typeIjLj3EEjjjS8_jjjS8_jjjj.numbered_sgpr, 24
	.set _ZL13mul_mat_vec_qIL9ggml_type14ELi1ELb0ELb0EEvPKvS2_PKi31ggml_cuda_mm_fusion_args_devicePfj15HIP_vector_typeIjLj3EEjjjS8_jjjS8_jjjj.num_named_barrier, 0
	.set _ZL13mul_mat_vec_qIL9ggml_type14ELi1ELb0ELb0EEvPKvS2_PKi31ggml_cuda_mm_fusion_args_devicePfj15HIP_vector_typeIjLj3EEjjjS8_jjjS8_jjjj.private_seg_size, 0
	.set _ZL13mul_mat_vec_qIL9ggml_type14ELi1ELb0ELb0EEvPKvS2_PKi31ggml_cuda_mm_fusion_args_devicePfj15HIP_vector_typeIjLj3EEjjjS8_jjjS8_jjjj.uses_vcc, 1
	.set _ZL13mul_mat_vec_qIL9ggml_type14ELi1ELb0ELb0EEvPKvS2_PKi31ggml_cuda_mm_fusion_args_devicePfj15HIP_vector_typeIjLj3EEjjjS8_jjjS8_jjjj.uses_flat_scratch, 0
	.set _ZL13mul_mat_vec_qIL9ggml_type14ELi1ELb0ELb0EEvPKvS2_PKi31ggml_cuda_mm_fusion_args_devicePfj15HIP_vector_typeIjLj3EEjjjS8_jjjS8_jjjj.has_dyn_sized_stack, 0
	.set _ZL13mul_mat_vec_qIL9ggml_type14ELi1ELb0ELb0EEvPKvS2_PKi31ggml_cuda_mm_fusion_args_devicePfj15HIP_vector_typeIjLj3EEjjjS8_jjjS8_jjjj.has_recursion, 0
	.set _ZL13mul_mat_vec_qIL9ggml_type14ELi1ELb0ELb0EEvPKvS2_PKi31ggml_cuda_mm_fusion_args_devicePfj15HIP_vector_typeIjLj3EEjjjS8_jjjS8_jjjj.has_indirect_call, 0
	.section	.AMDGPU.csdata,"",@progbits
; Kernel info:
; codeLenInByte = 1672
; TotalNumSgprs: 26
; NumVgprs: 26
; ScratchSize: 0
; MemoryBound: 0
; FloatMode: 240
; IeeeMode: 1
; LDSByteSize: 896 bytes/workgroup (compile time only)
; SGPRBlocks: 0
; VGPRBlocks: 3
; NumSGPRsForWavesPerEU: 26
; NumVGPRsForWavesPerEU: 26
; Occupancy: 16
; WaveLimiterHint : 0
; COMPUTE_PGM_RSRC2:SCRATCH_EN: 0
; COMPUTE_PGM_RSRC2:USER_SGPR: 2
; COMPUTE_PGM_RSRC2:TRAP_HANDLER: 0
; COMPUTE_PGM_RSRC2:TGID_X_EN: 1
; COMPUTE_PGM_RSRC2:TGID_Y_EN: 1
; COMPUTE_PGM_RSRC2:TGID_Z_EN: 1
; COMPUTE_PGM_RSRC2:TIDIG_COMP_CNT: 1
	.section	.text._ZL13mul_mat_vec_qIL9ggml_type14ELi2ELb0ELb0EEvPKvS2_PKi31ggml_cuda_mm_fusion_args_devicePfj15HIP_vector_typeIjLj3EEjjjS8_jjjS8_jjjj,"axG",@progbits,_ZL13mul_mat_vec_qIL9ggml_type14ELi2ELb0ELb0EEvPKvS2_PKi31ggml_cuda_mm_fusion_args_devicePfj15HIP_vector_typeIjLj3EEjjjS8_jjjS8_jjjj,comdat
	.globl	_ZL13mul_mat_vec_qIL9ggml_type14ELi2ELb0ELb0EEvPKvS2_PKi31ggml_cuda_mm_fusion_args_devicePfj15HIP_vector_typeIjLj3EEjjjS8_jjjS8_jjjj ; -- Begin function _ZL13mul_mat_vec_qIL9ggml_type14ELi2ELb0ELb0EEvPKvS2_PKi31ggml_cuda_mm_fusion_args_devicePfj15HIP_vector_typeIjLj3EEjjjS8_jjjS8_jjjj
	.p2align	8
	.type	_ZL13mul_mat_vec_qIL9ggml_type14ELi2ELb0ELb0EEvPKvS2_PKi31ggml_cuda_mm_fusion_args_devicePfj15HIP_vector_typeIjLj3EEjjjS8_jjjS8_jjjj,@function
_ZL13mul_mat_vec_qIL9ggml_type14ELi2ELb0ELb0EEvPKvS2_PKi31ggml_cuda_mm_fusion_args_devicePfj15HIP_vector_typeIjLj3EEjjjS8_jjjS8_jjjj: ; @_ZL13mul_mat_vec_qIL9ggml_type14ELi2ELb0ELb0EEvPKvS2_PKi31ggml_cuda_mm_fusion_args_devicePfj15HIP_vector_typeIjLj3EEjjjS8_jjjS8_jjjj
; %bb.0:
	s_clause 0x5
	s_load_b32 s2, s[0:1], 0x40
	s_load_b128 s[4:7], s[0:1], 0x50
	s_load_b32 s23, s[0:1], 0x60
	s_load_b128 s[8:11], s[0:1], 0x68
	s_load_b32 s24, s[0:1], 0x78
	s_load_b96 s[16:18], s[0:1], 0x80
	v_bfe_u32 v5, v0, 10, 10
	v_dual_mov_b32 v6, 0 :: v_dual_mov_b32 v7, 0
	v_and_b32_e32 v4, 0x3ff, v0
	s_and_b32 s19, ttmp7, 0xffff
	s_lshr_b32 s20, ttmp7, 16
	s_mov_b32 s22, exec_lo
	s_wait_kmcnt 0x0
	s_lshr_b32 s21, s2, 8
	s_delay_alu instid0(SALU_CYCLE_1)
	v_cmpx_gt_u32_e64 s21, v5
	s_cbranch_execz .LBB149_4
; %bb.1:
	v_lshrrev_b32_e32 v0, 5, v4
	s_mul_hi_u32 s11, s11, s20
	s_mov_b32 s3, 0
	v_and_b32_e32 v7, 31, v4
	s_mul_i32 s26, s9, s19
	v_add_nc_u32_e32 v0, v0, v5
	v_and_b32_e32 v3, 15, v4
	s_add_co_i32 s9, s20, s11
	s_mov_b32 s27, s3
	s_lshr_b32 s11, s9, s24
	s_mul_u64 s[24:25], s[26:27], 36
	s_load_b128 s[12:15], s[0:1], 0x0
	v_dual_mov_b32 v7, 0 :: v_dual_lshlrev_b32 v12, 1, v7
	v_mad_co_u64_u32 v[0:1], null, 0x120, v0, s[24:25]
	v_lshrrev_b16 v6, 3, v3
	s_mul_i32 s2, s17, s20
	v_bfe_u32 v2, v4, 4, 1
	v_and_b32_e32 v14, 7, v4
	v_lshrrev_b16 v3, 2, v3
	v_dual_mov_b32 v15, v5 :: v_dual_and_b32 v6, 0xffff, v6
	v_mad_co_u64_u32 v[0:1], null, s2, 36, v[0:1]
	v_lshlrev_b32_e32 v9, 3, v2
	s_delay_alu instid0(VALU_DEP_3)
	v_lshl_or_b32 v8, v2, 2, v6
	s_mul_hi_u32 s7, s7, s19
	v_and_b32_e32 v11, 0xffff, v3
	s_add_co_i32 s7, s19, s7
	v_or_b32_e32 v10, v9, v14
	v_mad_co_u64_u32 v[2:3], null, v8, 36, v[0:1]
	s_mul_u64 s[28:29], s[2:3], 36
	s_lshr_b32 s7, s7, s23
	v_lshlrev_b32_e32 v13, 1, v10
	s_mul_i32 s7, s7, s8
	s_wait_kmcnt 0x0
	s_add_nc_u64 s[8:9], s[14:15], s[28:29]
	s_mul_i32 s4, s4, ttmp9
	s_add_nc_u64 s[8:9], s[8:9], s[24:25]
	v_add_co_u32 v2, vcc_lo, s14, v2
	v_mad_co_u64_u32 v[0:1], null, v8, 36, s[8:9]
	v_lshlrev_b32_e32 v8, 1, v6
	v_or_b32_e32 v9, v9, v11
	v_lshlrev_b32_e32 v10, 2, v14
	v_add_co_ci_u32_e64 v3, null, s15, v3, vcc_lo
	v_lshl_add_u32 v11, v5, 3, s5
	v_lshlrev_b32_e32 v12, 1, v12
	v_lshlrev_b32_e32 v13, 1, v13
	;; [unrolled: 1-line block ×3, first 2 shown]
	v_mov_b32_e32 v6, 0
	s_mul_i32 s11, s11, s16
	s_add_co_i32 s7, s7, s4
	s_delay_alu instid0(SALU_CYCLE_1)
	s_add_co_i32 s2, s11, s7
.LBB149_2:                              ; =>This Inner Loop Header: Depth=1
	s_wait_alu 0xfffe
	v_add_nc_u32_e32 v16, s2, v15
	v_add_nc_u32_e32 v15, 1, v15
	s_delay_alu instid0(VALU_DEP_2) | instskip(NEXT) | instid1(VALU_DEP_1)
	v_mad_co_i64_i32 v[16:17], null, 0xd2, v16, s[12:13]
	v_add_co_u32 v18, vcc_lo, v16, v13
	s_wait_alu 0xfffd
	s_delay_alu instid0(VALU_DEP_2)
	v_add_co_ci_u32_e64 v19, null, 0, v17, vcc_lo
	v_add_co_u32 v20, vcc_lo, v16, v12
	s_wait_alu 0xfffd
	v_add_co_ci_u32_e64 v21, null, 0, v17, vcc_lo
	s_clause 0x1
	global_load_b32 v26, v[18:19], off offset:128
	global_load_b32 v27, v[20:21], off
	v_add_co_u32 v20, vcc_lo, v2, v10
	v_mad_co_u64_u32 v[18:19], null, v11, 36, v[0:1]
	s_wait_alu 0xfffd
	v_add_co_ci_u32_e64 v21, null, 0, v3, vcc_lo
	v_add_nc_u32_e32 v11, 8, v11
	global_load_b32 v28, v[20:21], off offset:4
	v_add_co_u32 v22, vcc_lo, v18, v14
	s_wait_alu 0xfffd
	v_add_co_ci_u32_e64 v23, null, 0, v19, vcc_lo
	v_add_co_u32 v24, vcc_lo, v16, v9
	s_wait_alu 0xfffd
	v_add_co_ci_u32_e64 v25, null, 0, v17, vcc_lo
	global_load_b32 v29, v[22:23], off offset:4
	global_load_b32 v20, v[20:21], off offset:76
	;; [unrolled: 1-line block ×3, first 2 shown]
	s_clause 0x1
	global_load_i8 v22, v[24:25], off offset:192
	global_load_i8 v23, v[24:25], off offset:196
	global_load_b32 v24, v[2:3], off
	global_load_b32 v25, v[18:19], off
	global_load_b32 v30, v[2:3], off offset:72
	global_load_b32 v18, v[18:19], off offset:72
	global_load_u16 v16, v[16:17], off offset:208
	v_add_co_u32 v2, vcc_lo, 0x120, v2
	s_wait_alu 0xfffd
	v_add_co_ci_u32_e64 v3, null, 0, v3, vcc_lo
	v_cmp_le_u32_e32 vcc_lo, s21, v15
	s_or_b32 s3, vcc_lo, s3
	s_wait_loadcnt 0xc
	v_ashrrev_i32_e32 v17, v8, v26
	s_wait_loadcnt 0xb
	v_lshrrev_b32_e32 v19, 4, v27
	v_and_b32_e32 v26, 0xf0f0f0f, v27
	s_delay_alu instid0(VALU_DEP_3) | instskip(NEXT) | instid1(VALU_DEP_3)
	v_lshlrev_b32_e32 v27, 4, v17
	v_and_b32_e32 v19, 0xf0f0f0f, v19
	s_delay_alu instid0(VALU_DEP_2) | instskip(NEXT) | instid1(VALU_DEP_2)
	v_and_or_b32 v26, 0x30303030, v27, v26
	v_and_or_b32 v17, 0x30303030, v17, v19
	s_delay_alu instid0(VALU_DEP_2) | instskip(SKIP_1) | instid1(VALU_DEP_3)
	v_lshrrev_b32_e32 v19, 16, v26
	v_lshlrev_b16 v27, 8, v26
	v_lshrrev_b32_e32 v31, 16, v17
	v_lshlrev_b16 v32, 8, v17
	v_and_b32_e32 v26, 0x3f00, v26
	v_lshlrev_b16 v33, 8, v19
	v_add_nc_u16 v27, 0xe000, v27
	v_lshlrev_b16 v34, 8, v31
	v_and_b32_e32 v19, 0x3f00, v19
	v_add_nc_u16 v32, 0xe000, v32
	v_add_nc_u16 v33, 0xe000, v33
	v_lshrrev_b16 v27, 8, v27
	v_add_nc_u16 v34, 0xe000, v34
	v_and_b32_e32 v17, 0x3f00, v17
	v_and_b32_e32 v31, 0x3f00, v31
	v_lshrrev_b16 v33, 8, v33
	v_lshrrev_b16 v32, 8, v32
	v_or_b32_e32 v26, v26, v27
	v_lshrrev_b16 v27, 8, v34
	s_delay_alu instid0(VALU_DEP_4) | instskip(NEXT) | instid1(VALU_DEP_4)
	v_or_b32_e32 v19, v19, v33
	v_or_b32_e32 v17, v17, v32
	s_delay_alu instid0(VALU_DEP_4) | instskip(NEXT) | instid1(VALU_DEP_4)
	v_add_nc_u16 v26, 0xe000, v26
	v_or_b32_e32 v27, v31, v27
	s_delay_alu instid0(VALU_DEP_4) | instskip(NEXT) | instid1(VALU_DEP_4)
	v_add_nc_u16 v19, 0xe000, v19
	v_add_nc_u16 v17, 0xe000, v17
	s_delay_alu instid0(VALU_DEP_4) | instskip(NEXT) | instid1(VALU_DEP_4)
	v_and_b32_e32 v26, 0xffff, v26
	v_add_nc_u16 v27, 0xe000, v27
	s_delay_alu instid0(VALU_DEP_4) | instskip(NEXT) | instid1(VALU_DEP_4)
	v_lshlrev_b32_e32 v19, 16, v19
	v_and_b32_e32 v17, 0xffff, v17
	s_delay_alu instid0(VALU_DEP_3) | instskip(NEXT) | instid1(VALU_DEP_3)
	v_lshlrev_b32_e32 v27, 16, v27
	v_or_b32_e32 v19, v26, v19
	s_delay_alu instid0(VALU_DEP_2) | instskip(SKIP_1) | instid1(VALU_DEP_2)
	v_or_b32_e32 v17, v17, v27
	s_wait_loadcnt 0x9
	v_dot4_i32_iu8 v26, v19, v29, 0 neg_lo:[1,1,0]
	v_dot4_i32_iu8 v19, v19, v28, 0 neg_lo:[1,1,0]
	s_wait_loadcnt 0x8
	v_dot4_i32_iu8 v20, v17, v20, 0 neg_lo:[1,1,0]
	s_wait_loadcnt 0x7
	;; [unrolled: 2-line block ×3, first 2 shown]
	v_mul_lo_u32 v21, v26, v22
	v_mul_lo_u32 v19, v19, v22
	s_wait_loadcnt 0x5
	v_mul_lo_u32 v20, v20, v23
	v_mul_lo_u32 v17, v17, v23
	s_delay_alu instid0(VALU_DEP_4) | instskip(NEXT) | instid1(VALU_DEP_4)
	v_cvt_f32_i32_e32 v21, v21
	v_cvt_f32_i32_e32 v19, v19
	s_delay_alu instid0(VALU_DEP_4) | instskip(NEXT) | instid1(VALU_DEP_4)
	v_cvt_f32_i32_e32 v20, v20
	v_cvt_f32_i32_e32 v17, v17
	s_wait_loadcnt 0x3
	v_fma_mix_f32 v21, v25, v21, 0 op_sel_hi:[1,0,0]
	v_fma_mix_f32 v19, v24, v19, 0 op_sel_hi:[1,0,0]
	s_wait_loadcnt 0x1
	s_delay_alu instid0(VALU_DEP_2) | instskip(NEXT) | instid1(VALU_DEP_2)
	v_fma_mix_f32 v17, v18, v17, v21 op_sel_hi:[1,0,0]
	v_fma_mix_f32 v18, v30, v20, v19 op_sel_hi:[1,0,0]
	s_wait_loadcnt 0x0
	s_delay_alu instid0(VALU_DEP_2) | instskip(NEXT) | instid1(VALU_DEP_2)
	v_fma_mix_f32 v6, v17, v16, v6 op_sel_hi:[0,1,0]
	v_fma_mix_f32 v7, v18, v16, v7 op_sel_hi:[0,1,0]
	s_wait_alu 0xfffe
	s_and_not1_b32 exec_lo, exec_lo, s3
	s_cbranch_execnz .LBB149_2
; %bb.3:
	s_or_b32 exec_lo, exec_lo, s3
.LBB149_4:
	s_delay_alu instid0(SALU_CYCLE_1)
	s_or_b32 exec_lo, exec_lo, s22
	s_mov_b32 s3, 0
	; wave barrier
	global_inv scope:SCOPE_SE
	s_mov_b32 s2, exec_lo
	v_cmpx_eq_u32_e32 0, v5
	s_cbranch_execz .LBB149_9
; %bb.5:
	v_mbcnt_lo_u32_b32 v5, -1, 0
	s_load_b64 s[0:1], s[0:1], 0x38
	s_mul_i32 s2, s10, s19
	s_mul_i32 s4, s18, s20
	s_wait_alu 0xfffe
	s_add_co_i32 s2, s2, ttmp9
	v_xor_b32_e32 v0, 16, v5
	v_xor_b32_e32 v1, 8, v5
	;; [unrolled: 1-line block ×3, first 2 shown]
	s_wait_alu 0xfffe
	s_add_co_i32 s2, s2, s4
	s_wait_alu 0xfffe
	s_lshl_b64 s[2:3], s[2:3], 2
	v_cmp_gt_i32_e32 vcc_lo, 32, v0
	s_wait_alu 0xfffd
	v_cndmask_b32_e32 v0, v5, v0, vcc_lo
	v_cmp_gt_i32_e32 vcc_lo, 32, v1
	s_wait_kmcnt 0x0
	s_wait_alu 0xfffe
	s_add_nc_u64 s[0:1], s[0:1], s[2:3]
	s_wait_alu 0xfffd
	v_cndmask_b32_e32 v1, v5, v1, vcc_lo
	s_delay_alu instid0(VALU_DEP_1)
	v_lshlrev_b32_e32 v1, 2, v1
	v_lshlrev_b32_e32 v0, 2, v0
	ds_bpermute_b32 v2, v0, v7
	s_wait_dscnt 0x0
	v_add_f32_e32 v3, v7, v2
	v_xor_b32_e32 v2, 4, v5
	ds_bpermute_b32 v7, v1, v3
	v_cmp_gt_i32_e32 vcc_lo, 32, v2
	s_wait_dscnt 0x0
	s_wait_alu 0xfffd
	v_dual_cndmask_b32 v2, v5, v2 :: v_dual_add_f32 v7, v3, v7
	s_delay_alu instid0(VALU_DEP_1)
	v_lshlrev_b32_e32 v2, 2, v2
	v_xor_b32_e32 v3, 2, v5
	ds_bpermute_b32 v8, v2, v7
	v_cmp_gt_i32_e32 vcc_lo, 32, v3
	s_wait_alu 0xfffd
	v_cndmask_b32_e32 v3, v5, v3, vcc_lo
	v_cmp_gt_i32_e32 vcc_lo, 32, v9
	s_delay_alu instid0(VALU_DEP_2) | instskip(SKIP_3) | instid1(VALU_DEP_2)
	v_lshlrev_b32_e32 v3, 2, v3
	s_wait_alu 0xfffd
	v_cndmask_b32_e32 v5, v5, v9, vcc_lo
	v_cmp_eq_u32_e32 vcc_lo, 0, v4
	v_lshlrev_b32_e32 v5, 2, v5
	s_wait_dscnt 0x0
	v_add_f32_e32 v7, v7, v8
	ds_bpermute_b32 v8, v3, v7
	s_wait_dscnt 0x0
	v_add_f32_e32 v7, v7, v8
	ds_bpermute_b32 v8, v5, v7
	s_and_saveexec_b32 s2, vcc_lo
	s_cbranch_execz .LBB149_7
; %bb.6:
	s_wait_dscnt 0x0
	v_dual_add_f32 v4, v7, v8 :: v_dual_mov_b32 v7, 0
	global_store_b32 v7, v4, s[0:1]
.LBB149_7:
	s_wait_alu 0xfffe
	s_or_b32 exec_lo, exec_lo, s2
	ds_bpermute_b32 v0, v0, v6
	s_wait_dscnt 0x0
	v_add_f32_e32 v0, v6, v0
	ds_bpermute_b32 v1, v1, v0
	s_wait_dscnt 0x0
	v_add_f32_e32 v0, v0, v1
	ds_bpermute_b32 v1, v2, v0
	s_wait_dscnt 0x0
	v_add_f32_e32 v0, v0, v1
	ds_bpermute_b32 v1, v3, v0
	s_wait_dscnt 0x0
	v_add_f32_e32 v0, v0, v1
	ds_bpermute_b32 v1, v5, v0
	s_and_b32 exec_lo, exec_lo, vcc_lo
	s_cbranch_execz .LBB149_9
; %bb.8:
	s_mov_b32 s7, 0
	s_wait_dscnt 0x0
	v_dual_add_f32 v0, v0, v1 :: v_dual_mov_b32 v1, 0
	s_lshl_b64 s[2:3], s[6:7], 2
	s_wait_alu 0xfffe
	s_add_nc_u64 s[0:1], s[0:1], s[2:3]
	global_store_b32 v1, v0, s[0:1]
.LBB149_9:
	s_endpgm
	.section	.rodata,"a",@progbits
	.p2align	6, 0x0
	.amdhsa_kernel _ZL13mul_mat_vec_qIL9ggml_type14ELi2ELb0ELb0EEvPKvS2_PKi31ggml_cuda_mm_fusion_args_devicePfj15HIP_vector_typeIjLj3EEjjjS8_jjjS8_jjjj
		.amdhsa_group_segment_fixed_size 0
		.amdhsa_private_segment_fixed_size 0
		.amdhsa_kernarg_size 144
		.amdhsa_user_sgpr_count 2
		.amdhsa_user_sgpr_dispatch_ptr 0
		.amdhsa_user_sgpr_queue_ptr 0
		.amdhsa_user_sgpr_kernarg_segment_ptr 1
		.amdhsa_user_sgpr_dispatch_id 0
		.amdhsa_user_sgpr_private_segment_size 0
		.amdhsa_wavefront_size32 1
		.amdhsa_uses_dynamic_stack 0
		.amdhsa_enable_private_segment 0
		.amdhsa_system_sgpr_workgroup_id_x 1
		.amdhsa_system_sgpr_workgroup_id_y 1
		.amdhsa_system_sgpr_workgroup_id_z 1
		.amdhsa_system_sgpr_workgroup_info 0
		.amdhsa_system_vgpr_workitem_id 1
		.amdhsa_next_free_vgpr 35
		.amdhsa_next_free_sgpr 30
		.amdhsa_reserve_vcc 1
		.amdhsa_float_round_mode_32 0
		.amdhsa_float_round_mode_16_64 0
		.amdhsa_float_denorm_mode_32 3
		.amdhsa_float_denorm_mode_16_64 3
		.amdhsa_fp16_overflow 0
		.amdhsa_workgroup_processor_mode 1
		.amdhsa_memory_ordered 1
		.amdhsa_forward_progress 1
		.amdhsa_inst_pref_size 14
		.amdhsa_round_robin_scheduling 0
		.amdhsa_exception_fp_ieee_invalid_op 0
		.amdhsa_exception_fp_denorm_src 0
		.amdhsa_exception_fp_ieee_div_zero 0
		.amdhsa_exception_fp_ieee_overflow 0
		.amdhsa_exception_fp_ieee_underflow 0
		.amdhsa_exception_fp_ieee_inexact 0
		.amdhsa_exception_int_div_zero 0
	.end_amdhsa_kernel
	.section	.text._ZL13mul_mat_vec_qIL9ggml_type14ELi2ELb0ELb0EEvPKvS2_PKi31ggml_cuda_mm_fusion_args_devicePfj15HIP_vector_typeIjLj3EEjjjS8_jjjS8_jjjj,"axG",@progbits,_ZL13mul_mat_vec_qIL9ggml_type14ELi2ELb0ELb0EEvPKvS2_PKi31ggml_cuda_mm_fusion_args_devicePfj15HIP_vector_typeIjLj3EEjjjS8_jjjS8_jjjj,comdat
.Lfunc_end149:
	.size	_ZL13mul_mat_vec_qIL9ggml_type14ELi2ELb0ELb0EEvPKvS2_PKi31ggml_cuda_mm_fusion_args_devicePfj15HIP_vector_typeIjLj3EEjjjS8_jjjS8_jjjj, .Lfunc_end149-_ZL13mul_mat_vec_qIL9ggml_type14ELi2ELb0ELb0EEvPKvS2_PKi31ggml_cuda_mm_fusion_args_devicePfj15HIP_vector_typeIjLj3EEjjjS8_jjjS8_jjjj
                                        ; -- End function
	.set _ZL13mul_mat_vec_qIL9ggml_type14ELi2ELb0ELb0EEvPKvS2_PKi31ggml_cuda_mm_fusion_args_devicePfj15HIP_vector_typeIjLj3EEjjjS8_jjjS8_jjjj.num_vgpr, 35
	.set _ZL13mul_mat_vec_qIL9ggml_type14ELi2ELb0ELb0EEvPKvS2_PKi31ggml_cuda_mm_fusion_args_devicePfj15HIP_vector_typeIjLj3EEjjjS8_jjjS8_jjjj.num_agpr, 0
	.set _ZL13mul_mat_vec_qIL9ggml_type14ELi2ELb0ELb0EEvPKvS2_PKi31ggml_cuda_mm_fusion_args_devicePfj15HIP_vector_typeIjLj3EEjjjS8_jjjS8_jjjj.numbered_sgpr, 30
	.set _ZL13mul_mat_vec_qIL9ggml_type14ELi2ELb0ELb0EEvPKvS2_PKi31ggml_cuda_mm_fusion_args_devicePfj15HIP_vector_typeIjLj3EEjjjS8_jjjS8_jjjj.num_named_barrier, 0
	.set _ZL13mul_mat_vec_qIL9ggml_type14ELi2ELb0ELb0EEvPKvS2_PKi31ggml_cuda_mm_fusion_args_devicePfj15HIP_vector_typeIjLj3EEjjjS8_jjjS8_jjjj.private_seg_size, 0
	.set _ZL13mul_mat_vec_qIL9ggml_type14ELi2ELb0ELb0EEvPKvS2_PKi31ggml_cuda_mm_fusion_args_devicePfj15HIP_vector_typeIjLj3EEjjjS8_jjjS8_jjjj.uses_vcc, 1
	.set _ZL13mul_mat_vec_qIL9ggml_type14ELi2ELb0ELb0EEvPKvS2_PKi31ggml_cuda_mm_fusion_args_devicePfj15HIP_vector_typeIjLj3EEjjjS8_jjjS8_jjjj.uses_flat_scratch, 0
	.set _ZL13mul_mat_vec_qIL9ggml_type14ELi2ELb0ELb0EEvPKvS2_PKi31ggml_cuda_mm_fusion_args_devicePfj15HIP_vector_typeIjLj3EEjjjS8_jjjS8_jjjj.has_dyn_sized_stack, 0
	.set _ZL13mul_mat_vec_qIL9ggml_type14ELi2ELb0ELb0EEvPKvS2_PKi31ggml_cuda_mm_fusion_args_devicePfj15HIP_vector_typeIjLj3EEjjjS8_jjjS8_jjjj.has_recursion, 0
	.set _ZL13mul_mat_vec_qIL9ggml_type14ELi2ELb0ELb0EEvPKvS2_PKi31ggml_cuda_mm_fusion_args_devicePfj15HIP_vector_typeIjLj3EEjjjS8_jjjS8_jjjj.has_indirect_call, 0
	.section	.AMDGPU.csdata,"",@progbits
; Kernel info:
; codeLenInByte = 1720
; TotalNumSgprs: 32
; NumVgprs: 35
; ScratchSize: 0
; MemoryBound: 0
; FloatMode: 240
; IeeeMode: 1
; LDSByteSize: 0 bytes/workgroup (compile time only)
; SGPRBlocks: 0
; VGPRBlocks: 4
; NumSGPRsForWavesPerEU: 32
; NumVGPRsForWavesPerEU: 35
; Occupancy: 16
; WaveLimiterHint : 0
; COMPUTE_PGM_RSRC2:SCRATCH_EN: 0
; COMPUTE_PGM_RSRC2:USER_SGPR: 2
; COMPUTE_PGM_RSRC2:TRAP_HANDLER: 0
; COMPUTE_PGM_RSRC2:TGID_X_EN: 1
; COMPUTE_PGM_RSRC2:TGID_Y_EN: 1
; COMPUTE_PGM_RSRC2:TGID_Z_EN: 1
; COMPUTE_PGM_RSRC2:TIDIG_COMP_CNT: 1
	.section	.text._ZL13mul_mat_vec_qIL9ggml_type14ELi3ELb0ELb0EEvPKvS2_PKi31ggml_cuda_mm_fusion_args_devicePfj15HIP_vector_typeIjLj3EEjjjS8_jjjS8_jjjj,"axG",@progbits,_ZL13mul_mat_vec_qIL9ggml_type14ELi3ELb0ELb0EEvPKvS2_PKi31ggml_cuda_mm_fusion_args_devicePfj15HIP_vector_typeIjLj3EEjjjS8_jjjS8_jjjj,comdat
	.globl	_ZL13mul_mat_vec_qIL9ggml_type14ELi3ELb0ELb0EEvPKvS2_PKi31ggml_cuda_mm_fusion_args_devicePfj15HIP_vector_typeIjLj3EEjjjS8_jjjS8_jjjj ; -- Begin function _ZL13mul_mat_vec_qIL9ggml_type14ELi3ELb0ELb0EEvPKvS2_PKi31ggml_cuda_mm_fusion_args_devicePfj15HIP_vector_typeIjLj3EEjjjS8_jjjS8_jjjj
	.p2align	8
	.type	_ZL13mul_mat_vec_qIL9ggml_type14ELi3ELb0ELb0EEvPKvS2_PKi31ggml_cuda_mm_fusion_args_devicePfj15HIP_vector_typeIjLj3EEjjjS8_jjjS8_jjjj,@function
_ZL13mul_mat_vec_qIL9ggml_type14ELi3ELb0ELb0EEvPKvS2_PKi31ggml_cuda_mm_fusion_args_devicePfj15HIP_vector_typeIjLj3EEjjjS8_jjjS8_jjjj: ; @_ZL13mul_mat_vec_qIL9ggml_type14ELi3ELb0ELb0EEvPKvS2_PKi31ggml_cuda_mm_fusion_args_devicePfj15HIP_vector_typeIjLj3EEjjjS8_jjjS8_jjjj
; %bb.0:
	s_clause 0x5
	s_load_b32 s2, s[0:1], 0x40
	s_load_b128 s[4:7], s[0:1], 0x50
	s_load_b32 s23, s[0:1], 0x60
	s_load_b128 s[8:11], s[0:1], 0x68
	s_load_b32 s24, s[0:1], 0x78
	s_load_b96 s[16:18], s[0:1], 0x80
	v_bfe_u32 v6, v0, 10, 10
	v_dual_mov_b32 v5, 0 :: v_dual_and_b32 v4, 0x3ff, v0
	v_dual_mov_b32 v7, 0 :: v_dual_mov_b32 v8, 0
	s_and_b32 s19, ttmp7, 0xffff
	s_lshr_b32 s20, ttmp7, 16
	s_mov_b32 s21, exec_lo
	s_wait_kmcnt 0x0
	s_lshr_b32 s22, s2, 8
	s_delay_alu instid0(SALU_CYCLE_1)
	v_cmpx_gt_u32_e64 s22, v6
	s_cbranch_execz .LBB150_4
; %bb.1:
	v_and_b32_e32 v3, 15, v4
	v_lshrrev_b32_e32 v0, 5, v4
	s_mul_hi_u32 s11, s11, s20
	s_mov_b32 s3, 0
	s_mul_i32 s26, s9, s19
	v_lshrrev_b16 v5, 3, v3
	v_add_nc_u32_e32 v0, v0, v6
	s_add_co_i32 s9, s20, s11
	s_mov_b32 s27, s3
	s_lshr_b32 s11, s9, s24
	s_mul_u64 s[24:25], s[26:27], 36
	s_load_b128 s[12:15], s[0:1], 0x0
	v_dual_mov_b32 v5, 0 :: v_dual_and_b32 v10, 0xffff, v5
	v_mad_co_u64_u32 v[0:1], null, 0x120, v0, s[24:25]
	v_bfe_u32 v2, v4, 4, 1
	s_mul_i32 s2, s17, s20
	v_dual_mov_b32 v17, v6 :: v_dual_and_b32 v8, 7, v4
	v_lshrrev_b16 v3, 2, v3
	s_delay_alu instid0(VALU_DEP_3) | instskip(SKIP_3) | instid1(VALU_DEP_3)
	v_lshlrev_b32_e32 v7, 3, v2
	v_mad_co_u64_u32 v[0:1], null, s2, 36, v[0:1]
	v_lshl_or_b32 v12, v2, 2, v10
	s_mul_hi_u32 s7, s7, s19
	v_or_b32_e32 v11, v7, v8
	s_add_co_i32 s7, s19, s7
	v_and_b32_e32 v9, 31, v4
	s_mul_u64 s[28:29], s[2:3], 36
	s_lshr_b32 s7, s7, s23
	v_lshlrev_b32_e32 v15, 1, v11
	v_and_b32_e32 v11, 0xffff, v3
	v_mad_co_u64_u32 v[2:3], null, v12, 36, v[0:1]
	s_mul_i32 s7, s7, s8
	s_wait_kmcnt 0x0
	s_add_nc_u64 s[8:9], s[14:15], s[28:29]
	v_lshlrev_b32_e32 v14, 1, v9
	s_add_nc_u64 s[8:9], s[8:9], s[24:25]
	v_lshlrev_b32_e32 v9, 1, v10
	v_or_b32_e32 v10, v7, v11
	v_lshlrev_b32_e32 v7, 3, v6
	v_mad_co_u64_u32 v[0:1], null, v12, 36, s[8:9]
	v_add_co_u32 v2, vcc_lo, s14, v2
	s_mul_i32 s4, s4, ttmp9
	v_lshlrev_b32_e32 v11, 2, v8
	v_add_co_ci_u32_e64 v3, null, s15, v3, vcc_lo
	v_lshl_add_u32 v12, s5, 1, v7
	v_add_nc_u32_e32 v13, s5, v7
	v_lshlrev_b32_e32 v14, 1, v14
	v_lshlrev_b32_e32 v15, 1, v15
	;; [unrolled: 1-line block ×3, first 2 shown]
	v_dual_mov_b32 v8, 0 :: v_dual_mov_b32 v7, 0
	s_mul_i32 s11, s11, s16
	s_add_co_i32 s7, s7, s4
	s_delay_alu instid0(SALU_CYCLE_1)
	s_add_co_i32 s2, s11, s7
.LBB150_2:                              ; =>This Inner Loop Header: Depth=1
	s_wait_alu 0xfffe
	v_add_nc_u32_e32 v18, s2, v17
	v_mad_co_u64_u32 v[24:25], null, v12, 36, v[0:1]
	v_add_nc_u32_e32 v17, 1, v17
	v_add_nc_u32_e32 v12, 8, v12
	s_delay_alu instid0(VALU_DEP_4) | instskip(NEXT) | instid1(VALU_DEP_1)
	v_mad_co_i64_i32 v[18:19], null, 0xd2, v18, s[12:13]
	v_add_co_u32 v20, vcc_lo, v18, v15
	s_wait_alu 0xfffd
	s_delay_alu instid0(VALU_DEP_2)
	v_add_co_ci_u32_e64 v21, null, 0, v19, vcc_lo
	v_add_co_u32 v22, vcc_lo, v18, v14
	s_wait_alu 0xfffd
	v_add_co_ci_u32_e64 v23, null, 0, v19, vcc_lo
	s_clause 0x1
	global_load_b32 v30, v[20:21], off offset:128
	global_load_b32 v31, v[22:23], off
	v_add_co_u32 v20, vcc_lo, v2, v11
	v_mad_co_u64_u32 v[22:23], null, v13, 36, v[0:1]
	s_wait_alu 0xfffd
	v_add_co_ci_u32_e64 v21, null, 0, v3, vcc_lo
	s_clause 0x1
	global_load_b32 v32, v[20:21], off offset:4
	global_load_b32 v33, v[20:21], off offset:76
	v_add_co_u32 v20, vcc_lo, v22, v16
	s_wait_alu 0xfffd
	v_add_co_ci_u32_e64 v21, null, 0, v23, vcc_lo
	v_add_co_u32 v26, vcc_lo, v24, v16
	s_wait_alu 0xfffd
	v_add_co_ci_u32_e64 v27, null, 0, v25, vcc_lo
	;; [unrolled: 3-line block ×3, first 2 shown]
	s_clause 0x3
	global_load_b32 v34, v[20:21], off offset:4
	global_load_b32 v20, v[20:21], off offset:76
	;; [unrolled: 1-line block ×4, first 2 shown]
	s_clause 0x1
	global_load_i8 v27, v[28:29], off offset:192
	global_load_i8 v28, v[28:29], off offset:196
	global_load_b32 v29, v[2:3], off
	s_clause 0x1
	global_load_b32 v35, v[22:23], off
	global_load_b32 v36, v[24:25], off
	global_load_b32 v37, v[2:3], off offset:72
	s_clause 0x1
	global_load_b32 v24, v[24:25], off offset:72
	global_load_b32 v22, v[22:23], off offset:72
	global_load_u16 v18, v[18:19], off offset:208
	v_add_co_u32 v2, vcc_lo, 0x120, v2
	s_wait_alu 0xfffd
	v_add_co_ci_u32_e64 v3, null, 0, v3, vcc_lo
	v_cmp_le_u32_e32 vcc_lo, s22, v17
	v_add_nc_u32_e32 v13, 8, v13
	s_or_b32 s3, vcc_lo, s3
	s_wait_loadcnt 0x10
	v_ashrrev_i32_e32 v19, v9, v30
	s_wait_loadcnt 0xf
	v_lshrrev_b32_e32 v23, 4, v31
	v_and_b32_e32 v25, 0xf0f0f0f, v31
	s_delay_alu instid0(VALU_DEP_3) | instskip(NEXT) | instid1(VALU_DEP_3)
	v_lshlrev_b32_e32 v30, 4, v19
	v_and_b32_e32 v23, 0xf0f0f0f, v23
	s_delay_alu instid0(VALU_DEP_2) | instskip(NEXT) | instid1(VALU_DEP_2)
	v_and_or_b32 v25, 0x30303030, v30, v25
	v_and_or_b32 v19, 0x30303030, v19, v23
	s_delay_alu instid0(VALU_DEP_2) | instskip(SKIP_1) | instid1(VALU_DEP_3)
	v_lshrrev_b32_e32 v23, 16, v25
	v_lshlrev_b16 v30, 8, v25
	v_lshrrev_b32_e32 v31, 16, v19
	v_and_b32_e32 v38, 0x3f00, v19
	v_lshlrev_b16 v19, 8, v19
	v_lshlrev_b16 v39, 8, v23
	v_add_nc_u16 v30, 0xe000, v30
	v_lshlrev_b16 v40, 8, v31
	v_and_b32_e32 v25, 0x3f00, v25
	v_and_b32_e32 v23, 0x3f00, v23
	v_add_nc_u16 v39, 0xe000, v39
	v_add_nc_u16 v19, 0xe000, v19
	;; [unrolled: 1-line block ×3, first 2 shown]
	v_lshrrev_b16 v30, 8, v30
	v_and_b32_e32 v31, 0x3f00, v31
	v_lshrrev_b16 v39, 8, v39
	v_lshrrev_b16 v19, 8, v19
	;; [unrolled: 1-line block ×3, first 2 shown]
	v_or_b32_e32 v25, v25, v30
	s_delay_alu instid0(VALU_DEP_4) | instskip(NEXT) | instid1(VALU_DEP_4)
	v_or_b32_e32 v23, v23, v39
	v_or_b32_e32 v19, v38, v19
	s_delay_alu instid0(VALU_DEP_4) | instskip(NEXT) | instid1(VALU_DEP_4)
	v_or_b32_e32 v30, v31, v40
	v_add_nc_u16 v25, 0xe000, v25
	s_delay_alu instid0(VALU_DEP_4) | instskip(NEXT) | instid1(VALU_DEP_4)
	v_add_nc_u16 v23, 0xe000, v23
	v_add_nc_u16 v19, 0xe000, v19
	s_delay_alu instid0(VALU_DEP_4) | instskip(NEXT) | instid1(VALU_DEP_4)
	v_add_nc_u16 v30, 0xe000, v30
	v_and_b32_e32 v25, 0xffff, v25
	s_delay_alu instid0(VALU_DEP_4) | instskip(NEXT) | instid1(VALU_DEP_4)
	v_lshlrev_b32_e32 v23, 16, v23
	v_and_b32_e32 v19, 0xffff, v19
	s_delay_alu instid0(VALU_DEP_4) | instskip(NEXT) | instid1(VALU_DEP_3)
	v_lshlrev_b32_e32 v30, 16, v30
	v_or_b32_e32 v23, v25, v23
	s_delay_alu instid0(VALU_DEP_2) | instskip(SKIP_1) | instid1(VALU_DEP_2)
	v_or_b32_e32 v19, v19, v30
	s_wait_loadcnt 0xe
	v_dot4_i32_iu8 v25, v23, v32, 0 neg_lo:[1,1,0]
	s_wait_loadcnt 0xc
	v_dot4_i32_iu8 v30, v23, v34, 0 neg_lo:[1,1,0]
	s_wait_loadcnt 0xa
	v_dot4_i32_iu8 v21, v23, v21, 0 neg_lo:[1,1,0]
	v_dot4_i32_iu8 v31, v19, v33, 0 neg_lo:[1,1,0]
	v_dot4_i32_iu8 v20, v19, v20, 0 neg_lo:[1,1,0]
	s_wait_loadcnt 0x9
	v_dot4_i32_iu8 v19, v19, v26, 0 neg_lo:[1,1,0]
	s_wait_loadcnt 0x8
	v_mul_lo_u32 v23, v30, v27
	v_mul_lo_u32 v25, v25, v27
	;; [unrolled: 1-line block ×3, first 2 shown]
	s_wait_loadcnt 0x7
	v_mul_lo_u32 v26, v31, v28
	v_mul_lo_u32 v20, v20, v28
	;; [unrolled: 1-line block ×3, first 2 shown]
	v_cvt_f32_i32_e32 v23, v23
	v_cvt_f32_i32_e32 v25, v25
	;; [unrolled: 1-line block ×6, first 2 shown]
	s_wait_loadcnt 0x6
	v_fma_mix_f32 v25, v29, v25, 0 op_sel_hi:[1,0,0]
	s_wait_loadcnt 0x5
	v_fma_mix_f32 v23, v35, v23, 0 op_sel_hi:[1,0,0]
	;; [unrolled: 2-line block ×5, first 2 shown]
	v_fma_mix_f32 v19, v24, v19, v21 op_sel_hi:[1,0,0]
	s_wait_loadcnt 0x0
	v_fma_mix_f32 v8, v25, v18, v8 op_sel_hi:[0,1,0]
	s_delay_alu instid0(VALU_DEP_3) | instskip(NEXT) | instid1(VALU_DEP_3)
	v_fma_mix_f32 v7, v20, v18, v7 op_sel_hi:[0,1,0]
	v_fma_mix_f32 v5, v19, v18, v5 op_sel_hi:[0,1,0]
	s_wait_alu 0xfffe
	s_and_not1_b32 exec_lo, exec_lo, s3
	s_cbranch_execnz .LBB150_2
; %bb.3:
	s_or_b32 exec_lo, exec_lo, s3
.LBB150_4:
	s_delay_alu instid0(SALU_CYCLE_1)
	s_or_b32 exec_lo, exec_lo, s21
	s_mov_b32 s3, 0
	; wave barrier
	global_inv scope:SCOPE_SE
	s_mov_b32 s2, exec_lo
	v_cmpx_eq_u32_e32 0, v6
	s_cbranch_execz .LBB150_11
; %bb.5:
	v_mbcnt_lo_u32_b32 v6, -1, 0
	s_load_b64 s[0:1], s[0:1], 0x38
	s_mul_i32 s2, s10, s19
	s_mul_i32 s4, s18, s20
	s_wait_alu 0xfffe
	s_add_co_i32 s2, s2, ttmp9
	v_xor_b32_e32 v0, 16, v6
	v_xor_b32_e32 v1, 8, v6
	;; [unrolled: 1-line block ×3, first 2 shown]
	s_wait_alu 0xfffe
	s_add_co_i32 s2, s2, s4
	s_wait_alu 0xfffe
	s_lshl_b64 s[2:3], s[2:3], 2
	v_cmp_gt_i32_e32 vcc_lo, 32, v0
	s_wait_alu 0xfffd
	v_cndmask_b32_e32 v0, v6, v0, vcc_lo
	v_cmp_gt_i32_e32 vcc_lo, 32, v1
	s_wait_kmcnt 0x0
	s_wait_alu 0xfffe
	s_add_nc_u64 s[0:1], s[0:1], s[2:3]
	s_wait_alu 0xfffd
	v_cndmask_b32_e32 v1, v6, v1, vcc_lo
	s_delay_alu instid0(VALU_DEP_1)
	v_lshlrev_b32_e32 v1, 2, v1
	v_lshlrev_b32_e32 v0, 2, v0
	ds_bpermute_b32 v2, v0, v8
	s_wait_dscnt 0x0
	v_add_f32_e32 v3, v8, v2
	v_xor_b32_e32 v2, 4, v6
	ds_bpermute_b32 v8, v1, v3
	v_cmp_gt_i32_e32 vcc_lo, 32, v2
	s_wait_alu 0xfffd
	v_cndmask_b32_e32 v2, v6, v2, vcc_lo
	s_wait_dscnt 0x0
	v_add_f32_e32 v8, v3, v8
	v_xor_b32_e32 v3, 2, v6
	s_delay_alu instid0(VALU_DEP_1) | instskip(SKIP_3) | instid1(VALU_DEP_2)
	v_cmp_gt_i32_e32 vcc_lo, 32, v3
	s_wait_alu 0xfffd
	v_cndmask_b32_e32 v3, v6, v3, vcc_lo
	v_cmp_gt_i32_e32 vcc_lo, 32, v10
	v_lshlrev_b32_e32 v3, 2, v3
	v_lshlrev_b32_e32 v2, 2, v2
	s_wait_alu 0xfffd
	v_cndmask_b32_e32 v6, v6, v10, vcc_lo
	v_cmp_eq_u32_e32 vcc_lo, 0, v4
	ds_bpermute_b32 v9, v2, v8
	v_lshlrev_b32_e32 v6, 2, v6
	s_wait_dscnt 0x0
	v_add_f32_e32 v8, v8, v9
	ds_bpermute_b32 v9, v3, v8
	s_wait_dscnt 0x0
	v_add_f32_e32 v8, v8, v9
	ds_bpermute_b32 v9, v6, v8
	s_and_saveexec_b32 s2, vcc_lo
	s_cbranch_execz .LBB150_7
; %bb.6:
	s_wait_dscnt 0x0
	v_add_f32_e32 v4, v8, v9
	v_mov_b32_e32 v8, 0
	global_store_b32 v8, v4, s[0:1]
.LBB150_7:
	s_wait_alu 0xfffe
	s_or_b32 exec_lo, exec_lo, s2
	ds_bpermute_b32 v4, v0, v7
	s_wait_dscnt 0x0
	v_add_f32_e32 v4, v7, v4
	ds_bpermute_b32 v7, v1, v4
	s_wait_dscnt 0x0
	v_add_f32_e32 v4, v4, v7
	;; [unrolled: 3-line block ×4, first 2 shown]
	ds_bpermute_b32 v7, v6, v4
	s_and_saveexec_b32 s2, vcc_lo
	s_cbranch_execz .LBB150_9
; %bb.8:
	s_mov_b32 s7, 0
	s_wait_dscnt 0x0
	v_dual_add_f32 v4, v4, v7 :: v_dual_mov_b32 v7, 0
	s_lshl_b64 s[4:5], s[6:7], 2
	s_wait_alu 0xfffe
	s_add_nc_u64 s[4:5], s[0:1], s[4:5]
	global_store_b32 v7, v4, s[4:5]
.LBB150_9:
	s_wait_alu 0xfffe
	s_or_b32 exec_lo, exec_lo, s2
	ds_bpermute_b32 v0, v0, v5
	s_wait_dscnt 0x0
	v_add_f32_e32 v0, v5, v0
	ds_bpermute_b32 v1, v1, v0
	s_wait_dscnt 0x0
	v_add_f32_e32 v0, v0, v1
	ds_bpermute_b32 v1, v2, v0
	s_wait_dscnt 0x0
	v_add_f32_e32 v0, v0, v1
	ds_bpermute_b32 v1, v3, v0
	s_wait_dscnt 0x0
	v_add_f32_e32 v0, v0, v1
	ds_bpermute_b32 v1, v6, v0
	s_and_b32 exec_lo, exec_lo, vcc_lo
	s_cbranch_execz .LBB150_11
; %bb.10:
	s_lshl_b32 s2, s6, 1
	s_mov_b32 s3, 0
	s_wait_dscnt 0x0
	v_dual_add_f32 v0, v0, v1 :: v_dual_mov_b32 v1, 0
	s_wait_alu 0xfffe
	s_lshl_b64 s[2:3], s[2:3], 2
	s_wait_alu 0xfffe
	s_add_nc_u64 s[0:1], s[0:1], s[2:3]
	global_store_b32 v1, v0, s[0:1]
.LBB150_11:
	s_endpgm
	.section	.rodata,"a",@progbits
	.p2align	6, 0x0
	.amdhsa_kernel _ZL13mul_mat_vec_qIL9ggml_type14ELi3ELb0ELb0EEvPKvS2_PKi31ggml_cuda_mm_fusion_args_devicePfj15HIP_vector_typeIjLj3EEjjjS8_jjjS8_jjjj
		.amdhsa_group_segment_fixed_size 0
		.amdhsa_private_segment_fixed_size 0
		.amdhsa_kernarg_size 144
		.amdhsa_user_sgpr_count 2
		.amdhsa_user_sgpr_dispatch_ptr 0
		.amdhsa_user_sgpr_queue_ptr 0
		.amdhsa_user_sgpr_kernarg_segment_ptr 1
		.amdhsa_user_sgpr_dispatch_id 0
		.amdhsa_user_sgpr_private_segment_size 0
		.amdhsa_wavefront_size32 1
		.amdhsa_uses_dynamic_stack 0
		.amdhsa_enable_private_segment 0
		.amdhsa_system_sgpr_workgroup_id_x 1
		.amdhsa_system_sgpr_workgroup_id_y 1
		.amdhsa_system_sgpr_workgroup_id_z 1
		.amdhsa_system_sgpr_workgroup_info 0
		.amdhsa_system_vgpr_workitem_id 1
		.amdhsa_next_free_vgpr 41
		.amdhsa_next_free_sgpr 30
		.amdhsa_reserve_vcc 1
		.amdhsa_float_round_mode_32 0
		.amdhsa_float_round_mode_16_64 0
		.amdhsa_float_denorm_mode_32 3
		.amdhsa_float_denorm_mode_16_64 3
		.amdhsa_fp16_overflow 0
		.amdhsa_workgroup_processor_mode 1
		.amdhsa_memory_ordered 1
		.amdhsa_forward_progress 1
		.amdhsa_inst_pref_size 16
		.amdhsa_round_robin_scheduling 0
		.amdhsa_exception_fp_ieee_invalid_op 0
		.amdhsa_exception_fp_denorm_src 0
		.amdhsa_exception_fp_ieee_div_zero 0
		.amdhsa_exception_fp_ieee_overflow 0
		.amdhsa_exception_fp_ieee_underflow 0
		.amdhsa_exception_fp_ieee_inexact 0
		.amdhsa_exception_int_div_zero 0
	.end_amdhsa_kernel
	.section	.text._ZL13mul_mat_vec_qIL9ggml_type14ELi3ELb0ELb0EEvPKvS2_PKi31ggml_cuda_mm_fusion_args_devicePfj15HIP_vector_typeIjLj3EEjjjS8_jjjS8_jjjj,"axG",@progbits,_ZL13mul_mat_vec_qIL9ggml_type14ELi3ELb0ELb0EEvPKvS2_PKi31ggml_cuda_mm_fusion_args_devicePfj15HIP_vector_typeIjLj3EEjjjS8_jjjS8_jjjj,comdat
.Lfunc_end150:
	.size	_ZL13mul_mat_vec_qIL9ggml_type14ELi3ELb0ELb0EEvPKvS2_PKi31ggml_cuda_mm_fusion_args_devicePfj15HIP_vector_typeIjLj3EEjjjS8_jjjS8_jjjj, .Lfunc_end150-_ZL13mul_mat_vec_qIL9ggml_type14ELi3ELb0ELb0EEvPKvS2_PKi31ggml_cuda_mm_fusion_args_devicePfj15HIP_vector_typeIjLj3EEjjjS8_jjjS8_jjjj
                                        ; -- End function
	.set _ZL13mul_mat_vec_qIL9ggml_type14ELi3ELb0ELb0EEvPKvS2_PKi31ggml_cuda_mm_fusion_args_devicePfj15HIP_vector_typeIjLj3EEjjjS8_jjjS8_jjjj.num_vgpr, 41
	.set _ZL13mul_mat_vec_qIL9ggml_type14ELi3ELb0ELb0EEvPKvS2_PKi31ggml_cuda_mm_fusion_args_devicePfj15HIP_vector_typeIjLj3EEjjjS8_jjjS8_jjjj.num_agpr, 0
	.set _ZL13mul_mat_vec_qIL9ggml_type14ELi3ELb0ELb0EEvPKvS2_PKi31ggml_cuda_mm_fusion_args_devicePfj15HIP_vector_typeIjLj3EEjjjS8_jjjS8_jjjj.numbered_sgpr, 30
	.set _ZL13mul_mat_vec_qIL9ggml_type14ELi3ELb0ELb0EEvPKvS2_PKi31ggml_cuda_mm_fusion_args_devicePfj15HIP_vector_typeIjLj3EEjjjS8_jjjS8_jjjj.num_named_barrier, 0
	.set _ZL13mul_mat_vec_qIL9ggml_type14ELi3ELb0ELb0EEvPKvS2_PKi31ggml_cuda_mm_fusion_args_devicePfj15HIP_vector_typeIjLj3EEjjjS8_jjjS8_jjjj.private_seg_size, 0
	.set _ZL13mul_mat_vec_qIL9ggml_type14ELi3ELb0ELb0EEvPKvS2_PKi31ggml_cuda_mm_fusion_args_devicePfj15HIP_vector_typeIjLj3EEjjjS8_jjjS8_jjjj.uses_vcc, 1
	.set _ZL13mul_mat_vec_qIL9ggml_type14ELi3ELb0ELb0EEvPKvS2_PKi31ggml_cuda_mm_fusion_args_devicePfj15HIP_vector_typeIjLj3EEjjjS8_jjjS8_jjjj.uses_flat_scratch, 0
	.set _ZL13mul_mat_vec_qIL9ggml_type14ELi3ELb0ELb0EEvPKvS2_PKi31ggml_cuda_mm_fusion_args_devicePfj15HIP_vector_typeIjLj3EEjjjS8_jjjS8_jjjj.has_dyn_sized_stack, 0
	.set _ZL13mul_mat_vec_qIL9ggml_type14ELi3ELb0ELb0EEvPKvS2_PKi31ggml_cuda_mm_fusion_args_devicePfj15HIP_vector_typeIjLj3EEjjjS8_jjjS8_jjjj.has_recursion, 0
	.set _ZL13mul_mat_vec_qIL9ggml_type14ELi3ELb0ELb0EEvPKvS2_PKi31ggml_cuda_mm_fusion_args_devicePfj15HIP_vector_typeIjLj3EEjjjS8_jjjS8_jjjj.has_indirect_call, 0
	.section	.AMDGPU.csdata,"",@progbits
; Kernel info:
; codeLenInByte = 2032
; TotalNumSgprs: 32
; NumVgprs: 41
; ScratchSize: 0
; MemoryBound: 0
; FloatMode: 240
; IeeeMode: 1
; LDSByteSize: 0 bytes/workgroup (compile time only)
; SGPRBlocks: 0
; VGPRBlocks: 5
; NumSGPRsForWavesPerEU: 32
; NumVGPRsForWavesPerEU: 41
; Occupancy: 16
; WaveLimiterHint : 0
; COMPUTE_PGM_RSRC2:SCRATCH_EN: 0
; COMPUTE_PGM_RSRC2:USER_SGPR: 2
; COMPUTE_PGM_RSRC2:TRAP_HANDLER: 0
; COMPUTE_PGM_RSRC2:TGID_X_EN: 1
; COMPUTE_PGM_RSRC2:TGID_Y_EN: 1
; COMPUTE_PGM_RSRC2:TGID_Z_EN: 1
; COMPUTE_PGM_RSRC2:TIDIG_COMP_CNT: 1
	.section	.text._ZL13mul_mat_vec_qIL9ggml_type14ELi4ELb0ELb0EEvPKvS2_PKi31ggml_cuda_mm_fusion_args_devicePfj15HIP_vector_typeIjLj3EEjjjS8_jjjS8_jjjj,"axG",@progbits,_ZL13mul_mat_vec_qIL9ggml_type14ELi4ELb0ELb0EEvPKvS2_PKi31ggml_cuda_mm_fusion_args_devicePfj15HIP_vector_typeIjLj3EEjjjS8_jjjS8_jjjj,comdat
	.globl	_ZL13mul_mat_vec_qIL9ggml_type14ELi4ELb0ELb0EEvPKvS2_PKi31ggml_cuda_mm_fusion_args_devicePfj15HIP_vector_typeIjLj3EEjjjS8_jjjS8_jjjj ; -- Begin function _ZL13mul_mat_vec_qIL9ggml_type14ELi4ELb0ELb0EEvPKvS2_PKi31ggml_cuda_mm_fusion_args_devicePfj15HIP_vector_typeIjLj3EEjjjS8_jjjS8_jjjj
	.p2align	8
	.type	_ZL13mul_mat_vec_qIL9ggml_type14ELi4ELb0ELb0EEvPKvS2_PKi31ggml_cuda_mm_fusion_args_devicePfj15HIP_vector_typeIjLj3EEjjjS8_jjjS8_jjjj,@function
_ZL13mul_mat_vec_qIL9ggml_type14ELi4ELb0ELb0EEvPKvS2_PKi31ggml_cuda_mm_fusion_args_devicePfj15HIP_vector_typeIjLj3EEjjjS8_jjjS8_jjjj: ; @_ZL13mul_mat_vec_qIL9ggml_type14ELi4ELb0ELb0EEvPKvS2_PKi31ggml_cuda_mm_fusion_args_devicePfj15HIP_vector_typeIjLj3EEjjjS8_jjjS8_jjjj
; %bb.0:
	s_clause 0x5
	s_load_b32 s2, s[0:1], 0x40
	s_load_b128 s[4:7], s[0:1], 0x50
	s_load_b32 s23, s[0:1], 0x60
	s_load_b128 s[8:11], s[0:1], 0x68
	s_load_b32 s24, s[0:1], 0x78
	s_load_b96 s[16:18], s[0:1], 0x80
	v_dual_mov_b32 v5, 0 :: v_dual_and_b32 v6, 0x3ff, v0
	v_bfe_u32 v8, v0, 10, 10
	v_dual_mov_b32 v7, 0 :: v_dual_mov_b32 v10, 0
	v_mov_b32_e32 v9, 0
	s_and_b32 s19, ttmp7, 0xffff
	s_lshr_b32 s20, ttmp7, 16
	s_mov_b32 s21, exec_lo
	s_wait_kmcnt 0x0
	s_lshr_b32 s22, s2, 8
	s_delay_alu instid0(SALU_CYCLE_1)
	v_cmpx_gt_u32_e64 s22, v8
	s_cbranch_execz .LBB151_4
; %bb.1:
	v_bfe_u32 v2, v6, 4, 1
	v_lshrrev_b32_e32 v0, 5, v6
	s_load_b128 s[12:15], s[0:1], 0x0
	s_mul_hi_u32 s11, s11, s20
	s_mov_b32 s3, 0
	v_lshlrev_b32_e32 v5, 3, v2
	v_add_nc_u32_e32 v0, v0, v8
	v_and_b32_e32 v9, 7, v6
	s_mul_i32 s26, s9, s19
	v_dual_mov_b32 v10, 0 :: v_dual_and_b32 v3, 15, v6
	s_add_co_i32 s9, s20, s11
	s_mov_b32 s27, s3
	s_lshr_b32 s11, s9, s24
	s_mul_u64 s[24:25], s[26:27], 36
	v_or_b32_e32 v11, v5, v9
	v_lshlrev_b32_e32 v13, 2, v9
	v_dual_mov_b32 v9, 0 :: v_dual_lshlrev_b32 v18, 2, v9
	v_mad_co_u64_u32 v[0:1], null, 0x120, v0, s[24:25]
	v_lshrrev_b16 v4, 3, v3
	s_mul_i32 s2, s17, s20
	s_mul_hi_u32 s7, s7, s19
	v_and_b32_e32 v7, 31, v6
	v_lshrrev_b16 v3, 2, v3
	v_dual_mov_b32 v19, v8 :: v_dual_and_b32 v4, 0xffff, v4
	v_mad_co_u64_u32 v[0:1], null, s2, 36, v[0:1]
	s_add_co_i32 s7, s19, s7
	v_lshl_or_b32 v12, v2, 2, v4
	s_mul_u64 s[28:29], s[2:3], 36
	s_lshr_b32 s7, s7, s23
	v_lshlrev_b32_e32 v16, 1, v7
	v_and_b32_e32 v7, 0xffff, v3
	s_mul_i32 s7, s7, s8
	s_wait_kmcnt 0x0
	s_add_nc_u64 s[8:9], s[14:15], s[28:29]
	v_mad_co_u64_u32 v[2:3], null, v12, 36, v[0:1]
	s_add_nc_u64 s[8:9], s[8:9], s[24:25]
	v_lshlrev_b32_e32 v17, 1, v11
	v_mad_co_u64_u32 v[0:1], null, v12, 36, s[8:9]
	v_or_b32_e32 v12, v5, v7
	v_lshlrev_b32_e32 v7, 3, v8
	v_lshlrev_b32_e32 v11, 1, v4
	v_add_co_u32 v2, vcc_lo, s14, v2
	s_mul_i32 s4, s4, ttmp9
	v_mad_co_u64_u32 v[4:5], null, s5, 3, v[7:8]
	v_add_co_ci_u32_e64 v3, null, s15, v3, vcc_lo
	v_lshl_add_u32 v14, s5, 1, v7
	v_add_nc_u32_e32 v15, s5, v7
	v_lshlrev_b32_e32 v17, 1, v17
	v_dual_mov_b32 v7, 0 :: v_dual_lshlrev_b32 v16, 1, v16
	v_mov_b32_e32 v5, 0
	s_mul_i32 s11, s11, s16
	s_add_co_i32 s7, s7, s4
	s_delay_alu instid0(SALU_CYCLE_1)
	s_add_co_i32 s2, s11, s7
.LBB151_2:                              ; =>This Inner Loop Header: Depth=1
	s_wait_alu 0xfffe
	v_add_nc_u32_e32 v20, s2, v19
	v_mad_co_u64_u32 v[26:27], null, v14, 36, v[0:1]
	v_mad_co_u64_u32 v[28:29], null, v4, 36, v[0:1]
	s_delay_alu instid0(VALU_DEP_3) | instskip(SKIP_3) | instid1(VALU_DEP_4)
	v_mad_co_i64_i32 v[20:21], null, 0xd2, v20, s[12:13]
	v_add_nc_u32_e32 v19, 1, v19
	v_add_nc_u32_e32 v14, 8, v14
	;; [unrolled: 1-line block ×3, first 2 shown]
	v_add_co_u32 v22, vcc_lo, v20, v17
	s_wait_alu 0xfffd
	v_add_co_ci_u32_e64 v23, null, 0, v21, vcc_lo
	v_add_co_u32 v24, vcc_lo, v20, v16
	s_wait_alu 0xfffd
	v_add_co_ci_u32_e64 v25, null, 0, v21, vcc_lo
	s_clause 0x1
	global_load_b32 v36, v[22:23], off offset:128
	global_load_b32 v37, v[24:25], off
	v_add_co_u32 v22, vcc_lo, v2, v13
	v_mad_co_u64_u32 v[24:25], null, v15, 36, v[0:1]
	s_wait_alu 0xfffd
	v_add_co_ci_u32_e64 v23, null, 0, v3, vcc_lo
	s_clause 0x1
	global_load_b32 v38, v[22:23], off offset:4
	global_load_b32 v39, v[22:23], off offset:76
	v_add_co_u32 v22, vcc_lo, v24, v18
	s_wait_alu 0xfffd
	v_add_co_ci_u32_e64 v23, null, 0, v25, vcc_lo
	v_add_co_u32 v30, vcc_lo, v26, v18
	s_wait_alu 0xfffd
	v_add_co_ci_u32_e64 v31, null, 0, v27, vcc_lo
	;; [unrolled: 3-line block ×4, first 2 shown]
	s_clause 0x5
	global_load_b32 v40, v[22:23], off offset:4
	global_load_b32 v22, v[22:23], off offset:76
	;; [unrolled: 1-line block ×6, first 2 shown]
	s_clause 0x1
	global_load_i8 v33, v[34:35], off offset:192
	global_load_i8 v34, v[34:35], off offset:196
	global_load_b32 v35, v[2:3], off
	s_clause 0x2
	global_load_b32 v41, v[28:29], off
	global_load_b32 v42, v[24:25], off
	;; [unrolled: 1-line block ×3, first 2 shown]
	global_load_b32 v44, v[2:3], off offset:72
	s_clause 0x2
	global_load_b32 v26, v[26:27], off offset:72
	global_load_b32 v24, v[24:25], off offset:72
	;; [unrolled: 1-line block ×3, first 2 shown]
	global_load_u16 v20, v[20:21], off offset:208
	v_add_co_u32 v2, vcc_lo, 0x120, v2
	s_wait_alu 0xfffd
	v_add_co_ci_u32_e64 v3, null, 0, v3, vcc_lo
	v_cmp_le_u32_e32 vcc_lo, s22, v19
	v_add_nc_u32_e32 v15, 8, v15
	s_or_b32 s3, vcc_lo, s3
	s_wait_loadcnt 0x14
	v_ashrrev_i32_e32 v21, v11, v36
	s_wait_loadcnt 0x13
	v_lshrrev_b32_e32 v27, 4, v37
	v_and_b32_e32 v28, 0xf0f0f0f, v37
	s_delay_alu instid0(VALU_DEP_3) | instskip(NEXT) | instid1(VALU_DEP_3)
	v_lshlrev_b32_e32 v29, 4, v21
	v_and_b32_e32 v27, 0xf0f0f0f, v27
	s_delay_alu instid0(VALU_DEP_2) | instskip(NEXT) | instid1(VALU_DEP_2)
	v_and_or_b32 v28, 0x30303030, v29, v28
	v_and_or_b32 v21, 0x30303030, v21, v27
	s_delay_alu instid0(VALU_DEP_2) | instskip(SKIP_1) | instid1(VALU_DEP_3)
	v_lshrrev_b32_e32 v27, 16, v28
	v_lshlrev_b16 v29, 8, v28
	v_lshrrev_b32_e32 v36, 16, v21
	v_and_b32_e32 v37, 0x3f00, v21
	v_lshlrev_b16 v21, 8, v21
	v_lshlrev_b16 v45, 8, v27
	v_add_nc_u16 v29, 0xe000, v29
	v_lshlrev_b16 v46, 8, v36
	v_and_b32_e32 v28, 0x3f00, v28
	v_and_b32_e32 v27, 0x3f00, v27
	v_add_nc_u16 v45, 0xe000, v45
	v_add_nc_u16 v21, 0xe000, v21
	;; [unrolled: 1-line block ×3, first 2 shown]
	v_lshrrev_b16 v29, 8, v29
	v_and_b32_e32 v36, 0x3f00, v36
	v_lshrrev_b16 v45, 8, v45
	v_lshrrev_b16 v21, 8, v21
	;; [unrolled: 1-line block ×3, first 2 shown]
	v_or_b32_e32 v28, v28, v29
	s_delay_alu instid0(VALU_DEP_4) | instskip(NEXT) | instid1(VALU_DEP_4)
	v_or_b32_e32 v27, v27, v45
	v_or_b32_e32 v21, v37, v21
	s_delay_alu instid0(VALU_DEP_4) | instskip(NEXT) | instid1(VALU_DEP_4)
	v_or_b32_e32 v29, v36, v46
	v_add_nc_u16 v28, 0xe000, v28
	s_delay_alu instid0(VALU_DEP_4) | instskip(NEXT) | instid1(VALU_DEP_4)
	v_add_nc_u16 v27, 0xe000, v27
	v_add_nc_u16 v21, 0xe000, v21
	s_delay_alu instid0(VALU_DEP_4) | instskip(NEXT) | instid1(VALU_DEP_4)
	v_add_nc_u16 v29, 0xe000, v29
	v_and_b32_e32 v28, 0xffff, v28
	s_delay_alu instid0(VALU_DEP_4) | instskip(NEXT) | instid1(VALU_DEP_4)
	v_lshlrev_b32_e32 v27, 16, v27
	v_and_b32_e32 v21, 0xffff, v21
	s_delay_alu instid0(VALU_DEP_4) | instskip(NEXT) | instid1(VALU_DEP_3)
	v_lshlrev_b32_e32 v29, 16, v29
	v_or_b32_e32 v27, v28, v27
	s_delay_alu instid0(VALU_DEP_2) | instskip(SKIP_1) | instid1(VALU_DEP_2)
	v_or_b32_e32 v21, v21, v29
	s_wait_loadcnt 0x12
	v_dot4_i32_iu8 v28, v27, v38, 0 neg_lo:[1,1,0]
	s_wait_loadcnt 0x10
	v_dot4_i32_iu8 v36, v27, v40, 0 neg_lo:[1,1,0]
	;; [unrolled: 2-line block ×4, first 2 shown]
	v_dot4_i32_iu8 v29, v21, v39, 0 neg_lo:[1,1,0]
	v_dot4_i32_iu8 v22, v21, v22, 0 neg_lo:[1,1,0]
	;; [unrolled: 1-line block ×3, first 2 shown]
	s_wait_loadcnt 0xb
	v_dot4_i32_iu8 v21, v21, v32, 0 neg_lo:[1,1,0]
	s_wait_loadcnt 0xa
	v_mul_lo_u32 v28, v28, v33
	v_mul_lo_u32 v31, v36, v33
	;; [unrolled: 1-line block ×4, first 2 shown]
	s_wait_loadcnt 0x9
	v_mul_lo_u32 v29, v29, v34
	v_mul_lo_u32 v22, v22, v34
	v_mul_lo_u32 v30, v30, v34
	v_mul_lo_u32 v21, v21, v34
	v_cvt_f32_i32_e32 v28, v28
	v_cvt_f32_i32_e32 v31, v31
	;; [unrolled: 1-line block ×8, first 2 shown]
	s_wait_loadcnt 0x8
	v_fma_mix_f32 v28, v35, v28, 0 op_sel_hi:[1,0,0]
	s_wait_loadcnt 0x6
	v_fma_mix_f32 v31, v42, v31, 0 op_sel_hi:[1,0,0]
	;; [unrolled: 2-line block ×3, first 2 shown]
	v_fma_mix_f32 v27, v41, v27, 0 op_sel_hi:[1,0,0]
	s_wait_loadcnt 0x4
	v_fma_mix_f32 v28, v44, v29, v28 op_sel_hi:[1,0,0]
	s_wait_loadcnt 0x2
	v_fma_mix_f32 v22, v24, v22, v31 op_sel_hi:[1,0,0]
	v_fma_mix_f32 v23, v26, v30, v23 op_sel_hi:[1,0,0]
	s_wait_loadcnt 0x1
	v_fma_mix_f32 v21, v25, v21, v27 op_sel_hi:[1,0,0]
	s_wait_loadcnt 0x0
	v_fma_mix_f32 v10, v28, v20, v10 op_sel_hi:[0,1,0]
	v_fma_mix_f32 v9, v22, v20, v9 op_sel_hi:[0,1,0]
	;; [unrolled: 1-line block ×4, first 2 shown]
	s_wait_alu 0xfffe
	s_and_not1_b32 exec_lo, exec_lo, s3
	s_cbranch_execnz .LBB151_2
; %bb.3:
	s_or_b32 exec_lo, exec_lo, s3
.LBB151_4:
	s_delay_alu instid0(SALU_CYCLE_1)
	s_or_b32 exec_lo, exec_lo, s21
	s_mov_b32 s3, 0
	; wave barrier
	global_inv scope:SCOPE_SE
	s_mov_b32 s2, exec_lo
	v_cmpx_eq_u32_e32 0, v8
	s_cbranch_execz .LBB151_13
; %bb.5:
	v_mbcnt_lo_u32_b32 v4, -1, 0
	s_load_b64 s[0:1], s[0:1], 0x38
	s_mul_i32 s2, s10, s19
	s_mul_i32 s4, s18, s20
	s_wait_alu 0xfffe
	s_add_co_i32 s2, s2, ttmp9
	v_xor_b32_e32 v0, 16, v4
	v_xor_b32_e32 v1, 8, v4
	;; [unrolled: 1-line block ×3, first 2 shown]
	s_wait_alu 0xfffe
	s_add_co_i32 s2, s2, s4
	s_wait_alu 0xfffe
	s_lshl_b64 s[2:3], s[2:3], 2
	v_cmp_gt_i32_e32 vcc_lo, 32, v0
	s_wait_alu 0xfffd
	v_cndmask_b32_e32 v0, v4, v0, vcc_lo
	v_cmp_gt_i32_e32 vcc_lo, 32, v1
	s_wait_kmcnt 0x0
	s_wait_alu 0xfffe
	s_add_nc_u64 s[0:1], s[0:1], s[2:3]
	s_wait_alu 0xfffd
	v_cndmask_b32_e32 v1, v4, v1, vcc_lo
	s_delay_alu instid0(VALU_DEP_1)
	v_lshlrev_b32_e32 v1, 2, v1
	v_lshlrev_b32_e32 v0, 2, v0
	ds_bpermute_b32 v2, v0, v10
	s_wait_dscnt 0x0
	v_add_f32_e32 v3, v10, v2
	v_xor_b32_e32 v2, 4, v4
	ds_bpermute_b32 v8, v1, v3
	v_cmp_gt_i32_e32 vcc_lo, 32, v2
	s_wait_alu 0xfffd
	v_cndmask_b32_e32 v2, v4, v2, vcc_lo
	s_wait_dscnt 0x0
	v_add_f32_e32 v8, v3, v8
	v_xor_b32_e32 v3, 2, v4
	s_delay_alu instid0(VALU_DEP_1) | instskip(SKIP_3) | instid1(VALU_DEP_2)
	v_cmp_gt_i32_e32 vcc_lo, 32, v3
	s_wait_alu 0xfffd
	v_cndmask_b32_e32 v3, v4, v3, vcc_lo
	v_cmp_gt_i32_e32 vcc_lo, 32, v11
	v_lshlrev_b32_e32 v3, 2, v3
	v_lshlrev_b32_e32 v2, 2, v2
	s_wait_alu 0xfffd
	v_cndmask_b32_e32 v4, v4, v11, vcc_lo
	v_cmp_eq_u32_e32 vcc_lo, 0, v6
	ds_bpermute_b32 v10, v2, v8
	v_lshlrev_b32_e32 v4, 2, v4
	s_wait_dscnt 0x0
	v_add_f32_e32 v8, v8, v10
	ds_bpermute_b32 v10, v3, v8
	s_wait_dscnt 0x0
	v_add_f32_e32 v8, v8, v10
	ds_bpermute_b32 v10, v4, v8
	s_and_saveexec_b32 s2, vcc_lo
	s_cbranch_execz .LBB151_7
; %bb.6:
	s_wait_dscnt 0x0
	v_add_f32_e32 v6, v8, v10
	v_mov_b32_e32 v8, 0
	global_store_b32 v8, v6, s[0:1]
.LBB151_7:
	s_wait_alu 0xfffe
	s_or_b32 exec_lo, exec_lo, s2
	ds_bpermute_b32 v6, v0, v9
	s_wait_dscnt 0x0
	v_add_f32_e32 v6, v9, v6
	ds_bpermute_b32 v8, v1, v6
	s_wait_dscnt 0x0
	v_add_f32_e32 v6, v6, v8
	;; [unrolled: 3-line block ×4, first 2 shown]
	ds_bpermute_b32 v8, v4, v6
	s_and_saveexec_b32 s2, vcc_lo
	s_cbranch_execz .LBB151_9
; %bb.8:
	s_mov_b32 s7, 0
	s_wait_dscnt 0x0
	v_add_f32_e32 v6, v6, v8
	v_mov_b32_e32 v8, 0
	s_lshl_b64 s[4:5], s[6:7], 2
	s_wait_alu 0xfffe
	s_add_nc_u64 s[4:5], s[0:1], s[4:5]
	global_store_b32 v8, v6, s[4:5]
.LBB151_9:
	s_wait_alu 0xfffe
	s_or_b32 exec_lo, exec_lo, s2
	ds_bpermute_b32 v6, v0, v7
	s_wait_dscnt 0x0
	v_add_f32_e32 v6, v7, v6
	ds_bpermute_b32 v7, v1, v6
	s_wait_dscnt 0x0
	v_add_f32_e32 v6, v6, v7
	ds_bpermute_b32 v7, v2, v6
	s_wait_dscnt 0x0
	v_add_f32_e32 v6, v6, v7
	ds_bpermute_b32 v7, v3, v6
	s_wait_dscnt 0x0
	v_add_f32_e32 v6, v6, v7
	ds_bpermute_b32 v7, v4, v6
	s_and_saveexec_b32 s2, vcc_lo
	s_cbranch_execz .LBB151_11
; %bb.10:
	s_lshl_b32 s4, s6, 1
	s_mov_b32 s5, 0
	s_wait_dscnt 0x0
	v_dual_add_f32 v6, v6, v7 :: v_dual_mov_b32 v7, 0
	s_wait_alu 0xfffe
	s_lshl_b64 s[4:5], s[4:5], 2
	s_wait_alu 0xfffe
	s_add_nc_u64 s[4:5], s[0:1], s[4:5]
	global_store_b32 v7, v6, s[4:5]
.LBB151_11:
	s_wait_alu 0xfffe
	s_or_b32 exec_lo, exec_lo, s2
	ds_bpermute_b32 v0, v0, v5
	s_wait_dscnt 0x0
	v_add_f32_e32 v0, v5, v0
	ds_bpermute_b32 v1, v1, v0
	s_wait_dscnt 0x0
	v_add_f32_e32 v0, v0, v1
	;; [unrolled: 3-line block ×4, first 2 shown]
	ds_bpermute_b32 v1, v4, v0
	s_and_b32 exec_lo, exec_lo, vcc_lo
	s_cbranch_execz .LBB151_13
; %bb.12:
	s_mul_i32 s2, s6, 3
	s_mov_b32 s3, 0
	s_wait_dscnt 0x0
	v_dual_add_f32 v0, v0, v1 :: v_dual_mov_b32 v1, 0
	s_wait_alu 0xfffe
	s_lshl_b64 s[2:3], s[2:3], 2
	s_wait_alu 0xfffe
	s_add_nc_u64 s[0:1], s[0:1], s[2:3]
	global_store_b32 v1, v0, s[0:1]
.LBB151_13:
	s_endpgm
	.section	.rodata,"a",@progbits
	.p2align	6, 0x0
	.amdhsa_kernel _ZL13mul_mat_vec_qIL9ggml_type14ELi4ELb0ELb0EEvPKvS2_PKi31ggml_cuda_mm_fusion_args_devicePfj15HIP_vector_typeIjLj3EEjjjS8_jjjS8_jjjj
		.amdhsa_group_segment_fixed_size 0
		.amdhsa_private_segment_fixed_size 0
		.amdhsa_kernarg_size 144
		.amdhsa_user_sgpr_count 2
		.amdhsa_user_sgpr_dispatch_ptr 0
		.amdhsa_user_sgpr_queue_ptr 0
		.amdhsa_user_sgpr_kernarg_segment_ptr 1
		.amdhsa_user_sgpr_dispatch_id 0
		.amdhsa_user_sgpr_private_segment_size 0
		.amdhsa_wavefront_size32 1
		.amdhsa_uses_dynamic_stack 0
		.amdhsa_enable_private_segment 0
		.amdhsa_system_sgpr_workgroup_id_x 1
		.amdhsa_system_sgpr_workgroup_id_y 1
		.amdhsa_system_sgpr_workgroup_id_z 1
		.amdhsa_system_sgpr_workgroup_info 0
		.amdhsa_system_vgpr_workitem_id 1
		.amdhsa_next_free_vgpr 47
		.amdhsa_next_free_sgpr 30
		.amdhsa_reserve_vcc 1
		.amdhsa_float_round_mode_32 0
		.amdhsa_float_round_mode_16_64 0
		.amdhsa_float_denorm_mode_32 3
		.amdhsa_float_denorm_mode_16_64 3
		.amdhsa_fp16_overflow 0
		.amdhsa_workgroup_processor_mode 1
		.amdhsa_memory_ordered 1
		.amdhsa_forward_progress 1
		.amdhsa_inst_pref_size 19
		.amdhsa_round_robin_scheduling 0
		.amdhsa_exception_fp_ieee_invalid_op 0
		.amdhsa_exception_fp_denorm_src 0
		.amdhsa_exception_fp_ieee_div_zero 0
		.amdhsa_exception_fp_ieee_overflow 0
		.amdhsa_exception_fp_ieee_underflow 0
		.amdhsa_exception_fp_ieee_inexact 0
		.amdhsa_exception_int_div_zero 0
	.end_amdhsa_kernel
	.section	.text._ZL13mul_mat_vec_qIL9ggml_type14ELi4ELb0ELb0EEvPKvS2_PKi31ggml_cuda_mm_fusion_args_devicePfj15HIP_vector_typeIjLj3EEjjjS8_jjjS8_jjjj,"axG",@progbits,_ZL13mul_mat_vec_qIL9ggml_type14ELi4ELb0ELb0EEvPKvS2_PKi31ggml_cuda_mm_fusion_args_devicePfj15HIP_vector_typeIjLj3EEjjjS8_jjjS8_jjjj,comdat
.Lfunc_end151:
	.size	_ZL13mul_mat_vec_qIL9ggml_type14ELi4ELb0ELb0EEvPKvS2_PKi31ggml_cuda_mm_fusion_args_devicePfj15HIP_vector_typeIjLj3EEjjjS8_jjjS8_jjjj, .Lfunc_end151-_ZL13mul_mat_vec_qIL9ggml_type14ELi4ELb0ELb0EEvPKvS2_PKi31ggml_cuda_mm_fusion_args_devicePfj15HIP_vector_typeIjLj3EEjjjS8_jjjS8_jjjj
                                        ; -- End function
	.set _ZL13mul_mat_vec_qIL9ggml_type14ELi4ELb0ELb0EEvPKvS2_PKi31ggml_cuda_mm_fusion_args_devicePfj15HIP_vector_typeIjLj3EEjjjS8_jjjS8_jjjj.num_vgpr, 47
	.set _ZL13mul_mat_vec_qIL9ggml_type14ELi4ELb0ELb0EEvPKvS2_PKi31ggml_cuda_mm_fusion_args_devicePfj15HIP_vector_typeIjLj3EEjjjS8_jjjS8_jjjj.num_agpr, 0
	.set _ZL13mul_mat_vec_qIL9ggml_type14ELi4ELb0ELb0EEvPKvS2_PKi31ggml_cuda_mm_fusion_args_devicePfj15HIP_vector_typeIjLj3EEjjjS8_jjjS8_jjjj.numbered_sgpr, 30
	.set _ZL13mul_mat_vec_qIL9ggml_type14ELi4ELb0ELb0EEvPKvS2_PKi31ggml_cuda_mm_fusion_args_devicePfj15HIP_vector_typeIjLj3EEjjjS8_jjjS8_jjjj.num_named_barrier, 0
	.set _ZL13mul_mat_vec_qIL9ggml_type14ELi4ELb0ELb0EEvPKvS2_PKi31ggml_cuda_mm_fusion_args_devicePfj15HIP_vector_typeIjLj3EEjjjS8_jjjS8_jjjj.private_seg_size, 0
	.set _ZL13mul_mat_vec_qIL9ggml_type14ELi4ELb0ELb0EEvPKvS2_PKi31ggml_cuda_mm_fusion_args_devicePfj15HIP_vector_typeIjLj3EEjjjS8_jjjS8_jjjj.uses_vcc, 1
	.set _ZL13mul_mat_vec_qIL9ggml_type14ELi4ELb0ELb0EEvPKvS2_PKi31ggml_cuda_mm_fusion_args_devicePfj15HIP_vector_typeIjLj3EEjjjS8_jjjS8_jjjj.uses_flat_scratch, 0
	.set _ZL13mul_mat_vec_qIL9ggml_type14ELi4ELb0ELb0EEvPKvS2_PKi31ggml_cuda_mm_fusion_args_devicePfj15HIP_vector_typeIjLj3EEjjjS8_jjjS8_jjjj.has_dyn_sized_stack, 0
	.set _ZL13mul_mat_vec_qIL9ggml_type14ELi4ELb0ELb0EEvPKvS2_PKi31ggml_cuda_mm_fusion_args_devicePfj15HIP_vector_typeIjLj3EEjjjS8_jjjS8_jjjj.has_recursion, 0
	.set _ZL13mul_mat_vec_qIL9ggml_type14ELi4ELb0ELb0EEvPKvS2_PKi31ggml_cuda_mm_fusion_args_devicePfj15HIP_vector_typeIjLj3EEjjjS8_jjjS8_jjjj.has_indirect_call, 0
	.section	.AMDGPU.csdata,"",@progbits
; Kernel info:
; codeLenInByte = 2324
; TotalNumSgprs: 32
; NumVgprs: 47
; ScratchSize: 0
; MemoryBound: 0
; FloatMode: 240
; IeeeMode: 1
; LDSByteSize: 0 bytes/workgroup (compile time only)
; SGPRBlocks: 0
; VGPRBlocks: 5
; NumSGPRsForWavesPerEU: 32
; NumVGPRsForWavesPerEU: 47
; Occupancy: 16
; WaveLimiterHint : 0
; COMPUTE_PGM_RSRC2:SCRATCH_EN: 0
; COMPUTE_PGM_RSRC2:USER_SGPR: 2
; COMPUTE_PGM_RSRC2:TRAP_HANDLER: 0
; COMPUTE_PGM_RSRC2:TGID_X_EN: 1
; COMPUTE_PGM_RSRC2:TGID_Y_EN: 1
; COMPUTE_PGM_RSRC2:TGID_Z_EN: 1
; COMPUTE_PGM_RSRC2:TIDIG_COMP_CNT: 1
	.section	.text._ZL13mul_mat_vec_qIL9ggml_type14ELi5ELb0ELb0EEvPKvS2_PKi31ggml_cuda_mm_fusion_args_devicePfj15HIP_vector_typeIjLj3EEjjjS8_jjjS8_jjjj,"axG",@progbits,_ZL13mul_mat_vec_qIL9ggml_type14ELi5ELb0ELb0EEvPKvS2_PKi31ggml_cuda_mm_fusion_args_devicePfj15HIP_vector_typeIjLj3EEjjjS8_jjjS8_jjjj,comdat
	.globl	_ZL13mul_mat_vec_qIL9ggml_type14ELi5ELb0ELb0EEvPKvS2_PKi31ggml_cuda_mm_fusion_args_devicePfj15HIP_vector_typeIjLj3EEjjjS8_jjjS8_jjjj ; -- Begin function _ZL13mul_mat_vec_qIL9ggml_type14ELi5ELb0ELb0EEvPKvS2_PKi31ggml_cuda_mm_fusion_args_devicePfj15HIP_vector_typeIjLj3EEjjjS8_jjjS8_jjjj
	.p2align	8
	.type	_ZL13mul_mat_vec_qIL9ggml_type14ELi5ELb0ELb0EEvPKvS2_PKi31ggml_cuda_mm_fusion_args_devicePfj15HIP_vector_typeIjLj3EEjjjS8_jjjS8_jjjj,@function
_ZL13mul_mat_vec_qIL9ggml_type14ELi5ELb0ELb0EEvPKvS2_PKi31ggml_cuda_mm_fusion_args_devicePfj15HIP_vector_typeIjLj3EEjjjS8_jjjS8_jjjj: ; @_ZL13mul_mat_vec_qIL9ggml_type14ELi5ELb0ELb0EEvPKvS2_PKi31ggml_cuda_mm_fusion_args_devicePfj15HIP_vector_typeIjLj3EEjjjS8_jjjS8_jjjj
; %bb.0:
	s_clause 0x5
	s_load_b32 s2, s[0:1], 0x40
	s_load_b128 s[4:7], s[0:1], 0x50
	s_load_b32 s23, s[0:1], 0x60
	s_load_b128 s[8:11], s[0:1], 0x68
	s_load_b32 s24, s[0:1], 0x78
	s_load_b96 s[16:18], s[0:1], 0x80
	v_dual_mov_b32 v4, 0 :: v_dual_mov_b32 v7, 0
	v_dual_mov_b32 v6, 0 :: v_dual_mov_b32 v9, 0
	v_bfe_u32 v8, v0, 10, 10
	v_dual_mov_b32 v10, 0 :: v_dual_and_b32 v5, 0x3ff, v0
	s_and_b32 s19, ttmp7, 0xffff
	s_lshr_b32 s20, ttmp7, 16
	s_mov_b32 s21, exec_lo
	s_wait_kmcnt 0x0
	s_lshr_b32 s22, s2, 8
	s_delay_alu instid0(SALU_CYCLE_1)
	v_cmpx_gt_u32_e64 s22, v8
	s_cbranch_execz .LBB152_4
; %bb.1:
	v_bfe_u32 v2, v5, 4, 1
	v_dual_mov_b32 v10, 0 :: v_dual_and_b32 v3, 15, v5
	v_and_b32_e32 v9, 7, v5
	v_lshrrev_b32_e32 v0, 5, v5
	s_delay_alu instid0(VALU_DEP_4) | instskip(NEXT) | instid1(VALU_DEP_4)
	v_dual_mov_b32 v18, v8 :: v_dual_lshlrev_b32 v7, 3, v2
	v_lshrrev_b16 v4, 3, v3
	v_lshrrev_b16 v3, 2, v3
	v_and_b32_e32 v6, 31, v5
	s_delay_alu instid0(VALU_DEP_4)
	v_or_b32_e32 v12, v7, v9
	s_mul_hi_u32 s11, s11, s20
	s_mov_b32 s3, 0
	v_and_b32_e32 v13, 0xffff, v3
	v_add_nc_u32_e32 v0, v0, v8
	v_lshlrev_b32_e32 v16, 1, v12
	s_mul_i32 s26, s9, s19
	s_add_co_i32 s9, s20, s11
	v_or_b32_e32 v12, v7, v13
	v_dual_mov_b32 v7, 0 :: v_dual_lshlrev_b32 v6, 1, v6
	s_mov_b32 s27, s3
	s_lshr_b32 s11, s9, s24
	s_mul_u64 s[24:25], s[26:27], 36
	s_load_b128 s[12:15], s[0:1], 0x0
	v_dual_mov_b32 v6, 0 :: v_dual_lshlrev_b32 v15, 1, v6
	v_lshlrev_b32_e32 v13, 2, v9
	v_lshlrev_b32_e32 v17, 2, v9
	v_mov_b32_e32 v9, 0
	v_mad_co_u64_u32 v[0:1], null, 0x120, v0, s[24:25]
	s_mul_i32 s2, s17, s20
	v_and_b32_e32 v4, 0xffff, v4
	s_mul_hi_u32 s7, s7, s19
	s_mul_u64 s[28:29], s[2:3], 36
	s_add_co_i32 s7, s19, s7
	s_mul_i32 s4, s4, ttmp9
	v_mad_co_u64_u32 v[0:1], null, s2, 36, v[0:1]
	v_lshl_or_b32 v11, v2, 2, v4
	s_lshr_b32 s7, s7, s23
	v_lshlrev_b32_e32 v14, 3, v8
	s_mul_i32 s7, s7, s8
	s_wait_kmcnt 0x0
	s_add_nc_u64 s[8:9], s[14:15], s[28:29]
	v_lshlrev_b32_e32 v16, 1, v16
	v_mad_co_u64_u32 v[2:3], null, v11, 36, v[0:1]
	s_add_nc_u64 s[8:9], s[8:9], s[24:25]
	s_mul_i32 s11, s11, s16
	v_mad_co_u64_u32 v[0:1], null, v11, 36, s[8:9]
	v_dual_mov_b32 v4, 0 :: v_dual_lshlrev_b32 v11, 1, v4
	v_add_co_u32 v2, vcc_lo, s14, v2
	s_delay_alu instid0(VALU_DEP_1)
	v_add_co_ci_u32_e64 v3, null, s15, v3, vcc_lo
	s_add_co_i32 s7, s7, s4
	s_lshl_b32 s2, s5, 1
	s_add_co_i32 s4, s11, s7
	s_mul_i32 s7, s5, 3
	s_lshl_b32 s8, s5, 2
.LBB152_2:                              ; =>This Inner Loop Header: Depth=1
	v_add_nc_u32_e32 v19, s4, v18
	v_add_nc_u32_e32 v25, s7, v14
	s_wait_alu 0xfffe
	v_add_nc_u32_e32 v27, s8, v14
	v_add_nc_u32_e32 v18, 1, v18
	v_mad_co_i64_i32 v[19:20], null, 0xd2, v19, s[12:13]
	v_mad_co_u64_u32 v[25:26], null, v25, 36, v[0:1]
	s_delay_alu instid0(VALU_DEP_4) | instskip(NEXT) | instid1(VALU_DEP_3)
	v_mad_co_u64_u32 v[27:28], null, v27, 36, v[0:1]
	v_add_co_u32 v21, vcc_lo, v19, v16
	s_wait_alu 0xfffd
	s_delay_alu instid0(VALU_DEP_4)
	v_add_co_ci_u32_e64 v22, null, 0, v20, vcc_lo
	v_add_co_u32 v23, vcc_lo, v19, v15
	s_wait_alu 0xfffd
	v_add_co_ci_u32_e64 v24, null, 0, v20, vcc_lo
	s_clause 0x1
	global_load_b32 v39, v[21:22], off offset:128
	global_load_b32 v40, v[23:24], off
	v_add_co_u32 v21, vcc_lo, v2, v13
	s_wait_alu 0xfffd
	v_add_co_ci_u32_e64 v22, null, 0, v3, vcc_lo
	v_add_nc_u32_e32 v23, s5, v14
	v_add_nc_u32_e32 v24, s2, v14
	s_clause 0x1
	global_load_b32 v41, v[21:22], off offset:4
	global_load_b32 v42, v[21:22], off offset:76
	v_add_co_u32 v29, vcc_lo, v19, v12
	v_mad_co_u64_u32 v[21:22], null, v23, 36, v[0:1]
	v_mad_co_u64_u32 v[23:24], null, v24, 36, v[0:1]
	s_wait_alu 0xfffd
	v_add_co_ci_u32_e64 v30, null, 0, v20, vcc_lo
	v_add_nc_u32_e32 v14, 8, v14
	s_delay_alu instid0(VALU_DEP_4)
	v_add_co_u32 v31, vcc_lo, v21, v17
	s_wait_alu 0xfffd
	v_add_co_ci_u32_e64 v32, null, 0, v22, vcc_lo
	v_add_co_u32 v33, vcc_lo, v23, v17
	s_wait_alu 0xfffd
	v_add_co_ci_u32_e64 v34, null, 0, v24, vcc_lo
	;; [unrolled: 3-line block ×4, first 2 shown]
	s_clause 0x7
	global_load_b32 v43, v[31:32], off offset:4
	global_load_b32 v31, v[31:32], off offset:76
	;; [unrolled: 1-line block ×8, first 2 shown]
	s_clause 0x1
	global_load_i8 v38, v[29:30], off offset:192
	global_load_i8 v29, v[29:30], off offset:196
	s_clause 0x1
	global_load_b32 v30, v[2:3], off
	global_load_b32 v44, v[2:3], off offset:72
	s_clause 0x7
	global_load_b32 v45, v[25:26], off
	global_load_b32 v46, v[21:22], off
	;; [unrolled: 1-line block ×4, first 2 shown]
	global_load_b32 v23, v[23:24], off offset:72
	global_load_b32 v21, v[21:22], off offset:72
	;; [unrolled: 1-line block ×4, first 2 shown]
	global_load_u16 v19, v[19:20], off offset:208
	v_add_co_u32 v2, vcc_lo, 0x120, v2
	s_wait_alu 0xfffd
	v_add_co_ci_u32_e64 v3, null, 0, v3, vcc_lo
	v_cmp_le_u32_e32 vcc_lo, s22, v18
	s_or_b32 s3, vcc_lo, s3
	s_wait_loadcnt 0x18
	v_ashrrev_i32_e32 v20, v11, v39
	s_wait_loadcnt 0x17
	v_lshrrev_b32_e32 v25, 4, v40
	v_and_b32_e32 v26, 0xf0f0f0f, v40
	s_delay_alu instid0(VALU_DEP_3) | instskip(NEXT) | instid1(VALU_DEP_3)
	v_lshlrev_b32_e32 v27, 4, v20
	v_and_b32_e32 v25, 0xf0f0f0f, v25
	s_delay_alu instid0(VALU_DEP_2) | instskip(NEXT) | instid1(VALU_DEP_2)
	v_and_or_b32 v26, 0x30303030, v27, v26
	v_and_or_b32 v20, 0x30303030, v20, v25
	s_delay_alu instid0(VALU_DEP_2) | instskip(SKIP_1) | instid1(VALU_DEP_3)
	v_lshrrev_b32_e32 v25, 16, v26
	v_lshlrev_b16 v27, 8, v26
	v_lshrrev_b32_e32 v28, 16, v20
	v_and_b32_e32 v39, 0x3f00, v20
	v_lshlrev_b16 v20, 8, v20
	v_lshlrev_b16 v40, 8, v25
	v_add_nc_u16 v27, 0xe000, v27
	v_lshlrev_b16 v49, 8, v28
	v_and_b32_e32 v26, 0x3f00, v26
	v_and_b32_e32 v25, 0x3f00, v25
	v_add_nc_u16 v40, 0xe000, v40
	v_add_nc_u16 v20, 0xe000, v20
	;; [unrolled: 1-line block ×3, first 2 shown]
	v_lshrrev_b16 v27, 8, v27
	v_and_b32_e32 v28, 0x3f00, v28
	v_lshrrev_b16 v40, 8, v40
	v_lshrrev_b16 v20, 8, v20
	;; [unrolled: 1-line block ×3, first 2 shown]
	v_or_b32_e32 v26, v26, v27
	s_delay_alu instid0(VALU_DEP_4) | instskip(NEXT) | instid1(VALU_DEP_4)
	v_or_b32_e32 v25, v25, v40
	v_or_b32_e32 v20, v39, v20
	s_delay_alu instid0(VALU_DEP_4) | instskip(NEXT) | instid1(VALU_DEP_4)
	v_or_b32_e32 v27, v28, v49
	v_add_nc_u16 v26, 0xe000, v26
	s_delay_alu instid0(VALU_DEP_4) | instskip(NEXT) | instid1(VALU_DEP_4)
	v_add_nc_u16 v25, 0xe000, v25
	v_add_nc_u16 v20, 0xe000, v20
	s_delay_alu instid0(VALU_DEP_4) | instskip(NEXT) | instid1(VALU_DEP_4)
	v_add_nc_u16 v27, 0xe000, v27
	v_and_b32_e32 v26, 0xffff, v26
	s_delay_alu instid0(VALU_DEP_4) | instskip(NEXT) | instid1(VALU_DEP_4)
	v_lshlrev_b32_e32 v25, 16, v25
	v_and_b32_e32 v20, 0xffff, v20
	s_delay_alu instid0(VALU_DEP_4) | instskip(NEXT) | instid1(VALU_DEP_3)
	v_lshlrev_b32_e32 v27, 16, v27
	v_or_b32_e32 v25, v26, v25
	s_delay_alu instid0(VALU_DEP_2) | instskip(SKIP_1) | instid1(VALU_DEP_2)
	v_or_b32_e32 v20, v20, v27
	s_wait_loadcnt 0x16
	v_dot4_i32_iu8 v26, v25, v41, 0 neg_lo:[1,1,0]
	s_wait_loadcnt 0x14
	v_dot4_i32_iu8 v28, v25, v43, 0 neg_lo:[1,1,0]
	;; [unrolled: 2-line block ×5, first 2 shown]
	v_dot4_i32_iu8 v27, v20, v42, 0 neg_lo:[1,1,0]
	v_dot4_i32_iu8 v31, v20, v31, 0 neg_lo:[1,1,0]
	;; [unrolled: 1-line block ×4, first 2 shown]
	s_wait_loadcnt 0xd
	v_dot4_i32_iu8 v20, v20, v37, 0 neg_lo:[1,1,0]
	s_wait_loadcnt 0xc
	v_mul_lo_u32 v26, v26, v38
	v_mul_lo_u32 v28, v28, v38
	;; [unrolled: 1-line block ×5, first 2 shown]
	s_wait_loadcnt 0xb
	v_mul_lo_u32 v27, v27, v29
	v_mul_lo_u32 v33, v33, v29
	;; [unrolled: 1-line block ×5, first 2 shown]
	v_cvt_f32_i32_e32 v26, v26
	v_cvt_f32_i32_e32 v32, v32
	;; [unrolled: 1-line block ×10, first 2 shown]
	s_wait_loadcnt 0xa
	v_fma_mix_f32 v26, v30, v26, 0 op_sel_hi:[1,0,0]
	s_wait_loadcnt 0x7
	v_fma_mix_f32 v28, v46, v28, 0 op_sel_hi:[1,0,0]
	;; [unrolled: 2-line block ×3, first 2 shown]
	v_fma_mix_f32 v32, v45, v34, 0 op_sel_hi:[1,0,0]
	s_wait_loadcnt 0x5
	v_fma_mix_f32 v25, v48, v25, 0 op_sel_hi:[1,0,0]
	v_fma_mix_f32 v26, v44, v27, v26 op_sel_hi:[1,0,0]
	s_wait_loadcnt 0x3
	v_fma_mix_f32 v21, v21, v31, v28 op_sel_hi:[1,0,0]
	;; [unrolled: 3-line block ×4, first 2 shown]
	v_fma_mix_f32 v9, v21, v19, v9 op_sel_hi:[0,1,0]
	v_fma_mix_f32 v7, v23, v19, v7 op_sel_hi:[0,1,0]
	;; [unrolled: 1-line block ×4, first 2 shown]
	s_wait_alu 0xfffe
	s_and_not1_b32 exec_lo, exec_lo, s3
	s_cbranch_execnz .LBB152_2
; %bb.3:
	s_or_b32 exec_lo, exec_lo, s3
.LBB152_4:
	s_delay_alu instid0(SALU_CYCLE_1)
	s_or_b32 exec_lo, exec_lo, s21
	s_mov_b32 s3, 0
	; wave barrier
	global_inv scope:SCOPE_SE
	s_mov_b32 s2, exec_lo
	v_cmpx_eq_u32_e32 0, v8
	s_cbranch_execz .LBB152_15
; %bb.5:
	v_mbcnt_lo_u32_b32 v8, -1, 0
	s_load_b64 s[0:1], s[0:1], 0x38
	s_mul_i32 s2, s10, s19
	s_mul_i32 s4, s18, s20
	s_wait_alu 0xfffe
	s_add_co_i32 s2, s2, ttmp9
	v_xor_b32_e32 v0, 16, v8
	v_xor_b32_e32 v1, 8, v8
	;; [unrolled: 1-line block ×3, first 2 shown]
	s_wait_alu 0xfffe
	s_add_co_i32 s2, s2, s4
	s_wait_alu 0xfffe
	s_lshl_b64 s[2:3], s[2:3], 2
	v_cmp_gt_i32_e32 vcc_lo, 32, v0
	s_wait_alu 0xfffd
	v_cndmask_b32_e32 v0, v8, v0, vcc_lo
	v_cmp_gt_i32_e32 vcc_lo, 32, v1
	s_wait_kmcnt 0x0
	s_wait_alu 0xfffe
	s_add_nc_u64 s[0:1], s[0:1], s[2:3]
	s_wait_alu 0xfffd
	v_cndmask_b32_e32 v1, v8, v1, vcc_lo
	s_delay_alu instid0(VALU_DEP_1)
	v_lshlrev_b32_e32 v1, 2, v1
	v_lshlrev_b32_e32 v0, 2, v0
	ds_bpermute_b32 v2, v0, v10
	s_wait_dscnt 0x0
	v_add_f32_e32 v3, v10, v2
	v_xor_b32_e32 v2, 4, v8
	ds_bpermute_b32 v10, v1, v3
	v_cmp_gt_i32_e32 vcc_lo, 32, v2
	s_wait_alu 0xfffd
	v_cndmask_b32_e32 v2, v8, v2, vcc_lo
	s_wait_dscnt 0x0
	v_add_f32_e32 v10, v3, v10
	v_xor_b32_e32 v3, 2, v8
	s_delay_alu instid0(VALU_DEP_1) | instskip(SKIP_3) | instid1(VALU_DEP_2)
	v_cmp_gt_i32_e32 vcc_lo, 32, v3
	s_wait_alu 0xfffd
	v_cndmask_b32_e32 v3, v8, v3, vcc_lo
	v_cmp_gt_i32_e32 vcc_lo, 32, v12
	v_lshlrev_b32_e32 v3, 2, v3
	v_lshlrev_b32_e32 v2, 2, v2
	s_wait_alu 0xfffd
	v_cndmask_b32_e32 v8, v8, v12, vcc_lo
	v_cmp_eq_u32_e32 vcc_lo, 0, v5
	ds_bpermute_b32 v11, v2, v10
	v_lshlrev_b32_e32 v8, 2, v8
	s_wait_dscnt 0x0
	v_add_f32_e32 v10, v10, v11
	ds_bpermute_b32 v11, v3, v10
	s_wait_dscnt 0x0
	v_add_f32_e32 v10, v10, v11
	ds_bpermute_b32 v11, v8, v10
	s_and_saveexec_b32 s2, vcc_lo
	s_cbranch_execz .LBB152_7
; %bb.6:
	s_wait_dscnt 0x0
	v_dual_add_f32 v5, v10, v11 :: v_dual_mov_b32 v10, 0
	global_store_b32 v10, v5, s[0:1]
.LBB152_7:
	s_wait_alu 0xfffe
	s_or_b32 exec_lo, exec_lo, s2
	ds_bpermute_b32 v5, v0, v9
	s_wait_dscnt 0x0
	v_add_f32_e32 v5, v9, v5
	ds_bpermute_b32 v9, v1, v5
	s_wait_dscnt 0x0
	v_add_f32_e32 v5, v5, v9
	;; [unrolled: 3-line block ×4, first 2 shown]
	ds_bpermute_b32 v9, v8, v5
	s_and_saveexec_b32 s2, vcc_lo
	s_cbranch_execz .LBB152_9
; %bb.8:
	s_mov_b32 s7, 0
	s_wait_dscnt 0x0
	v_add_f32_e32 v5, v5, v9
	v_mov_b32_e32 v9, 0
	s_wait_alu 0xfffe
	s_lshl_b64 s[4:5], s[6:7], 2
	s_wait_alu 0xfffe
	s_add_nc_u64 s[4:5], s[0:1], s[4:5]
	global_store_b32 v9, v5, s[4:5]
.LBB152_9:
	s_wait_alu 0xfffe
	s_or_b32 exec_lo, exec_lo, s2
	ds_bpermute_b32 v5, v0, v7
	s_wait_dscnt 0x0
	v_add_f32_e32 v5, v7, v5
	ds_bpermute_b32 v7, v1, v5
	s_wait_dscnt 0x0
	v_add_f32_e32 v5, v5, v7
	;; [unrolled: 3-line block ×4, first 2 shown]
	ds_bpermute_b32 v7, v8, v5
	s_and_saveexec_b32 s2, vcc_lo
	s_cbranch_execz .LBB152_11
; %bb.10:
	s_lshl_b32 s4, s6, 1
	s_mov_b32 s5, 0
	s_wait_dscnt 0x0
	v_add_f32_e32 v5, v5, v7
	v_mov_b32_e32 v7, 0
	s_wait_alu 0xfffe
	s_lshl_b64 s[4:5], s[4:5], 2
	s_wait_alu 0xfffe
	s_add_nc_u64 s[4:5], s[0:1], s[4:5]
	global_store_b32 v7, v5, s[4:5]
.LBB152_11:
	s_wait_alu 0xfffe
	s_or_b32 exec_lo, exec_lo, s2
	ds_bpermute_b32 v5, v0, v6
	s_wait_dscnt 0x0
	v_add_f32_e32 v5, v6, v5
	ds_bpermute_b32 v6, v1, v5
	s_wait_dscnt 0x0
	v_add_f32_e32 v5, v5, v6
	;; [unrolled: 3-line block ×4, first 2 shown]
	ds_bpermute_b32 v6, v8, v5
	s_and_saveexec_b32 s2, vcc_lo
	s_cbranch_execz .LBB152_13
; %bb.12:
	s_mul_i32 s4, s6, 3
	s_mov_b32 s5, 0
	s_wait_dscnt 0x0
	v_dual_add_f32 v5, v5, v6 :: v_dual_mov_b32 v6, 0
	s_wait_alu 0xfffe
	s_lshl_b64 s[4:5], s[4:5], 2
	s_wait_alu 0xfffe
	s_add_nc_u64 s[4:5], s[0:1], s[4:5]
	global_store_b32 v6, v5, s[4:5]
.LBB152_13:
	s_wait_alu 0xfffe
	s_or_b32 exec_lo, exec_lo, s2
	ds_bpermute_b32 v0, v0, v4
	s_wait_dscnt 0x0
	v_add_f32_e32 v0, v4, v0
	ds_bpermute_b32 v1, v1, v0
	s_wait_dscnt 0x0
	v_add_f32_e32 v0, v0, v1
	ds_bpermute_b32 v1, v2, v0
	s_wait_dscnt 0x0
	v_add_f32_e32 v0, v0, v1
	ds_bpermute_b32 v1, v3, v0
	s_wait_dscnt 0x0
	v_add_f32_e32 v0, v0, v1
	ds_bpermute_b32 v1, v8, v0
	s_and_b32 exec_lo, exec_lo, vcc_lo
	s_cbranch_execz .LBB152_15
; %bb.14:
	s_lshl_b32 s2, s6, 2
	s_mov_b32 s3, 0
	s_wait_dscnt 0x0
	v_dual_add_f32 v0, v0, v1 :: v_dual_mov_b32 v1, 0
	s_wait_alu 0xfffe
	s_lshl_b64 s[2:3], s[2:3], 2
	s_wait_alu 0xfffe
	s_add_nc_u64 s[0:1], s[0:1], s[2:3]
	global_store_b32 v1, v0, s[0:1]
.LBB152_15:
	s_endpgm
	.section	.rodata,"a",@progbits
	.p2align	6, 0x0
	.amdhsa_kernel _ZL13mul_mat_vec_qIL9ggml_type14ELi5ELb0ELb0EEvPKvS2_PKi31ggml_cuda_mm_fusion_args_devicePfj15HIP_vector_typeIjLj3EEjjjS8_jjjS8_jjjj
		.amdhsa_group_segment_fixed_size 0
		.amdhsa_private_segment_fixed_size 0
		.amdhsa_kernarg_size 144
		.amdhsa_user_sgpr_count 2
		.amdhsa_user_sgpr_dispatch_ptr 0
		.amdhsa_user_sgpr_queue_ptr 0
		.amdhsa_user_sgpr_kernarg_segment_ptr 1
		.amdhsa_user_sgpr_dispatch_id 0
		.amdhsa_user_sgpr_private_segment_size 0
		.amdhsa_wavefront_size32 1
		.amdhsa_uses_dynamic_stack 0
		.amdhsa_enable_private_segment 0
		.amdhsa_system_sgpr_workgroup_id_x 1
		.amdhsa_system_sgpr_workgroup_id_y 1
		.amdhsa_system_sgpr_workgroup_id_z 1
		.amdhsa_system_sgpr_workgroup_info 0
		.amdhsa_system_vgpr_workitem_id 1
		.amdhsa_next_free_vgpr 50
		.amdhsa_next_free_sgpr 30
		.amdhsa_reserve_vcc 1
		.amdhsa_float_round_mode_32 0
		.amdhsa_float_round_mode_16_64 0
		.amdhsa_float_denorm_mode_32 3
		.amdhsa_float_denorm_mode_16_64 3
		.amdhsa_fp16_overflow 0
		.amdhsa_workgroup_processor_mode 1
		.amdhsa_memory_ordered 1
		.amdhsa_forward_progress 1
		.amdhsa_inst_pref_size 21
		.amdhsa_round_robin_scheduling 0
		.amdhsa_exception_fp_ieee_invalid_op 0
		.amdhsa_exception_fp_denorm_src 0
		.amdhsa_exception_fp_ieee_div_zero 0
		.amdhsa_exception_fp_ieee_overflow 0
		.amdhsa_exception_fp_ieee_underflow 0
		.amdhsa_exception_fp_ieee_inexact 0
		.amdhsa_exception_int_div_zero 0
	.end_amdhsa_kernel
	.section	.text._ZL13mul_mat_vec_qIL9ggml_type14ELi5ELb0ELb0EEvPKvS2_PKi31ggml_cuda_mm_fusion_args_devicePfj15HIP_vector_typeIjLj3EEjjjS8_jjjS8_jjjj,"axG",@progbits,_ZL13mul_mat_vec_qIL9ggml_type14ELi5ELb0ELb0EEvPKvS2_PKi31ggml_cuda_mm_fusion_args_devicePfj15HIP_vector_typeIjLj3EEjjjS8_jjjS8_jjjj,comdat
.Lfunc_end152:
	.size	_ZL13mul_mat_vec_qIL9ggml_type14ELi5ELb0ELb0EEvPKvS2_PKi31ggml_cuda_mm_fusion_args_devicePfj15HIP_vector_typeIjLj3EEjjjS8_jjjS8_jjjj, .Lfunc_end152-_ZL13mul_mat_vec_qIL9ggml_type14ELi5ELb0ELb0EEvPKvS2_PKi31ggml_cuda_mm_fusion_args_devicePfj15HIP_vector_typeIjLj3EEjjjS8_jjjS8_jjjj
                                        ; -- End function
	.set _ZL13mul_mat_vec_qIL9ggml_type14ELi5ELb0ELb0EEvPKvS2_PKi31ggml_cuda_mm_fusion_args_devicePfj15HIP_vector_typeIjLj3EEjjjS8_jjjS8_jjjj.num_vgpr, 50
	.set _ZL13mul_mat_vec_qIL9ggml_type14ELi5ELb0ELb0EEvPKvS2_PKi31ggml_cuda_mm_fusion_args_devicePfj15HIP_vector_typeIjLj3EEjjjS8_jjjS8_jjjj.num_agpr, 0
	.set _ZL13mul_mat_vec_qIL9ggml_type14ELi5ELb0ELb0EEvPKvS2_PKi31ggml_cuda_mm_fusion_args_devicePfj15HIP_vector_typeIjLj3EEjjjS8_jjjS8_jjjj.numbered_sgpr, 30
	.set _ZL13mul_mat_vec_qIL9ggml_type14ELi5ELb0ELb0EEvPKvS2_PKi31ggml_cuda_mm_fusion_args_devicePfj15HIP_vector_typeIjLj3EEjjjS8_jjjS8_jjjj.num_named_barrier, 0
	.set _ZL13mul_mat_vec_qIL9ggml_type14ELi5ELb0ELb0EEvPKvS2_PKi31ggml_cuda_mm_fusion_args_devicePfj15HIP_vector_typeIjLj3EEjjjS8_jjjS8_jjjj.private_seg_size, 0
	.set _ZL13mul_mat_vec_qIL9ggml_type14ELi5ELb0ELb0EEvPKvS2_PKi31ggml_cuda_mm_fusion_args_devicePfj15HIP_vector_typeIjLj3EEjjjS8_jjjS8_jjjj.uses_vcc, 1
	.set _ZL13mul_mat_vec_qIL9ggml_type14ELi5ELb0ELb0EEvPKvS2_PKi31ggml_cuda_mm_fusion_args_devicePfj15HIP_vector_typeIjLj3EEjjjS8_jjjS8_jjjj.uses_flat_scratch, 0
	.set _ZL13mul_mat_vec_qIL9ggml_type14ELi5ELb0ELb0EEvPKvS2_PKi31ggml_cuda_mm_fusion_args_devicePfj15HIP_vector_typeIjLj3EEjjjS8_jjjS8_jjjj.has_dyn_sized_stack, 0
	.set _ZL13mul_mat_vec_qIL9ggml_type14ELi5ELb0ELb0EEvPKvS2_PKi31ggml_cuda_mm_fusion_args_devicePfj15HIP_vector_typeIjLj3EEjjjS8_jjjS8_jjjj.has_recursion, 0
	.set _ZL13mul_mat_vec_qIL9ggml_type14ELi5ELb0ELb0EEvPKvS2_PKi31ggml_cuda_mm_fusion_args_devicePfj15HIP_vector_typeIjLj3EEjjjS8_jjjS8_jjjj.has_indirect_call, 0
	.section	.AMDGPU.csdata,"",@progbits
; Kernel info:
; codeLenInByte = 2632
; TotalNumSgprs: 32
; NumVgprs: 50
; ScratchSize: 0
; MemoryBound: 0
; FloatMode: 240
; IeeeMode: 1
; LDSByteSize: 0 bytes/workgroup (compile time only)
; SGPRBlocks: 0
; VGPRBlocks: 6
; NumSGPRsForWavesPerEU: 32
; NumVGPRsForWavesPerEU: 50
; Occupancy: 16
; WaveLimiterHint : 0
; COMPUTE_PGM_RSRC2:SCRATCH_EN: 0
; COMPUTE_PGM_RSRC2:USER_SGPR: 2
; COMPUTE_PGM_RSRC2:TRAP_HANDLER: 0
; COMPUTE_PGM_RSRC2:TGID_X_EN: 1
; COMPUTE_PGM_RSRC2:TGID_Y_EN: 1
; COMPUTE_PGM_RSRC2:TGID_Z_EN: 1
; COMPUTE_PGM_RSRC2:TIDIG_COMP_CNT: 1
	.section	.text._ZL13mul_mat_vec_qIL9ggml_type14ELi6ELb0ELb0EEvPKvS2_PKi31ggml_cuda_mm_fusion_args_devicePfj15HIP_vector_typeIjLj3EEjjjS8_jjjS8_jjjj,"axG",@progbits,_ZL13mul_mat_vec_qIL9ggml_type14ELi6ELb0ELb0EEvPKvS2_PKi31ggml_cuda_mm_fusion_args_devicePfj15HIP_vector_typeIjLj3EEjjjS8_jjjS8_jjjj,comdat
	.globl	_ZL13mul_mat_vec_qIL9ggml_type14ELi6ELb0ELb0EEvPKvS2_PKi31ggml_cuda_mm_fusion_args_devicePfj15HIP_vector_typeIjLj3EEjjjS8_jjjS8_jjjj ; -- Begin function _ZL13mul_mat_vec_qIL9ggml_type14ELi6ELb0ELb0EEvPKvS2_PKi31ggml_cuda_mm_fusion_args_devicePfj15HIP_vector_typeIjLj3EEjjjS8_jjjS8_jjjj
	.p2align	8
	.type	_ZL13mul_mat_vec_qIL9ggml_type14ELi6ELb0ELb0EEvPKvS2_PKi31ggml_cuda_mm_fusion_args_devicePfj15HIP_vector_typeIjLj3EEjjjS8_jjjS8_jjjj,@function
_ZL13mul_mat_vec_qIL9ggml_type14ELi6ELb0ELb0EEvPKvS2_PKi31ggml_cuda_mm_fusion_args_devicePfj15HIP_vector_typeIjLj3EEjjjS8_jjjS8_jjjj: ; @_ZL13mul_mat_vec_qIL9ggml_type14ELi6ELb0ELb0EEvPKvS2_PKi31ggml_cuda_mm_fusion_args_devicePfj15HIP_vector_typeIjLj3EEjjjS8_jjjS8_jjjj
; %bb.0:
	s_clause 0x5
	s_load_b32 s2, s[0:1], 0x40
	s_load_b128 s[4:7], s[0:1], 0x50
	s_load_b32 s23, s[0:1], 0x60
	s_load_b128 s[8:11], s[0:1], 0x68
	s_load_b32 s24, s[0:1], 0x78
	s_load_b96 s[16:18], s[0:1], 0x80
	v_dual_mov_b32 v4, 0 :: v_dual_mov_b32 v5, 0
	v_dual_mov_b32 v7, 0 :: v_dual_mov_b32 v8, 0
	v_bfe_u32 v9, v0, 10, 10
	v_dual_mov_b32 v10, 0 :: v_dual_mov_b32 v11, 0
	v_and_b32_e32 v6, 0x3ff, v0
	s_and_b32 s19, ttmp7, 0xffff
	s_lshr_b32 s20, ttmp7, 16
	s_mov_b32 s21, exec_lo
	s_wait_kmcnt 0x0
	s_lshr_b32 s22, s2, 8
	s_delay_alu instid0(SALU_CYCLE_1)
	v_cmpx_gt_u32_e64 s22, v9
	s_cbranch_execz .LBB153_4
; %bb.1:
	v_bfe_u32 v2, v6, 4, 1
	v_lshrrev_b32_e32 v0, 5, v6
	s_mul_hi_u32 s11, s11, s20
	s_mov_b32 s3, 0
	v_and_b32_e32 v5, 31, v6
	v_lshlrev_b32_e32 v7, 3, v2
	v_add_nc_u32_e32 v0, v0, v9
	v_and_b32_e32 v8, 7, v6
	s_mul_i32 s26, s9, s19
	v_and_b32_e32 v3, 15, v6
	s_add_co_i32 s9, s20, s11
	s_mov_b32 s27, s3
	s_lshr_b32 s11, s9, s24
	s_mul_u64 s[24:25], s[26:27], 36
	s_load_b128 s[12:15], s[0:1], 0x0
	v_or_b32_e32 v12, v7, v8
	v_lshlrev_b32_e32 v14, 2, v8
	v_lshlrev_b32_e32 v18, 2, v8
	v_dual_mov_b32 v8, 0 :: v_dual_lshlrev_b32 v11, 1, v5
	v_mov_b32_e32 v5, 0
	v_mad_co_u64_u32 v[0:1], null, 0x120, v0, s[24:25]
	v_lshrrev_b16 v4, 3, v3
	s_mul_i32 s2, s17, s20
	v_lshlrev_b32_e32 v17, 1, v12
	v_mov_b32_e32 v19, v9
	s_mul_hi_u32 s7, s7, s19
	v_and_b32_e32 v4, 0xffff, v4
	v_mad_co_u64_u32 v[0:1], null, s2, 36, v[0:1]
	s_add_co_i32 s7, s19, s7
	s_mul_u64 s[28:29], s[2:3], 36
	v_lshl_or_b32 v10, v2, 2, v4
	v_lshlrev_b32_e32 v12, 1, v4
	v_mov_b32_e32 v4, 0
	v_lshrrev_b16 v3, 2, v3
	s_lshr_b32 s7, s7, s23
	s_mul_i32 s4, s4, ttmp9
	s_mul_i32 s7, s7, s8
	s_wait_kmcnt 0x0
	s_add_nc_u64 s[8:9], s[14:15], s[28:29]
	v_and_b32_e32 v13, 0xffff, v3
	v_mad_co_u64_u32 v[2:3], null, v10, 36, v[0:1]
	s_add_nc_u64 s[8:9], s[8:9], s[24:25]
	v_lshlrev_b32_e32 v15, 3, v9
	v_mad_co_u64_u32 v[0:1], null, v10, 36, s[8:9]
	v_lshlrev_b32_e32 v16, 1, v11
	v_lshlrev_b32_e32 v17, 1, v17
	v_add_co_u32 v2, vcc_lo, s14, v2
	s_delay_alu instid0(VALU_DEP_1)
	v_add_co_ci_u32_e64 v3, null, s15, v3, vcc_lo
	v_dual_mov_b32 v11, 0 :: v_dual_mov_b32 v10, 0
	v_or_b32_e32 v13, v7, v13
	v_mov_b32_e32 v7, 0
	s_mul_i32 s11, s11, s16
	s_add_co_i32 s7, s7, s4
	s_lshl_b32 s2, s5, 1
	s_add_co_i32 s4, s11, s7
	s_mul_i32 s7, s5, 3
	s_lshl_b32 s8, s5, 2
	s_mul_i32 s9, s5, 5
.LBB153_2:                              ; =>This Inner Loop Header: Depth=1
	v_add_nc_u32_e32 v22, s4, v19
	v_add_co_u32 v20, vcc_lo, v2, v14
	s_wait_alu 0xfffd
	v_add_co_ci_u32_e64 v21, null, 0, v3, vcc_lo
	s_delay_alu instid0(VALU_DEP_3)
	v_mad_co_i64_i32 v[22:23], null, 0xd2, v22, s[12:13]
	s_clause 0x3
	global_load_b32 v44, v[2:3], off
	global_load_b32 v45, v[2:3], off offset:72
	global_load_b32 v46, v[20:21], off offset:4
	;; [unrolled: 1-line block ×3, first 2 shown]
	v_add_nc_u32_e32 v24, s5, v15
	s_wait_alu 0xfffe
	v_add_nc_u32_e32 v25, s2, v15
	v_add_nc_u32_e32 v30, s7, v15
	;; [unrolled: 1-line block ×3, first 2 shown]
	v_add_co_u32 v26, vcc_lo, v22, v17
	s_wait_alu 0xfffd
	v_add_co_ci_u32_e64 v27, null, 0, v23, vcc_lo
	v_add_co_u32 v28, vcc_lo, v22, v16
	s_wait_alu 0xfffd
	v_add_co_ci_u32_e64 v29, null, 0, v23, vcc_lo
	s_clause 0x1
	global_load_b32 v48, v[26:27], off offset:128
	global_load_b32 v49, v[28:29], off
	v_mad_co_u64_u32 v[20:21], null, v24, 36, v[0:1]
	v_add_nc_u32_e32 v32, s9, v15
	v_mad_co_u64_u32 v[24:25], null, v25, 36, v[0:1]
	v_mad_co_u64_u32 v[26:27], null, v30, 36, v[0:1]
	;; [unrolled: 1-line block ×3, first 2 shown]
	s_delay_alu instid0(VALU_DEP_4)
	v_mad_co_u64_u32 v[30:31], null, v32, 36, v[0:1]
	v_add_co_u32 v32, vcc_lo, v22, v13
	s_wait_alu 0xfffd
	v_add_co_ci_u32_e64 v33, null, 0, v23, vcc_lo
	v_add_co_u32 v34, vcc_lo, v20, v18
	s_wait_alu 0xfffd
	v_add_co_ci_u32_e64 v35, null, 0, v21, vcc_lo
	;; [unrolled: 3-line block ×6, first 2 shown]
	s_clause 0xa
	global_load_b32 v50, v[26:27], off
	global_load_b32 v51, v[34:35], off offset:4
	global_load_b32 v34, v[34:35], off offset:76
	;; [unrolled: 1-line block ×10, first 2 shown]
	s_clause 0x1
	global_load_i8 v43, v[32:33], off offset:192
	global_load_i8 v32, v[32:33], off offset:196
	s_clause 0x8
	global_load_b32 v33, v[30:31], off
	global_load_b32 v52, v[20:21], off
	;; [unrolled: 1-line block ×4, first 2 shown]
	global_load_b32 v24, v[24:25], off offset:72
	global_load_b32 v20, v[20:21], off offset:72
	;; [unrolled: 1-line block ×5, first 2 shown]
	global_load_u16 v22, v[22:23], off offset:208
	v_add_nc_u32_e32 v19, 1, v19
	v_add_co_u32 v2, vcc_lo, 0x120, v2
	s_wait_alu 0xfffd
	v_add_co_ci_u32_e64 v3, null, 0, v3, vcc_lo
	s_delay_alu instid0(VALU_DEP_3)
	v_cmp_le_u32_e32 vcc_lo, s22, v19
	v_add_nc_u32_e32 v15, 8, v15
	s_or_b32 s3, vcc_lo, s3
	s_wait_loadcnt 0x18
	v_ashrrev_i32_e32 v23, v12, v48
	s_wait_loadcnt 0x17
	v_lshrrev_b32_e32 v27, 4, v49
	v_and_b32_e32 v28, 0xf0f0f0f, v49
	s_delay_alu instid0(VALU_DEP_3) | instskip(NEXT) | instid1(VALU_DEP_3)
	v_lshlrev_b32_e32 v29, 4, v23
	v_and_b32_e32 v27, 0xf0f0f0f, v27
	s_delay_alu instid0(VALU_DEP_2) | instskip(NEXT) | instid1(VALU_DEP_2)
	v_and_or_b32 v28, 0x30303030, v29, v28
	v_and_or_b32 v23, 0x30303030, v23, v27
	s_delay_alu instid0(VALU_DEP_2) | instskip(NEXT) | instid1(VALU_DEP_2)
	v_lshrrev_b32_e32 v27, 16, v28
	v_lshrrev_b32_e32 v30, 16, v23
	v_lshlrev_b16 v29, 8, v28
	v_and_b32_e32 v31, 0x3f00, v23
	v_lshlrev_b16 v23, 8, v23
	v_lshlrev_b16 v48, 8, v27
	;; [unrolled: 1-line block ×3, first 2 shown]
	v_add_nc_u16 v29, 0xe000, v29
	v_and_b32_e32 v28, 0x3f00, v28
	v_add_nc_u16 v23, 0xe000, v23
	v_add_nc_u16 v48, 0xe000, v48
	;; [unrolled: 1-line block ×3, first 2 shown]
	v_and_b32_e32 v27, 0x3f00, v27
	v_and_b32_e32 v30, 0x3f00, v30
	v_lshrrev_b16 v29, 8, v29
	v_lshrrev_b16 v23, 8, v23
	;; [unrolled: 1-line block ×4, first 2 shown]
	s_delay_alu instid0(VALU_DEP_4) | instskip(NEXT) | instid1(VALU_DEP_4)
	v_or_b32_e32 v28, v28, v29
	v_or_b32_e32 v23, v31, v23
	s_delay_alu instid0(VALU_DEP_4) | instskip(NEXT) | instid1(VALU_DEP_4)
	v_or_b32_e32 v27, v27, v48
	v_or_b32_e32 v29, v30, v49
	s_delay_alu instid0(VALU_DEP_4) | instskip(NEXT) | instid1(VALU_DEP_4)
	v_add_nc_u16 v28, 0xe000, v28
	v_add_nc_u16 v23, 0xe000, v23
	s_delay_alu instid0(VALU_DEP_4) | instskip(NEXT) | instid1(VALU_DEP_4)
	v_add_nc_u16 v27, 0xe000, v27
	v_add_nc_u16 v29, 0xe000, v29
	s_delay_alu instid0(VALU_DEP_4) | instskip(NEXT) | instid1(VALU_DEP_4)
	v_and_b32_e32 v28, 0xffff, v28
	v_and_b32_e32 v23, 0xffff, v23
	s_delay_alu instid0(VALU_DEP_4) | instskip(NEXT) | instid1(VALU_DEP_4)
	v_lshlrev_b32_e32 v27, 16, v27
	v_lshlrev_b32_e32 v29, 16, v29
	s_delay_alu instid0(VALU_DEP_2) | instskip(NEXT) | instid1(VALU_DEP_2)
	v_or_b32_e32 v27, v28, v27
	v_or_b32_e32 v23, v23, v29
	s_delay_alu instid0(VALU_DEP_2)
	v_dot4_i32_iu8 v28, v27, v46, 0 neg_lo:[1,1,0]
	s_wait_loadcnt 0x15
	v_dot4_i32_iu8 v30, v27, v51, 0 neg_lo:[1,1,0]
	s_wait_loadcnt 0x14
	;; [unrolled: 2-line block ×8, first 2 shown]
	v_dot4_i32_iu8 v27, v27, v41, 0 neg_lo:[1,1,0]
	v_dot4_i32_iu8 v29, v23, v47, 0 neg_lo:[1,1,0]
	;; [unrolled: 1-line block ×3, first 2 shown]
	s_wait_loadcnt 0xc
	v_dot4_i32_iu8 v23, v23, v42, 0 neg_lo:[1,1,0]
	s_wait_loadcnt 0xb
	v_mul_lo_u32 v28, v28, v43
	v_mul_lo_u32 v30, v30, v43
	;; [unrolled: 1-line block ×6, first 2 shown]
	s_wait_loadcnt 0xa
	v_mul_lo_u32 v31, v31, v32
	v_mul_lo_u32 v29, v29, v32
	v_mul_lo_u32 v37, v37, v32
	v_mul_lo_u32 v35, v35, v32
	v_mul_lo_u32 v23, v23, v32
	v_mul_lo_u32 v32, v39, v32
	v_cvt_f32_i32_e32 v30, v30
	v_cvt_f32_i32_e32 v28, v28
	;; [unrolled: 1-line block ×12, first 2 shown]
	v_fma_mix_f32 v28, v44, v28, 0 op_sel_hi:[1,0,0]
	s_wait_loadcnt 0x8
	v_fma_mix_f32 v30, v52, v30, 0 op_sel_hi:[1,0,0]
	s_wait_loadcnt 0x7
	v_fma_mix_f32 v34, v53, v34, 0 op_sel_hi:[1,0,0]
	v_fma_mix_f32 v36, v50, v36, 0 op_sel_hi:[1,0,0]
	s_wait_loadcnt 0x6
	v_fma_mix_f32 v38, v54, v38, 0 op_sel_hi:[1,0,0]
	;; [unrolled: 3-line block ×6, first 2 shown]
	v_fma_mix_f32 v10, v20, v22, v10 op_sel_hi:[0,1,0]
	v_fma_mix_f32 v8, v24, v22, v8 op_sel_hi:[0,1,0]
	v_fma_mix_f32 v7, v25, v22, v7 op_sel_hi:[0,1,0]
	v_fma_mix_f32 v5, v21, v22, v5 op_sel_hi:[0,1,0]
	v_fma_mix_f32 v4, v23, v22, v4 op_sel_hi:[0,1,0]
	s_wait_alu 0xfffe
	s_and_not1_b32 exec_lo, exec_lo, s3
	s_cbranch_execnz .LBB153_2
; %bb.3:
	s_or_b32 exec_lo, exec_lo, s3
.LBB153_4:
	s_delay_alu instid0(SALU_CYCLE_1)
	s_or_b32 exec_lo, exec_lo, s21
	s_mov_b32 s3, 0
	; wave barrier
	global_inv scope:SCOPE_SE
	s_mov_b32 s2, exec_lo
	v_cmpx_eq_u32_e32 0, v9
	s_cbranch_execz .LBB153_17
; %bb.5:
	v_mbcnt_lo_u32_b32 v9, -1, 0
	s_load_b64 s[0:1], s[0:1], 0x38
	s_mul_i32 s2, s10, s19
	s_mul_i32 s4, s18, s20
	s_wait_alu 0xfffe
	s_add_co_i32 s2, s2, ttmp9
	v_xor_b32_e32 v0, 16, v9
	v_xor_b32_e32 v1, 8, v9
	;; [unrolled: 1-line block ×3, first 2 shown]
	s_wait_alu 0xfffe
	s_add_co_i32 s2, s2, s4
	s_wait_alu 0xfffe
	s_lshl_b64 s[2:3], s[2:3], 2
	v_cmp_gt_i32_e32 vcc_lo, 32, v0
	s_wait_alu 0xfffd
	v_cndmask_b32_e32 v0, v9, v0, vcc_lo
	v_cmp_gt_i32_e32 vcc_lo, 32, v1
	s_wait_kmcnt 0x0
	s_wait_alu 0xfffe
	s_add_nc_u64 s[0:1], s[0:1], s[2:3]
	s_wait_alu 0xfffd
	v_cndmask_b32_e32 v1, v9, v1, vcc_lo
	s_delay_alu instid0(VALU_DEP_1)
	v_lshlrev_b32_e32 v1, 2, v1
	v_lshlrev_b32_e32 v0, 2, v0
	ds_bpermute_b32 v2, v0, v11
	s_wait_dscnt 0x0
	v_add_f32_e32 v3, v11, v2
	v_xor_b32_e32 v2, 4, v9
	ds_bpermute_b32 v11, v1, v3
	v_cmp_gt_i32_e32 vcc_lo, 32, v2
	s_wait_dscnt 0x0
	s_wait_alu 0xfffd
	v_dual_cndmask_b32 v2, v9, v2 :: v_dual_add_f32 v11, v3, v11
	s_delay_alu instid0(VALU_DEP_1)
	v_lshlrev_b32_e32 v2, 2, v2
	v_xor_b32_e32 v3, 2, v9
	ds_bpermute_b32 v12, v2, v11
	v_cmp_gt_i32_e32 vcc_lo, 32, v3
	s_wait_alu 0xfffd
	v_cndmask_b32_e32 v3, v9, v3, vcc_lo
	v_cmp_gt_i32_e32 vcc_lo, 32, v13
	s_delay_alu instid0(VALU_DEP_2) | instskip(SKIP_3) | instid1(VALU_DEP_2)
	v_lshlrev_b32_e32 v3, 2, v3
	s_wait_alu 0xfffd
	v_cndmask_b32_e32 v9, v9, v13, vcc_lo
	v_cmp_eq_u32_e32 vcc_lo, 0, v6
	v_lshlrev_b32_e32 v9, 2, v9
	s_wait_dscnt 0x0
	v_add_f32_e32 v11, v11, v12
	ds_bpermute_b32 v12, v3, v11
	s_wait_dscnt 0x0
	v_add_f32_e32 v11, v11, v12
	ds_bpermute_b32 v12, v9, v11
	s_and_saveexec_b32 s2, vcc_lo
	s_cbranch_execz .LBB153_7
; %bb.6:
	s_wait_dscnt 0x0
	v_dual_add_f32 v6, v11, v12 :: v_dual_mov_b32 v11, 0
	global_store_b32 v11, v6, s[0:1]
.LBB153_7:
	s_wait_alu 0xfffe
	s_or_b32 exec_lo, exec_lo, s2
	ds_bpermute_b32 v6, v0, v10
	s_wait_dscnt 0x0
	v_add_f32_e32 v6, v10, v6
	ds_bpermute_b32 v10, v1, v6
	s_wait_dscnt 0x0
	v_add_f32_e32 v6, v6, v10
	;; [unrolled: 3-line block ×4, first 2 shown]
	ds_bpermute_b32 v10, v9, v6
	s_and_saveexec_b32 s2, vcc_lo
	s_cbranch_execz .LBB153_9
; %bb.8:
	s_mov_b32 s7, 0
	s_wait_dscnt 0x0
	v_add_f32_e32 v6, v6, v10
	v_mov_b32_e32 v10, 0
	s_wait_alu 0xfffe
	s_lshl_b64 s[4:5], s[6:7], 2
	s_wait_alu 0xfffe
	s_add_nc_u64 s[4:5], s[0:1], s[4:5]
	global_store_b32 v10, v6, s[4:5]
.LBB153_9:
	s_wait_alu 0xfffe
	s_or_b32 exec_lo, exec_lo, s2
	ds_bpermute_b32 v6, v0, v8
	s_wait_dscnt 0x0
	v_add_f32_e32 v6, v8, v6
	ds_bpermute_b32 v8, v1, v6
	s_wait_dscnt 0x0
	v_add_f32_e32 v6, v6, v8
	;; [unrolled: 3-line block ×4, first 2 shown]
	ds_bpermute_b32 v8, v9, v6
	s_and_saveexec_b32 s2, vcc_lo
	s_cbranch_execz .LBB153_11
; %bb.10:
	s_lshl_b32 s4, s6, 1
	s_mov_b32 s5, 0
	s_wait_dscnt 0x0
	v_add_f32_e32 v6, v6, v8
	v_mov_b32_e32 v8, 0
	s_wait_alu 0xfffe
	s_lshl_b64 s[4:5], s[4:5], 2
	s_wait_alu 0xfffe
	s_add_nc_u64 s[4:5], s[0:1], s[4:5]
	global_store_b32 v8, v6, s[4:5]
.LBB153_11:
	s_wait_alu 0xfffe
	s_or_b32 exec_lo, exec_lo, s2
	ds_bpermute_b32 v6, v0, v7
	s_wait_dscnt 0x0
	v_add_f32_e32 v6, v7, v6
	ds_bpermute_b32 v7, v1, v6
	s_wait_dscnt 0x0
	v_add_f32_e32 v6, v6, v7
	;; [unrolled: 3-line block ×4, first 2 shown]
	ds_bpermute_b32 v7, v9, v6
	s_and_saveexec_b32 s2, vcc_lo
	s_cbranch_execz .LBB153_13
; %bb.12:
	s_mul_i32 s4, s6, 3
	s_mov_b32 s5, 0
	s_wait_dscnt 0x0
	v_dual_add_f32 v6, v6, v7 :: v_dual_mov_b32 v7, 0
	s_wait_alu 0xfffe
	s_lshl_b64 s[4:5], s[4:5], 2
	s_wait_alu 0xfffe
	s_add_nc_u64 s[4:5], s[0:1], s[4:5]
	global_store_b32 v7, v6, s[4:5]
.LBB153_13:
	s_wait_alu 0xfffe
	s_or_b32 exec_lo, exec_lo, s2
	ds_bpermute_b32 v6, v0, v5
	s_wait_dscnt 0x0
	v_add_f32_e32 v5, v5, v6
	ds_bpermute_b32 v6, v1, v5
	s_wait_dscnt 0x0
	v_add_f32_e32 v5, v5, v6
	;; [unrolled: 3-line block ×4, first 2 shown]
	ds_bpermute_b32 v6, v9, v5
	s_and_saveexec_b32 s2, vcc_lo
	s_cbranch_execz .LBB153_15
; %bb.14:
	s_lshl_b32 s4, s6, 2
	s_mov_b32 s5, 0
	s_wait_dscnt 0x0
	v_dual_add_f32 v5, v5, v6 :: v_dual_mov_b32 v6, 0
	s_wait_alu 0xfffe
	s_lshl_b64 s[4:5], s[4:5], 2
	s_wait_alu 0xfffe
	s_add_nc_u64 s[4:5], s[0:1], s[4:5]
	global_store_b32 v6, v5, s[4:5]
.LBB153_15:
	s_wait_alu 0xfffe
	s_or_b32 exec_lo, exec_lo, s2
	ds_bpermute_b32 v0, v0, v4
	s_wait_dscnt 0x0
	v_add_f32_e32 v0, v4, v0
	ds_bpermute_b32 v1, v1, v0
	s_wait_dscnt 0x0
	v_add_f32_e32 v0, v0, v1
	;; [unrolled: 3-line block ×4, first 2 shown]
	ds_bpermute_b32 v1, v9, v0
	s_and_b32 exec_lo, exec_lo, vcc_lo
	s_cbranch_execz .LBB153_17
; %bb.16:
	s_mul_i32 s2, s6, 5
	s_mov_b32 s3, 0
	s_wait_dscnt 0x0
	v_dual_add_f32 v0, v0, v1 :: v_dual_mov_b32 v1, 0
	s_wait_alu 0xfffe
	s_lshl_b64 s[2:3], s[2:3], 2
	s_wait_alu 0xfffe
	s_add_nc_u64 s[0:1], s[0:1], s[2:3]
	global_store_b32 v1, v0, s[0:1]
.LBB153_17:
	s_endpgm
	.section	.rodata,"a",@progbits
	.p2align	6, 0x0
	.amdhsa_kernel _ZL13mul_mat_vec_qIL9ggml_type14ELi6ELb0ELb0EEvPKvS2_PKi31ggml_cuda_mm_fusion_args_devicePfj15HIP_vector_typeIjLj3EEjjjS8_jjjS8_jjjj
		.amdhsa_group_segment_fixed_size 0
		.amdhsa_private_segment_fixed_size 0
		.amdhsa_kernarg_size 144
		.amdhsa_user_sgpr_count 2
		.amdhsa_user_sgpr_dispatch_ptr 0
		.amdhsa_user_sgpr_queue_ptr 0
		.amdhsa_user_sgpr_kernarg_segment_ptr 1
		.amdhsa_user_sgpr_dispatch_id 0
		.amdhsa_user_sgpr_private_segment_size 0
		.amdhsa_wavefront_size32 1
		.amdhsa_uses_dynamic_stack 0
		.amdhsa_enable_private_segment 0
		.amdhsa_system_sgpr_workgroup_id_x 1
		.amdhsa_system_sgpr_workgroup_id_y 1
		.amdhsa_system_sgpr_workgroup_id_z 1
		.amdhsa_system_sgpr_workgroup_info 0
		.amdhsa_system_vgpr_workitem_id 1
		.amdhsa_next_free_vgpr 55
		.amdhsa_next_free_sgpr 30
		.amdhsa_reserve_vcc 1
		.amdhsa_float_round_mode_32 0
		.amdhsa_float_round_mode_16_64 0
		.amdhsa_float_denorm_mode_32 3
		.amdhsa_float_denorm_mode_16_64 3
		.amdhsa_fp16_overflow 0
		.amdhsa_workgroup_processor_mode 1
		.amdhsa_memory_ordered 1
		.amdhsa_forward_progress 1
		.amdhsa_inst_pref_size 23
		.amdhsa_round_robin_scheduling 0
		.amdhsa_exception_fp_ieee_invalid_op 0
		.amdhsa_exception_fp_denorm_src 0
		.amdhsa_exception_fp_ieee_div_zero 0
		.amdhsa_exception_fp_ieee_overflow 0
		.amdhsa_exception_fp_ieee_underflow 0
		.amdhsa_exception_fp_ieee_inexact 0
		.amdhsa_exception_int_div_zero 0
	.end_amdhsa_kernel
	.section	.text._ZL13mul_mat_vec_qIL9ggml_type14ELi6ELb0ELb0EEvPKvS2_PKi31ggml_cuda_mm_fusion_args_devicePfj15HIP_vector_typeIjLj3EEjjjS8_jjjS8_jjjj,"axG",@progbits,_ZL13mul_mat_vec_qIL9ggml_type14ELi6ELb0ELb0EEvPKvS2_PKi31ggml_cuda_mm_fusion_args_devicePfj15HIP_vector_typeIjLj3EEjjjS8_jjjS8_jjjj,comdat
.Lfunc_end153:
	.size	_ZL13mul_mat_vec_qIL9ggml_type14ELi6ELb0ELb0EEvPKvS2_PKi31ggml_cuda_mm_fusion_args_devicePfj15HIP_vector_typeIjLj3EEjjjS8_jjjS8_jjjj, .Lfunc_end153-_ZL13mul_mat_vec_qIL9ggml_type14ELi6ELb0ELb0EEvPKvS2_PKi31ggml_cuda_mm_fusion_args_devicePfj15HIP_vector_typeIjLj3EEjjjS8_jjjS8_jjjj
                                        ; -- End function
	.set _ZL13mul_mat_vec_qIL9ggml_type14ELi6ELb0ELb0EEvPKvS2_PKi31ggml_cuda_mm_fusion_args_devicePfj15HIP_vector_typeIjLj3EEjjjS8_jjjS8_jjjj.num_vgpr, 55
	.set _ZL13mul_mat_vec_qIL9ggml_type14ELi6ELb0ELb0EEvPKvS2_PKi31ggml_cuda_mm_fusion_args_devicePfj15HIP_vector_typeIjLj3EEjjjS8_jjjS8_jjjj.num_agpr, 0
	.set _ZL13mul_mat_vec_qIL9ggml_type14ELi6ELb0ELb0EEvPKvS2_PKi31ggml_cuda_mm_fusion_args_devicePfj15HIP_vector_typeIjLj3EEjjjS8_jjjS8_jjjj.numbered_sgpr, 30
	.set _ZL13mul_mat_vec_qIL9ggml_type14ELi6ELb0ELb0EEvPKvS2_PKi31ggml_cuda_mm_fusion_args_devicePfj15HIP_vector_typeIjLj3EEjjjS8_jjjS8_jjjj.num_named_barrier, 0
	.set _ZL13mul_mat_vec_qIL9ggml_type14ELi6ELb0ELb0EEvPKvS2_PKi31ggml_cuda_mm_fusion_args_devicePfj15HIP_vector_typeIjLj3EEjjjS8_jjjS8_jjjj.private_seg_size, 0
	.set _ZL13mul_mat_vec_qIL9ggml_type14ELi6ELb0ELb0EEvPKvS2_PKi31ggml_cuda_mm_fusion_args_devicePfj15HIP_vector_typeIjLj3EEjjjS8_jjjS8_jjjj.uses_vcc, 1
	.set _ZL13mul_mat_vec_qIL9ggml_type14ELi6ELb0ELb0EEvPKvS2_PKi31ggml_cuda_mm_fusion_args_devicePfj15HIP_vector_typeIjLj3EEjjjS8_jjjS8_jjjj.uses_flat_scratch, 0
	.set _ZL13mul_mat_vec_qIL9ggml_type14ELi6ELb0ELb0EEvPKvS2_PKi31ggml_cuda_mm_fusion_args_devicePfj15HIP_vector_typeIjLj3EEjjjS8_jjjS8_jjjj.has_dyn_sized_stack, 0
	.set _ZL13mul_mat_vec_qIL9ggml_type14ELi6ELb0ELb0EEvPKvS2_PKi31ggml_cuda_mm_fusion_args_devicePfj15HIP_vector_typeIjLj3EEjjjS8_jjjS8_jjjj.has_recursion, 0
	.set _ZL13mul_mat_vec_qIL9ggml_type14ELi6ELb0ELb0EEvPKvS2_PKi31ggml_cuda_mm_fusion_args_devicePfj15HIP_vector_typeIjLj3EEjjjS8_jjjS8_jjjj.has_indirect_call, 0
	.section	.AMDGPU.csdata,"",@progbits
; Kernel info:
; codeLenInByte = 2932
; TotalNumSgprs: 32
; NumVgprs: 55
; ScratchSize: 0
; MemoryBound: 0
; FloatMode: 240
; IeeeMode: 1
; LDSByteSize: 0 bytes/workgroup (compile time only)
; SGPRBlocks: 0
; VGPRBlocks: 6
; NumSGPRsForWavesPerEU: 32
; NumVGPRsForWavesPerEU: 55
; Occupancy: 16
; WaveLimiterHint : 0
; COMPUTE_PGM_RSRC2:SCRATCH_EN: 0
; COMPUTE_PGM_RSRC2:USER_SGPR: 2
; COMPUTE_PGM_RSRC2:TRAP_HANDLER: 0
; COMPUTE_PGM_RSRC2:TGID_X_EN: 1
; COMPUTE_PGM_RSRC2:TGID_Y_EN: 1
; COMPUTE_PGM_RSRC2:TGID_Z_EN: 1
; COMPUTE_PGM_RSRC2:TIDIG_COMP_CNT: 1
	.section	.text._ZL13mul_mat_vec_qIL9ggml_type14ELi7ELb0ELb0EEvPKvS2_PKi31ggml_cuda_mm_fusion_args_devicePfj15HIP_vector_typeIjLj3EEjjjS8_jjjS8_jjjj,"axG",@progbits,_ZL13mul_mat_vec_qIL9ggml_type14ELi7ELb0ELb0EEvPKvS2_PKi31ggml_cuda_mm_fusion_args_devicePfj15HIP_vector_typeIjLj3EEjjjS8_jjjS8_jjjj,comdat
	.globl	_ZL13mul_mat_vec_qIL9ggml_type14ELi7ELb0ELb0EEvPKvS2_PKi31ggml_cuda_mm_fusion_args_devicePfj15HIP_vector_typeIjLj3EEjjjS8_jjjS8_jjjj ; -- Begin function _ZL13mul_mat_vec_qIL9ggml_type14ELi7ELb0ELb0EEvPKvS2_PKi31ggml_cuda_mm_fusion_args_devicePfj15HIP_vector_typeIjLj3EEjjjS8_jjjS8_jjjj
	.p2align	8
	.type	_ZL13mul_mat_vec_qIL9ggml_type14ELi7ELb0ELb0EEvPKvS2_PKi31ggml_cuda_mm_fusion_args_devicePfj15HIP_vector_typeIjLj3EEjjjS8_jjjS8_jjjj,@function
_ZL13mul_mat_vec_qIL9ggml_type14ELi7ELb0ELb0EEvPKvS2_PKi31ggml_cuda_mm_fusion_args_devicePfj15HIP_vector_typeIjLj3EEjjjS8_jjjS8_jjjj: ; @_ZL13mul_mat_vec_qIL9ggml_type14ELi7ELb0ELb0EEvPKvS2_PKi31ggml_cuda_mm_fusion_args_devicePfj15HIP_vector_typeIjLj3EEjjjS8_jjjS8_jjjj
; %bb.0:
	s_clause 0x5
	s_load_b32 s2, s[0:1], 0x40
	s_load_b128 s[4:7], s[0:1], 0x50
	s_load_b32 s23, s[0:1], 0x60
	s_load_b128 s[8:11], s[0:1], 0x68
	s_load_b32 s24, s[0:1], 0x78
	s_load_b96 s[16:18], s[0:1], 0x80
	v_dual_mov_b32 v4, 0 :: v_dual_mov_b32 v5, 0
	v_dual_mov_b32 v7, 0 :: v_dual_mov_b32 v8, 0
	v_bfe_u32 v10, v0, 10, 10
	v_dual_mov_b32 v9, 0 :: v_dual_and_b32 v6, 0x3ff, v0
	v_dual_mov_b32 v11, 0 :: v_dual_mov_b32 v12, 0
	s_and_b32 s19, ttmp7, 0xffff
	s_lshr_b32 s20, ttmp7, 16
	s_mov_b32 s21, exec_lo
	s_wait_kmcnt 0x0
	s_lshr_b32 s22, s2, 8
	s_delay_alu instid0(SALU_CYCLE_1)
	v_cmpx_gt_u32_e64 s22, v10
	s_cbranch_execz .LBB154_4
; %bb.1:
	v_bfe_u32 v2, v6, 4, 1
	v_and_b32_e32 v8, 7, v6
	v_lshrrev_b32_e32 v0, 5, v6
	v_dual_mov_b32 v20, v10 :: v_dual_and_b32 v5, 31, v6
	s_delay_alu instid0(VALU_DEP_4)
	v_lshlrev_b32_e32 v7, 3, v2
	s_mul_hi_u32 s11, s11, s20
	s_mov_b32 s3, 0
	v_add_nc_u32_e32 v0, v0, v10
	v_lshlrev_b32_e32 v5, 1, v5
	v_or_b32_e32 v11, v7, v8
	s_mul_i32 s26, s9, s19
	v_dual_mov_b32 v12, 0 :: v_dual_and_b32 v3, 15, v6
	s_add_co_i32 s9, s20, s11
	s_delay_alu instid0(VALU_DEP_2)
	v_lshlrev_b32_e32 v11, 1, v11
	s_mov_b32 s27, s3
	s_lshr_b32 s11, s9, s24
	s_mul_u64 s[24:25], s[26:27], 36
	s_load_b128 s[12:15], s[0:1], 0x0
	v_dual_mov_b32 v11, 0 :: v_dual_lshlrev_b32 v18, 1, v11
	v_lshlrev_b32_e32 v15, 2, v8
	v_dual_mov_b32 v8, 0 :: v_dual_lshlrev_b32 v19, 2, v8
	v_lshlrev_b32_e32 v17, 1, v5
	v_mov_b32_e32 v5, 0
	v_mad_co_u64_u32 v[0:1], null, 0x120, v0, s[24:25]
	v_lshrrev_b16 v4, 3, v3
	v_lshrrev_b16 v3, 2, v3
	s_mul_i32 s2, s17, s20
	s_mul_hi_u32 s7, s7, s19
	s_mul_u64 s[28:29], s[2:3], 36
	v_and_b32_e32 v4, 0xffff, v4
	v_and_b32_e32 v14, 0xffff, v3
	v_mad_co_u64_u32 v[0:1], null, s2, 36, v[0:1]
	s_add_co_i32 s7, s19, s7
	s_mul_i32 s4, s4, ttmp9
	v_or_b32_e32 v14, v7, v14
	v_mov_b32_e32 v7, 0
	v_lshl_or_b32 v9, v2, 2, v4
	s_lshr_b32 s7, s7, s23
	v_lshlrev_b32_e32 v13, 1, v4
	s_mul_i32 s7, s7, s8
	s_wait_kmcnt 0x0
	s_add_nc_u64 s[8:9], s[14:15], s[28:29]
	v_mad_co_u64_u32 v[2:3], null, v9, 36, v[0:1]
	s_add_nc_u64 s[8:9], s[8:9], s[24:25]
	v_lshlrev_b32_e32 v16, 3, v10
	v_mad_co_u64_u32 v[0:1], null, v9, 36, s[8:9]
	v_dual_mov_b32 v4, 0 :: v_dual_mov_b32 v9, 0
	v_add_co_u32 v2, vcc_lo, s14, v2
	s_delay_alu instid0(VALU_DEP_1)
	v_add_co_ci_u32_e64 v3, null, s15, v3, vcc_lo
	s_mul_i32 s11, s11, s16
	s_add_co_i32 s7, s7, s4
	s_lshl_b32 s2, s5, 1
	s_add_co_i32 s4, s11, s7
	s_mul_i32 s7, s5, 3
	s_lshl_b32 s8, s5, 2
	s_mul_i32 s9, s5, 5
	s_mul_i32 s11, s5, 6
.LBB154_2:                              ; =>This Inner Loop Header: Depth=1
	v_add_nc_u32_e32 v23, s4, v20
	v_add_co_u32 v21, vcc_lo, v2, v15
	s_wait_alu 0xfffd
	v_add_co_ci_u32_e64 v22, null, 0, v3, vcc_lo
	s_delay_alu instid0(VALU_DEP_3)
	v_mad_co_i64_i32 v[23:24], null, 0xd2, v23, s[12:13]
	s_clause 0x3
	global_load_b32 v49, v[2:3], off
	global_load_b32 v50, v[2:3], off offset:72
	global_load_b32 v51, v[21:22], off offset:4
	;; [unrolled: 1-line block ×3, first 2 shown]
	v_add_nc_u32_e32 v25, s5, v16
	s_wait_alu 0xfffe
	v_add_nc_u32_e32 v26, s2, v16
	v_add_nc_u32_e32 v27, s7, v16
	;; [unrolled: 1-line block ×3, first 2 shown]
	v_add_co_u32 v35, vcc_lo, v23, v17
	s_wait_alu 0xfffd
	v_add_co_ci_u32_e64 v36, null, 0, v24, vcc_lo
	v_add_co_u32 v37, vcc_lo, v23, v18
	s_wait_alu 0xfffd
	v_add_co_ci_u32_e64 v38, null, 0, v24, vcc_lo
	v_mad_co_u64_u32 v[21:22], null, v25, 36, v[0:1]
	s_clause 0x1
	global_load_b32 v53, v[37:38], off offset:128
	global_load_b32 v54, v[35:36], off
	v_mad_co_u64_u32 v[25:26], null, v26, 36, v[0:1]
	v_add_nc_u32_e32 v31, s9, v16
	v_mad_co_u64_u32 v[27:28], null, v27, 36, v[0:1]
	v_add_nc_u32_e32 v33, s11, v16
	v_mad_co_u64_u32 v[29:30], null, v29, 36, v[0:1]
	v_add_co_u32 v39, vcc_lo, v23, v14
	v_mad_co_u64_u32 v[31:32], null, v31, 36, v[0:1]
	s_wait_alu 0xfffd
	v_add_co_ci_u32_e64 v40, null, 0, v24, vcc_lo
	v_add_co_u32 v41, vcc_lo, v21, v19
	v_mad_co_u64_u32 v[33:34], null, v33, 36, v[0:1]
	s_wait_alu 0xfffd
	v_add_co_ci_u32_e64 v42, null, 0, v22, vcc_lo
	v_add_co_u32 v35, vcc_lo, v25, v19
	s_wait_alu 0xfffd
	v_add_co_ci_u32_e64 v36, null, 0, v26, vcc_lo
	v_add_co_u32 v37, vcc_lo, v27, v19
	;; [unrolled: 3-line block ×5, first 2 shown]
	s_wait_alu 0xfffd
	v_add_co_ci_u32_e64 v48, null, 0, v34, vcc_lo
	s_clause 0xe
	global_load_b32 v55, v[27:28], off
	global_load_b32 v56, v[31:32], off
	;; [unrolled: 1-line block ×3, first 2 shown]
	global_load_b32 v58, v[41:42], off offset:4
	global_load_b32 v41, v[41:42], off offset:76
	;; [unrolled: 1-line block ×12, first 2 shown]
	s_clause 0x1
	global_load_i8 v48, v[39:40], off offset:192
	global_load_i8 v39, v[39:40], off offset:196
	s_clause 0x8
	global_load_b32 v40, v[25:26], off
	global_load_b32 v59, v[29:30], off
	;; [unrolled: 1-line block ×3, first 2 shown]
	global_load_b32 v25, v[25:26], off offset:72
	global_load_b32 v21, v[21:22], off offset:72
	;; [unrolled: 1-line block ×6, first 2 shown]
	global_load_u16 v23, v[23:24], off offset:208
	v_add_nc_u32_e32 v20, 1, v20
	v_add_co_u32 v2, vcc_lo, 0x120, v2
	s_wait_alu 0xfffd
	v_add_co_ci_u32_e64 v3, null, 0, v3, vcc_lo
	s_delay_alu instid0(VALU_DEP_3)
	v_cmp_le_u32_e32 vcc_lo, s22, v20
	v_add_nc_u32_e32 v16, 8, v16
	s_or_b32 s3, vcc_lo, s3
	s_wait_loadcnt 0x1c
	v_ashrrev_i32_e32 v24, v13, v53
	s_wait_loadcnt 0x1b
	v_lshrrev_b32_e32 v29, 4, v54
	v_and_b32_e32 v30, 0xf0f0f0f, v54
	s_delay_alu instid0(VALU_DEP_3) | instskip(NEXT) | instid1(VALU_DEP_3)
	v_lshlrev_b32_e32 v31, 4, v24
	v_and_b32_e32 v29, 0xf0f0f0f, v29
	s_delay_alu instid0(VALU_DEP_2) | instskip(NEXT) | instid1(VALU_DEP_2)
	v_and_or_b32 v30, 0x30303030, v31, v30
	v_and_or_b32 v24, 0x30303030, v24, v29
	s_delay_alu instid0(VALU_DEP_2) | instskip(SKIP_1) | instid1(VALU_DEP_3)
	v_lshrrev_b32_e32 v29, 16, v30
	v_lshlrev_b16 v31, 8, v30
	v_lshrrev_b32_e32 v32, 16, v24
	v_and_b32_e32 v33, 0x3f00, v24
	v_lshlrev_b16 v24, 8, v24
	v_lshlrev_b16 v34, 8, v29
	v_add_nc_u16 v31, 0xe000, v31
	v_lshlrev_b16 v53, 8, v32
	v_and_b32_e32 v30, 0x3f00, v30
	v_and_b32_e32 v29, 0x3f00, v29
	v_add_nc_u16 v34, 0xe000, v34
	v_add_nc_u16 v24, 0xe000, v24
	;; [unrolled: 1-line block ×3, first 2 shown]
	v_lshrrev_b16 v31, 8, v31
	v_and_b32_e32 v32, 0x3f00, v32
	v_lshrrev_b16 v34, 8, v34
	v_lshrrev_b16 v24, 8, v24
	;; [unrolled: 1-line block ×3, first 2 shown]
	v_or_b32_e32 v30, v30, v31
	s_delay_alu instid0(VALU_DEP_4) | instskip(NEXT) | instid1(VALU_DEP_4)
	v_or_b32_e32 v29, v29, v34
	v_or_b32_e32 v24, v33, v24
	s_delay_alu instid0(VALU_DEP_4) | instskip(NEXT) | instid1(VALU_DEP_4)
	v_or_b32_e32 v31, v32, v53
	v_add_nc_u16 v30, 0xe000, v30
	s_delay_alu instid0(VALU_DEP_4) | instskip(NEXT) | instid1(VALU_DEP_4)
	v_add_nc_u16 v29, 0xe000, v29
	v_add_nc_u16 v24, 0xe000, v24
	s_delay_alu instid0(VALU_DEP_4) | instskip(NEXT) | instid1(VALU_DEP_4)
	v_add_nc_u16 v31, 0xe000, v31
	v_and_b32_e32 v30, 0xffff, v30
	s_delay_alu instid0(VALU_DEP_4) | instskip(NEXT) | instid1(VALU_DEP_4)
	v_lshlrev_b32_e32 v29, 16, v29
	v_and_b32_e32 v24, 0xffff, v24
	s_delay_alu instid0(VALU_DEP_4) | instskip(NEXT) | instid1(VALU_DEP_3)
	v_lshlrev_b32_e32 v31, 16, v31
	v_or_b32_e32 v29, v30, v29
	s_delay_alu instid0(VALU_DEP_2) | instskip(NEXT) | instid1(VALU_DEP_2)
	v_or_b32_e32 v24, v24, v31
	v_dot4_i32_iu8 v30, v29, v51, 0 neg_lo:[1,1,0]
	s_wait_loadcnt 0x17
	v_dot4_i32_iu8 v32, v29, v58, 0 neg_lo:[1,1,0]
	s_wait_loadcnt 0x15
	;; [unrolled: 2-line block ×6, first 2 shown]
	v_dot4_i32_iu8 v29, v29, v46, 0 neg_lo:[1,1,0]
	v_dot4_i32_iu8 v31, v24, v52, 0 neg_lo:[1,1,0]
	;; [unrolled: 1-line block ×7, first 2 shown]
	s_wait_loadcnt 0xc
	v_dot4_i32_iu8 v24, v24, v47, 0 neg_lo:[1,1,0]
	s_wait_loadcnt 0xb
	v_mul_lo_u32 v30, v30, v48
	v_mul_lo_u32 v32, v32, v48
	v_mul_lo_u32 v34, v34, v48
	v_mul_lo_u32 v36, v36, v48
	v_mul_lo_u32 v38, v38, v48
	v_mul_lo_u32 v42, v42, v48
	v_mul_lo_u32 v29, v29, v48
	s_wait_loadcnt 0xa
	v_mul_lo_u32 v31, v31, v39
	v_mul_lo_u32 v35, v35, v39
	;; [unrolled: 1-line block ×7, first 2 shown]
	v_cvt_f32_i32_e32 v30, v30
	v_cvt_f32_i32_e32 v34, v34
	;; [unrolled: 1-line block ×14, first 2 shown]
	v_fma_mix_f32 v30, v49, v30, 0 op_sel_hi:[1,0,0]
	v_fma_mix_f32 v32, v57, v32, 0 op_sel_hi:[1,0,0]
	s_wait_loadcnt 0x9
	v_fma_mix_f32 v34, v40, v34, 0 op_sel_hi:[1,0,0]
	v_fma_mix_f32 v36, v55, v36, 0 op_sel_hi:[1,0,0]
	s_wait_loadcnt 0x8
	;; [unrolled: 3-line block ×4, first 2 shown]
	v_fma_mix_f32 v25, v25, v35, v34 op_sel_hi:[1,0,0]
	s_wait_loadcnt 0x5
	v_fma_mix_f32 v21, v21, v33, v32 op_sel_hi:[1,0,0]
	s_wait_loadcnt 0x4
	;; [unrolled: 2-line block ×6, first 2 shown]
	v_fma_mix_f32 v12, v30, v23, v12 op_sel_hi:[0,1,0]
	v_fma_mix_f32 v11, v21, v23, v11 op_sel_hi:[0,1,0]
	;; [unrolled: 1-line block ×7, first 2 shown]
	s_wait_alu 0xfffe
	s_and_not1_b32 exec_lo, exec_lo, s3
	s_cbranch_execnz .LBB154_2
; %bb.3:
	s_or_b32 exec_lo, exec_lo, s3
.LBB154_4:
	s_delay_alu instid0(SALU_CYCLE_1)
	s_or_b32 exec_lo, exec_lo, s21
	s_mov_b32 s3, 0
	; wave barrier
	global_inv scope:SCOPE_SE
	s_mov_b32 s2, exec_lo
	v_cmpx_eq_u32_e32 0, v10
	s_cbranch_execz .LBB154_19
; %bb.5:
	v_mbcnt_lo_u32_b32 v10, -1, 0
	s_load_b64 s[0:1], s[0:1], 0x38
	s_mul_i32 s2, s10, s19
	s_mul_i32 s4, s18, s20
	s_wait_alu 0xfffe
	s_add_co_i32 s2, s2, ttmp9
	v_xor_b32_e32 v0, 16, v10
	v_xor_b32_e32 v1, 8, v10
	;; [unrolled: 1-line block ×3, first 2 shown]
	s_wait_alu 0xfffe
	s_add_co_i32 s2, s2, s4
	s_wait_alu 0xfffe
	s_lshl_b64 s[2:3], s[2:3], 2
	v_cmp_gt_i32_e32 vcc_lo, 32, v0
	s_wait_alu 0xfffd
	v_cndmask_b32_e32 v0, v10, v0, vcc_lo
	v_cmp_gt_i32_e32 vcc_lo, 32, v1
	s_wait_kmcnt 0x0
	s_wait_alu 0xfffe
	s_add_nc_u64 s[0:1], s[0:1], s[2:3]
	s_wait_alu 0xfffd
	v_cndmask_b32_e32 v1, v10, v1, vcc_lo
	s_delay_alu instid0(VALU_DEP_1)
	v_lshlrev_b32_e32 v1, 2, v1
	v_lshlrev_b32_e32 v0, 2, v0
	ds_bpermute_b32 v2, v0, v12
	s_wait_dscnt 0x0
	v_add_f32_e32 v3, v12, v2
	v_xor_b32_e32 v2, 4, v10
	ds_bpermute_b32 v12, v1, v3
	v_cmp_gt_i32_e32 vcc_lo, 32, v2
	s_wait_alu 0xfffd
	v_cndmask_b32_e32 v2, v10, v2, vcc_lo
	s_wait_dscnt 0x0
	v_add_f32_e32 v12, v3, v12
	v_xor_b32_e32 v3, 2, v10
	s_delay_alu instid0(VALU_DEP_1) | instskip(SKIP_3) | instid1(VALU_DEP_2)
	v_cmp_gt_i32_e32 vcc_lo, 32, v3
	s_wait_alu 0xfffd
	v_cndmask_b32_e32 v3, v10, v3, vcc_lo
	v_cmp_gt_i32_e32 vcc_lo, 32, v14
	v_lshlrev_b32_e32 v3, 2, v3
	v_lshlrev_b32_e32 v2, 2, v2
	s_wait_alu 0xfffd
	v_cndmask_b32_e32 v10, v10, v14, vcc_lo
	v_cmp_eq_u32_e32 vcc_lo, 0, v6
	ds_bpermute_b32 v13, v2, v12
	v_lshlrev_b32_e32 v10, 2, v10
	s_wait_dscnt 0x0
	v_add_f32_e32 v12, v12, v13
	ds_bpermute_b32 v13, v3, v12
	s_wait_dscnt 0x0
	v_add_f32_e32 v12, v12, v13
	ds_bpermute_b32 v13, v10, v12
	s_and_saveexec_b32 s2, vcc_lo
	s_cbranch_execz .LBB154_7
; %bb.6:
	s_wait_dscnt 0x0
	v_add_f32_e32 v6, v12, v13
	v_mov_b32_e32 v12, 0
	global_store_b32 v12, v6, s[0:1]
.LBB154_7:
	s_wait_alu 0xfffe
	s_or_b32 exec_lo, exec_lo, s2
	ds_bpermute_b32 v6, v0, v11
	s_wait_dscnt 0x0
	v_add_f32_e32 v6, v11, v6
	ds_bpermute_b32 v11, v1, v6
	s_wait_dscnt 0x0
	v_add_f32_e32 v6, v6, v11
	;; [unrolled: 3-line block ×4, first 2 shown]
	ds_bpermute_b32 v11, v10, v6
	s_and_saveexec_b32 s2, vcc_lo
	s_cbranch_execz .LBB154_9
; %bb.8:
	s_mov_b32 s7, 0
	s_wait_dscnt 0x0
	v_dual_add_f32 v6, v6, v11 :: v_dual_mov_b32 v11, 0
	s_wait_alu 0xfffe
	s_lshl_b64 s[4:5], s[6:7], 2
	s_wait_alu 0xfffe
	s_add_nc_u64 s[4:5], s[0:1], s[4:5]
	global_store_b32 v11, v6, s[4:5]
.LBB154_9:
	s_wait_alu 0xfffe
	s_or_b32 exec_lo, exec_lo, s2
	ds_bpermute_b32 v6, v0, v9
	s_wait_dscnt 0x0
	v_add_f32_e32 v6, v9, v6
	ds_bpermute_b32 v9, v1, v6
	s_wait_dscnt 0x0
	v_add_f32_e32 v6, v6, v9
	ds_bpermute_b32 v9, v2, v6
	s_wait_dscnt 0x0
	v_add_f32_e32 v6, v6, v9
	ds_bpermute_b32 v9, v3, v6
	s_wait_dscnt 0x0
	v_add_f32_e32 v6, v6, v9
	ds_bpermute_b32 v9, v10, v6
	s_and_saveexec_b32 s2, vcc_lo
	s_cbranch_execz .LBB154_11
; %bb.10:
	s_lshl_b32 s4, s6, 1
	s_mov_b32 s5, 0
	s_wait_dscnt 0x0
	v_dual_add_f32 v6, v6, v9 :: v_dual_mov_b32 v9, 0
	s_wait_alu 0xfffe
	s_lshl_b64 s[4:5], s[4:5], 2
	s_wait_alu 0xfffe
	s_add_nc_u64 s[4:5], s[0:1], s[4:5]
	global_store_b32 v9, v6, s[4:5]
.LBB154_11:
	s_wait_alu 0xfffe
	s_or_b32 exec_lo, exec_lo, s2
	ds_bpermute_b32 v6, v0, v8
	s_wait_dscnt 0x0
	v_add_f32_e32 v6, v8, v6
	ds_bpermute_b32 v8, v1, v6
	s_wait_dscnt 0x0
	v_add_f32_e32 v6, v6, v8
	;; [unrolled: 3-line block ×4, first 2 shown]
	ds_bpermute_b32 v8, v10, v6
	s_and_saveexec_b32 s2, vcc_lo
	s_cbranch_execz .LBB154_13
; %bb.12:
	s_mul_i32 s4, s6, 3
	s_mov_b32 s5, 0
	s_wait_dscnt 0x0
	v_add_f32_e32 v6, v6, v8
	v_mov_b32_e32 v8, 0
	s_wait_alu 0xfffe
	s_lshl_b64 s[4:5], s[4:5], 2
	s_wait_alu 0xfffe
	s_add_nc_u64 s[4:5], s[0:1], s[4:5]
	global_store_b32 v8, v6, s[4:5]
.LBB154_13:
	s_wait_alu 0xfffe
	s_or_b32 exec_lo, exec_lo, s2
	ds_bpermute_b32 v6, v0, v7
	s_wait_dscnt 0x0
	v_add_f32_e32 v6, v7, v6
	ds_bpermute_b32 v7, v1, v6
	s_wait_dscnt 0x0
	v_add_f32_e32 v6, v6, v7
	;; [unrolled: 3-line block ×4, first 2 shown]
	ds_bpermute_b32 v7, v10, v6
	s_and_saveexec_b32 s2, vcc_lo
	s_cbranch_execz .LBB154_15
; %bb.14:
	s_lshl_b32 s4, s6, 2
	s_mov_b32 s5, 0
	s_wait_dscnt 0x0
	v_dual_add_f32 v6, v6, v7 :: v_dual_mov_b32 v7, 0
	s_wait_alu 0xfffe
	s_lshl_b64 s[4:5], s[4:5], 2
	s_wait_alu 0xfffe
	s_add_nc_u64 s[4:5], s[0:1], s[4:5]
	global_store_b32 v7, v6, s[4:5]
.LBB154_15:
	s_wait_alu 0xfffe
	s_or_b32 exec_lo, exec_lo, s2
	ds_bpermute_b32 v6, v0, v5
	s_wait_dscnt 0x0
	v_add_f32_e32 v5, v5, v6
	ds_bpermute_b32 v6, v1, v5
	s_wait_dscnt 0x0
	v_add_f32_e32 v5, v5, v6
	;; [unrolled: 3-line block ×4, first 2 shown]
	ds_bpermute_b32 v6, v10, v5
	s_and_saveexec_b32 s2, vcc_lo
	s_cbranch_execz .LBB154_17
; %bb.16:
	s_mul_i32 s4, s6, 5
	s_mov_b32 s5, 0
	s_wait_dscnt 0x0
	v_dual_add_f32 v5, v5, v6 :: v_dual_mov_b32 v6, 0
	s_wait_alu 0xfffe
	s_lshl_b64 s[4:5], s[4:5], 2
	s_wait_alu 0xfffe
	s_add_nc_u64 s[4:5], s[0:1], s[4:5]
	global_store_b32 v6, v5, s[4:5]
.LBB154_17:
	s_wait_alu 0xfffe
	s_or_b32 exec_lo, exec_lo, s2
	ds_bpermute_b32 v0, v0, v4
	s_wait_dscnt 0x0
	v_add_f32_e32 v0, v4, v0
	ds_bpermute_b32 v1, v1, v0
	s_wait_dscnt 0x0
	v_add_f32_e32 v0, v0, v1
	;; [unrolled: 3-line block ×4, first 2 shown]
	ds_bpermute_b32 v1, v10, v0
	s_and_b32 exec_lo, exec_lo, vcc_lo
	s_cbranch_execz .LBB154_19
; %bb.18:
	s_mul_i32 s2, s6, 6
	s_mov_b32 s3, 0
	s_wait_dscnt 0x0
	v_dual_add_f32 v0, v0, v1 :: v_dual_mov_b32 v1, 0
	s_wait_alu 0xfffe
	s_lshl_b64 s[2:3], s[2:3], 2
	s_wait_alu 0xfffe
	s_add_nc_u64 s[0:1], s[0:1], s[2:3]
	global_store_b32 v1, v0, s[0:1]
.LBB154_19:
	s_endpgm
	.section	.rodata,"a",@progbits
	.p2align	6, 0x0
	.amdhsa_kernel _ZL13mul_mat_vec_qIL9ggml_type14ELi7ELb0ELb0EEvPKvS2_PKi31ggml_cuda_mm_fusion_args_devicePfj15HIP_vector_typeIjLj3EEjjjS8_jjjS8_jjjj
		.amdhsa_group_segment_fixed_size 0
		.amdhsa_private_segment_fixed_size 0
		.amdhsa_kernarg_size 144
		.amdhsa_user_sgpr_count 2
		.amdhsa_user_sgpr_dispatch_ptr 0
		.amdhsa_user_sgpr_queue_ptr 0
		.amdhsa_user_sgpr_kernarg_segment_ptr 1
		.amdhsa_user_sgpr_dispatch_id 0
		.amdhsa_user_sgpr_private_segment_size 0
		.amdhsa_wavefront_size32 1
		.amdhsa_uses_dynamic_stack 0
		.amdhsa_enable_private_segment 0
		.amdhsa_system_sgpr_workgroup_id_x 1
		.amdhsa_system_sgpr_workgroup_id_y 1
		.amdhsa_system_sgpr_workgroup_id_z 1
		.amdhsa_system_sgpr_workgroup_info 0
		.amdhsa_system_vgpr_workitem_id 1
		.amdhsa_next_free_vgpr 61
		.amdhsa_next_free_sgpr 30
		.amdhsa_reserve_vcc 1
		.amdhsa_float_round_mode_32 0
		.amdhsa_float_round_mode_16_64 0
		.amdhsa_float_denorm_mode_32 3
		.amdhsa_float_denorm_mode_16_64 3
		.amdhsa_fp16_overflow 0
		.amdhsa_workgroup_processor_mode 1
		.amdhsa_memory_ordered 1
		.amdhsa_forward_progress 1
		.amdhsa_inst_pref_size 26
		.amdhsa_round_robin_scheduling 0
		.amdhsa_exception_fp_ieee_invalid_op 0
		.amdhsa_exception_fp_denorm_src 0
		.amdhsa_exception_fp_ieee_div_zero 0
		.amdhsa_exception_fp_ieee_overflow 0
		.amdhsa_exception_fp_ieee_underflow 0
		.amdhsa_exception_fp_ieee_inexact 0
		.amdhsa_exception_int_div_zero 0
	.end_amdhsa_kernel
	.section	.text._ZL13mul_mat_vec_qIL9ggml_type14ELi7ELb0ELb0EEvPKvS2_PKi31ggml_cuda_mm_fusion_args_devicePfj15HIP_vector_typeIjLj3EEjjjS8_jjjS8_jjjj,"axG",@progbits,_ZL13mul_mat_vec_qIL9ggml_type14ELi7ELb0ELb0EEvPKvS2_PKi31ggml_cuda_mm_fusion_args_devicePfj15HIP_vector_typeIjLj3EEjjjS8_jjjS8_jjjj,comdat
.Lfunc_end154:
	.size	_ZL13mul_mat_vec_qIL9ggml_type14ELi7ELb0ELb0EEvPKvS2_PKi31ggml_cuda_mm_fusion_args_devicePfj15HIP_vector_typeIjLj3EEjjjS8_jjjS8_jjjj, .Lfunc_end154-_ZL13mul_mat_vec_qIL9ggml_type14ELi7ELb0ELb0EEvPKvS2_PKi31ggml_cuda_mm_fusion_args_devicePfj15HIP_vector_typeIjLj3EEjjjS8_jjjS8_jjjj
                                        ; -- End function
	.set _ZL13mul_mat_vec_qIL9ggml_type14ELi7ELb0ELb0EEvPKvS2_PKi31ggml_cuda_mm_fusion_args_devicePfj15HIP_vector_typeIjLj3EEjjjS8_jjjS8_jjjj.num_vgpr, 61
	.set _ZL13mul_mat_vec_qIL9ggml_type14ELi7ELb0ELb0EEvPKvS2_PKi31ggml_cuda_mm_fusion_args_devicePfj15HIP_vector_typeIjLj3EEjjjS8_jjjS8_jjjj.num_agpr, 0
	.set _ZL13mul_mat_vec_qIL9ggml_type14ELi7ELb0ELb0EEvPKvS2_PKi31ggml_cuda_mm_fusion_args_devicePfj15HIP_vector_typeIjLj3EEjjjS8_jjjS8_jjjj.numbered_sgpr, 30
	.set _ZL13mul_mat_vec_qIL9ggml_type14ELi7ELb0ELb0EEvPKvS2_PKi31ggml_cuda_mm_fusion_args_devicePfj15HIP_vector_typeIjLj3EEjjjS8_jjjS8_jjjj.num_named_barrier, 0
	.set _ZL13mul_mat_vec_qIL9ggml_type14ELi7ELb0ELb0EEvPKvS2_PKi31ggml_cuda_mm_fusion_args_devicePfj15HIP_vector_typeIjLj3EEjjjS8_jjjS8_jjjj.private_seg_size, 0
	.set _ZL13mul_mat_vec_qIL9ggml_type14ELi7ELb0ELb0EEvPKvS2_PKi31ggml_cuda_mm_fusion_args_devicePfj15HIP_vector_typeIjLj3EEjjjS8_jjjS8_jjjj.uses_vcc, 1
	.set _ZL13mul_mat_vec_qIL9ggml_type14ELi7ELb0ELb0EEvPKvS2_PKi31ggml_cuda_mm_fusion_args_devicePfj15HIP_vector_typeIjLj3EEjjjS8_jjjS8_jjjj.uses_flat_scratch, 0
	.set _ZL13mul_mat_vec_qIL9ggml_type14ELi7ELb0ELb0EEvPKvS2_PKi31ggml_cuda_mm_fusion_args_devicePfj15HIP_vector_typeIjLj3EEjjjS8_jjjS8_jjjj.has_dyn_sized_stack, 0
	.set _ZL13mul_mat_vec_qIL9ggml_type14ELi7ELb0ELb0EEvPKvS2_PKi31ggml_cuda_mm_fusion_args_devicePfj15HIP_vector_typeIjLj3EEjjjS8_jjjS8_jjjj.has_recursion, 0
	.set _ZL13mul_mat_vec_qIL9ggml_type14ELi7ELb0ELb0EEvPKvS2_PKi31ggml_cuda_mm_fusion_args_devicePfj15HIP_vector_typeIjLj3EEjjjS8_jjjS8_jjjj.has_indirect_call, 0
	.section	.AMDGPU.csdata,"",@progbits
; Kernel info:
; codeLenInByte = 3224
; TotalNumSgprs: 32
; NumVgprs: 61
; ScratchSize: 0
; MemoryBound: 0
; FloatMode: 240
; IeeeMode: 1
; LDSByteSize: 0 bytes/workgroup (compile time only)
; SGPRBlocks: 0
; VGPRBlocks: 7
; NumSGPRsForWavesPerEU: 32
; NumVGPRsForWavesPerEU: 61
; Occupancy: 16
; WaveLimiterHint : 0
; COMPUTE_PGM_RSRC2:SCRATCH_EN: 0
; COMPUTE_PGM_RSRC2:USER_SGPR: 2
; COMPUTE_PGM_RSRC2:TRAP_HANDLER: 0
; COMPUTE_PGM_RSRC2:TGID_X_EN: 1
; COMPUTE_PGM_RSRC2:TGID_Y_EN: 1
; COMPUTE_PGM_RSRC2:TGID_Z_EN: 1
; COMPUTE_PGM_RSRC2:TIDIG_COMP_CNT: 1
	.section	.text._ZL13mul_mat_vec_qIL9ggml_type14ELi8ELb0ELb0EEvPKvS2_PKi31ggml_cuda_mm_fusion_args_devicePfj15HIP_vector_typeIjLj3EEjjjS8_jjjS8_jjjj,"axG",@progbits,_ZL13mul_mat_vec_qIL9ggml_type14ELi8ELb0ELb0EEvPKvS2_PKi31ggml_cuda_mm_fusion_args_devicePfj15HIP_vector_typeIjLj3EEjjjS8_jjjS8_jjjj,comdat
	.globl	_ZL13mul_mat_vec_qIL9ggml_type14ELi8ELb0ELb0EEvPKvS2_PKi31ggml_cuda_mm_fusion_args_devicePfj15HIP_vector_typeIjLj3EEjjjS8_jjjS8_jjjj ; -- Begin function _ZL13mul_mat_vec_qIL9ggml_type14ELi8ELb0ELb0EEvPKvS2_PKi31ggml_cuda_mm_fusion_args_devicePfj15HIP_vector_typeIjLj3EEjjjS8_jjjS8_jjjj
	.p2align	8
	.type	_ZL13mul_mat_vec_qIL9ggml_type14ELi8ELb0ELb0EEvPKvS2_PKi31ggml_cuda_mm_fusion_args_devicePfj15HIP_vector_typeIjLj3EEjjjS8_jjjS8_jjjj,@function
_ZL13mul_mat_vec_qIL9ggml_type14ELi8ELb0ELb0EEvPKvS2_PKi31ggml_cuda_mm_fusion_args_devicePfj15HIP_vector_typeIjLj3EEjjjS8_jjjS8_jjjj: ; @_ZL13mul_mat_vec_qIL9ggml_type14ELi8ELb0ELb0EEvPKvS2_PKi31ggml_cuda_mm_fusion_args_devicePfj15HIP_vector_typeIjLj3EEjjjS8_jjjS8_jjjj
; %bb.0:
	s_clause 0x5
	s_load_b32 s2, s[0:1], 0x40
	s_load_b128 s[4:7], s[0:1], 0x50
	s_load_b32 s23, s[0:1], 0x60
	s_load_b128 s[8:11], s[0:1], 0x68
	s_load_b32 s24, s[0:1], 0x78
	s_load_b96 s[16:18], s[0:1], 0x80
	v_dual_mov_b32 v4, 0 :: v_dual_mov_b32 v5, 0
	v_dual_mov_b32 v6, 0 :: v_dual_mov_b32 v9, 0
	v_dual_mov_b32 v8, 0 :: v_dual_and_b32 v7, 0x3ff, v0
	v_bfe_u32 v11, v0, 10, 10
	v_dual_mov_b32 v10, 0 :: v_dual_mov_b32 v13, 0
	v_mov_b32_e32 v12, 0
	s_and_b32 s19, ttmp7, 0xffff
	s_lshr_b32 s20, ttmp7, 16
	s_mov_b32 s21, exec_lo
	s_wait_kmcnt 0x0
	s_lshr_b32 s22, s2, 8
	s_delay_alu instid0(SALU_CYCLE_1)
	v_cmpx_gt_u32_e64 s22, v11
	s_cbranch_execz .LBB155_4
; %bb.1:
	v_bfe_u32 v2, v7, 4, 1
	v_lshrrev_b32_e32 v0, 5, v7
	s_mul_hi_u32 s11, s11, s20
	s_mov_b32 s3, 0
	v_and_b32_e32 v5, 31, v7
	v_lshlrev_b32_e32 v6, 3, v2
	v_add_nc_u32_e32 v0, v0, v11
	v_and_b32_e32 v8, 7, v7
	s_mul_i32 s26, s9, s19
	v_and_b32_e32 v3, 15, v7
	s_add_co_i32 s9, s20, s11
	s_mov_b32 s27, s3
	s_lshr_b32 s11, s9, s24
	s_mul_u64 s[24:25], s[26:27], 36
	s_load_b128 s[12:15], s[0:1], 0x0
	v_or_b32_e32 v12, v6, v8
	v_lshlrev_b32_e32 v16, 2, v8
	v_lshlrev_b32_e32 v20, 2, v8
	v_mov_b32_e32 v8, 0
	v_dual_mov_b32 v5, 0 :: v_dual_lshlrev_b32 v10, 1, v5
	v_mad_co_u64_u32 v[0:1], null, 0x120, v0, s[24:25]
	v_lshrrev_b16 v4, 3, v3
	s_mul_i32 s2, s17, s20
	v_mov_b32_e32 v21, v11
	s_mul_hi_u32 s7, s7, s19
	s_mul_u64 s[28:29], s[2:3], 36
	v_and_b32_e32 v4, 0xffff, v4
	s_delay_alu instid0(VALU_DEP_4)
	v_mad_co_u64_u32 v[0:1], null, s2, 36, v[0:1]
	s_add_co_i32 s7, s19, s7
	v_lshlrev_b32_e32 v12, 1, v12
	v_lshl_or_b32 v9, v2, 2, v4
	v_lshlrev_b32_e32 v14, 1, v4
	v_mov_b32_e32 v4, 0
	v_lshrrev_b16 v3, 2, v3
	s_lshr_b32 s7, s7, s23
	s_mul_i32 s4, s4, ttmp9
	s_mul_i32 s7, s7, s8
	s_wait_kmcnt 0x0
	s_add_nc_u64 s[8:9], s[14:15], s[28:29]
	v_and_b32_e32 v13, 0xffff, v3
	v_mad_co_u64_u32 v[2:3], null, v9, 36, v[0:1]
	s_add_nc_u64 s[8:9], s[8:9], s[24:25]
	v_lshlrev_b32_e32 v17, 3, v11
	v_mad_co_u64_u32 v[0:1], null, v9, 36, s[8:9]
	v_lshlrev_b32_e32 v18, 1, v10
	v_dual_mov_b32 v12, 0 :: v_dual_lshlrev_b32 v19, 1, v12
	v_add_co_u32 v2, vcc_lo, s14, v2
	s_delay_alu instid0(VALU_DEP_1)
	v_add_co_ci_u32_e64 v3, null, s15, v3, vcc_lo
	v_dual_mov_b32 v10, 0 :: v_dual_mov_b32 v9, 0
	v_or_b32_e32 v15, v6, v13
	v_dual_mov_b32 v6, 0 :: v_dual_mov_b32 v13, 0
	s_mul_i32 s11, s11, s16
	s_add_co_i32 s7, s7, s4
	s_lshl_b32 s2, s5, 1
	s_add_co_i32 s4, s11, s7
	s_mul_i32 s7, s5, 3
	s_lshl_b32 s8, s5, 2
	s_mul_i32 s9, s5, 5
	s_mul_i32 s11, s5, 6
	;; [unrolled: 1-line block ×3, first 2 shown]
.LBB155_2:                              ; =>This Inner Loop Header: Depth=1
	v_add_nc_u32_e32 v24, s4, v21
	v_add_nc_u32_e32 v28, s7, v17
	v_add_co_u32 v22, vcc_lo, v2, v16
	s_wait_alu 0xfffd
	v_add_co_ci_u32_e64 v23, null, 0, v3, vcc_lo
	v_mad_co_i64_i32 v[24:25], null, 0xd2, v24, s[12:13]
	v_mad_co_u64_u32 v[28:29], null, v28, 36, v[0:1]
	s_clause 0x3
	global_load_b32 v54, v[2:3], off
	global_load_b32 v55, v[2:3], off offset:72
	global_load_b32 v56, v[22:23], off offset:4
	global_load_b32 v57, v[22:23], off offset:76
	v_add_nc_u32_e32 v26, s5, v17
	s_wait_alu 0xfffe
	v_add_nc_u32_e32 v27, s2, v17
	v_add_co_u32 v38, vcc_lo, v24, v18
	s_wait_alu 0xfffd
	v_add_co_ci_u32_e64 v39, null, 0, v25, vcc_lo
	v_add_co_u32 v40, vcc_lo, v24, v19
	s_wait_alu 0xfffd
	v_add_co_ci_u32_e64 v41, null, 0, v25, vcc_lo
	global_load_b32 v58, v[28:29], off
	s_clause 0x1
	global_load_b32 v59, v[40:41], off offset:128
	global_load_b32 v60, v[38:39], off
	v_mad_co_u64_u32 v[22:23], null, v26, 36, v[0:1]
	v_add_nc_u32_e32 v30, s8, v17
	v_mad_co_u64_u32 v[26:27], null, v27, 36, v[0:1]
	v_add_nc_u32_e32 v32, s9, v17
	v_add_nc_u32_e32 v34, s11, v17
	s_delay_alu instid0(VALU_DEP_4)
	v_mad_co_u64_u32 v[30:31], null, v30, 36, v[0:1]
	v_add_co_u32 v42, vcc_lo, v24, v15
	v_add_nc_u32_e32 v36, s14, v17
	v_mad_co_u64_u32 v[32:33], null, v32, 36, v[0:1]
	s_wait_alu 0xfffd
	v_add_co_ci_u32_e64 v43, null, 0, v25, vcc_lo
	v_add_co_u32 v44, vcc_lo, v22, v20
	v_mad_co_u64_u32 v[34:35], null, v34, 36, v[0:1]
	s_wait_alu 0xfffd
	v_add_co_ci_u32_e64 v45, null, 0, v23, vcc_lo
	v_add_co_u32 v46, vcc_lo, v26, v20
	;; [unrolled: 4-line block ×3, first 2 shown]
	s_wait_alu 0xfffd
	v_add_co_ci_u32_e64 v49, null, 0, v29, vcc_lo
	v_add_co_u32 v50, vcc_lo, v30, v20
	s_wait_alu 0xfffd
	v_add_co_ci_u32_e64 v51, null, 0, v31, vcc_lo
	v_add_co_u32 v52, vcc_lo, v32, v20
	;; [unrolled: 3-line block ×4, first 2 shown]
	s_wait_alu 0xfffd
	v_add_co_ci_u32_e64 v41, null, 0, v37, vcc_lo
	s_clause 0x10
	global_load_b32 v61, v[32:33], off
	global_load_b32 v62, v[36:37], off
	;; [unrolled: 1-line block ×3, first 2 shown]
	global_load_b32 v64, v[44:45], off offset:4
	global_load_b32 v44, v[44:45], off offset:76
	;; [unrolled: 1-line block ×14, first 2 shown]
	s_clause 0x1
	global_load_i8 v41, v[42:43], off offset:192
	global_load_i8 v42, v[42:43], off offset:196
	s_clause 0x9
	global_load_b32 v43, v[26:27], off
	global_load_b32 v65, v[30:31], off
	;; [unrolled: 1-line block ×3, first 2 shown]
	global_load_b32 v26, v[26:27], off offset:72
	global_load_b32 v22, v[22:23], off offset:72
	;; [unrolled: 1-line block ×7, first 2 shown]
	global_load_u16 v24, v[24:25], off offset:208
	v_add_nc_u32_e32 v21, 1, v21
	v_add_co_u32 v2, vcc_lo, 0x120, v2
	s_wait_alu 0xfffd
	v_add_co_ci_u32_e64 v3, null, 0, v3, vcc_lo
	s_delay_alu instid0(VALU_DEP_3)
	v_cmp_le_u32_e32 vcc_lo, s22, v21
	v_add_nc_u32_e32 v17, 8, v17
	s_or_b32 s3, vcc_lo, s3
	s_wait_loadcnt 0x1f
	v_ashrrev_i32_e32 v25, v14, v59
	s_wait_loadcnt 0x1e
	v_lshrrev_b32_e32 v31, 4, v60
	v_and_b32_e32 v32, 0xf0f0f0f, v60
	s_delay_alu instid0(VALU_DEP_3) | instskip(NEXT) | instid1(VALU_DEP_3)
	v_lshlrev_b32_e32 v33, 4, v25
	v_and_b32_e32 v31, 0xf0f0f0f, v31
	s_delay_alu instid0(VALU_DEP_2) | instskip(NEXT) | instid1(VALU_DEP_2)
	v_and_or_b32 v32, 0x30303030, v33, v32
	v_and_or_b32 v25, 0x30303030, v25, v31
	s_delay_alu instid0(VALU_DEP_2) | instskip(NEXT) | instid1(VALU_DEP_2)
	v_lshrrev_b32_e32 v31, 16, v32
	v_lshrrev_b32_e32 v34, 16, v25
	v_lshlrev_b16 v33, 8, v32
	v_and_b32_e32 v35, 0x3f00, v25
	v_lshlrev_b16 v25, 8, v25
	v_lshlrev_b16 v36, 8, v31
	;; [unrolled: 1-line block ×3, first 2 shown]
	v_add_nc_u16 v33, 0xe000, v33
	v_and_b32_e32 v32, 0x3f00, v32
	v_add_nc_u16 v25, 0xe000, v25
	v_add_nc_u16 v36, 0xe000, v36
	;; [unrolled: 1-line block ×3, first 2 shown]
	v_and_b32_e32 v31, 0x3f00, v31
	v_and_b32_e32 v34, 0x3f00, v34
	v_lshrrev_b16 v33, 8, v33
	v_lshrrev_b16 v25, 8, v25
	v_lshrrev_b16 v36, 8, v36
	v_lshrrev_b16 v37, 8, v37
	s_delay_alu instid0(VALU_DEP_4) | instskip(NEXT) | instid1(VALU_DEP_4)
	v_or_b32_e32 v32, v32, v33
	v_or_b32_e32 v25, v35, v25
	s_delay_alu instid0(VALU_DEP_4) | instskip(NEXT) | instid1(VALU_DEP_4)
	v_or_b32_e32 v31, v31, v36
	v_or_b32_e32 v33, v34, v37
	s_delay_alu instid0(VALU_DEP_4) | instskip(NEXT) | instid1(VALU_DEP_4)
	v_add_nc_u16 v32, 0xe000, v32
	v_add_nc_u16 v25, 0xe000, v25
	s_delay_alu instid0(VALU_DEP_4) | instskip(NEXT) | instid1(VALU_DEP_4)
	v_add_nc_u16 v31, 0xe000, v31
	v_add_nc_u16 v33, 0xe000, v33
	s_delay_alu instid0(VALU_DEP_4) | instskip(NEXT) | instid1(VALU_DEP_4)
	v_and_b32_e32 v32, 0xffff, v32
	v_and_b32_e32 v25, 0xffff, v25
	s_delay_alu instid0(VALU_DEP_4) | instskip(NEXT) | instid1(VALU_DEP_4)
	v_lshlrev_b32_e32 v31, 16, v31
	v_lshlrev_b32_e32 v33, 16, v33
	s_delay_alu instid0(VALU_DEP_2) | instskip(NEXT) | instid1(VALU_DEP_2)
	v_or_b32_e32 v31, v32, v31
	v_or_b32_e32 v25, v25, v33
	s_delay_alu instid0(VALU_DEP_2)
	v_dot4_i32_iu8 v32, v31, v56, 0 neg_lo:[1,1,0]
	s_wait_loadcnt 0x1a
	v_dot4_i32_iu8 v34, v31, v64, 0 neg_lo:[1,1,0]
	s_wait_loadcnt 0x19
	;; [unrolled: 2-line block ×12, first 2 shown]
	v_dot4_i32_iu8 v31, v31, v39, 0 neg_lo:[1,1,0]
	v_dot4_i32_iu8 v33, v25, v57, 0 neg_lo:[1,1,0]
	;; [unrolled: 1-line block ×3, first 2 shown]
	s_wait_loadcnt 0xd
	v_dot4_i32_iu8 v25, v25, v40, 0 neg_lo:[1,1,0]
	s_wait_loadcnt 0xc
	v_mul_lo_u32 v32, v32, v41
	v_mul_lo_u32 v34, v34, v41
	;; [unrolled: 1-line block ×4, first 2 shown]
	s_wait_loadcnt 0xb
	v_mul_lo_u32 v40, v45, v42
	v_mul_lo_u32 v44, v46, v41
	;; [unrolled: 1-line block ×12, first 2 shown]
	v_cvt_f32_i32_e32 v34, v34
	v_cvt_f32_i32_e32 v32, v32
	;; [unrolled: 1-line block ×16, first 2 shown]
	v_fma_mix_f32 v32, v54, v32, 0 op_sel_hi:[1,0,0]
	v_fma_mix_f32 v34, v63, v34, 0 op_sel_hi:[1,0,0]
	s_wait_loadcnt 0xa
	v_fma_mix_f32 v36, v43, v36, 0 op_sel_hi:[1,0,0]
	v_fma_mix_f32 v39, v58, v39, 0 op_sel_hi:[1,0,0]
	s_wait_loadcnt 0x9
	;; [unrolled: 3-line block ×8, first 2 shown]
	v_fma_mix_f32 v13, v32, v24, v13 op_sel_hi:[0,1,0]
	v_fma_mix_f32 v12, v22, v24, v12 op_sel_hi:[0,1,0]
	;; [unrolled: 1-line block ×8, first 2 shown]
	s_wait_alu 0xfffe
	s_and_not1_b32 exec_lo, exec_lo, s3
	s_cbranch_execnz .LBB155_2
; %bb.3:
	s_or_b32 exec_lo, exec_lo, s3
.LBB155_4:
	s_delay_alu instid0(SALU_CYCLE_1)
	s_or_b32 exec_lo, exec_lo, s21
	s_mov_b32 s3, 0
	; wave barrier
	global_inv scope:SCOPE_SE
	s_mov_b32 s2, exec_lo
	v_cmpx_eq_u32_e32 0, v11
	s_cbranch_execz .LBB155_21
; %bb.5:
	v_mbcnt_lo_u32_b32 v11, -1, 0
	s_load_b64 s[0:1], s[0:1], 0x38
	s_mul_i32 s2, s10, s19
	s_mul_i32 s4, s18, s20
	s_wait_alu 0xfffe
	s_add_co_i32 s2, s2, ttmp9
	v_xor_b32_e32 v0, 16, v11
	v_xor_b32_e32 v1, 8, v11
	;; [unrolled: 1-line block ×3, first 2 shown]
	s_wait_alu 0xfffe
	s_add_co_i32 s2, s2, s4
	s_wait_alu 0xfffe
	s_lshl_b64 s[2:3], s[2:3], 2
	v_cmp_gt_i32_e32 vcc_lo, 32, v0
	s_wait_alu 0xfffd
	v_cndmask_b32_e32 v0, v11, v0, vcc_lo
	v_cmp_gt_i32_e32 vcc_lo, 32, v1
	s_wait_kmcnt 0x0
	s_wait_alu 0xfffe
	s_add_nc_u64 s[0:1], s[0:1], s[2:3]
	s_wait_alu 0xfffd
	v_cndmask_b32_e32 v1, v11, v1, vcc_lo
	s_delay_alu instid0(VALU_DEP_1)
	v_lshlrev_b32_e32 v1, 2, v1
	v_lshlrev_b32_e32 v0, 2, v0
	ds_bpermute_b32 v2, v0, v13
	s_wait_dscnt 0x0
	v_add_f32_e32 v3, v13, v2
	v_xor_b32_e32 v2, 4, v11
	ds_bpermute_b32 v13, v1, v3
	v_cmp_gt_i32_e32 vcc_lo, 32, v2
	s_wait_alu 0xfffd
	v_cndmask_b32_e32 v2, v11, v2, vcc_lo
	s_wait_dscnt 0x0
	v_add_f32_e32 v13, v3, v13
	v_xor_b32_e32 v3, 2, v11
	s_delay_alu instid0(VALU_DEP_1) | instskip(SKIP_3) | instid1(VALU_DEP_2)
	v_cmp_gt_i32_e32 vcc_lo, 32, v3
	s_wait_alu 0xfffd
	v_cndmask_b32_e32 v3, v11, v3, vcc_lo
	v_cmp_gt_i32_e32 vcc_lo, 32, v15
	v_lshlrev_b32_e32 v3, 2, v3
	s_wait_alu 0xfffd
	v_dual_cndmask_b32 v11, v11, v15 :: v_dual_lshlrev_b32 v2, 2, v2
	v_cmp_eq_u32_e32 vcc_lo, 0, v7
	ds_bpermute_b32 v14, v2, v13
	v_lshlrev_b32_e32 v11, 2, v11
	s_wait_dscnt 0x0
	v_add_f32_e32 v13, v13, v14
	ds_bpermute_b32 v14, v3, v13
	s_wait_dscnt 0x0
	v_add_f32_e32 v13, v13, v14
	ds_bpermute_b32 v14, v11, v13
	s_and_saveexec_b32 s2, vcc_lo
	s_cbranch_execz .LBB155_7
; %bb.6:
	s_wait_dscnt 0x0
	v_add_f32_e32 v7, v13, v14
	v_mov_b32_e32 v13, 0
	global_store_b32 v13, v7, s[0:1]
.LBB155_7:
	s_wait_alu 0xfffe
	s_or_b32 exec_lo, exec_lo, s2
	ds_bpermute_b32 v7, v0, v12
	s_wait_dscnt 0x0
	v_add_f32_e32 v7, v12, v7
	ds_bpermute_b32 v12, v1, v7
	s_wait_dscnt 0x0
	v_add_f32_e32 v7, v7, v12
	;; [unrolled: 3-line block ×4, first 2 shown]
	ds_bpermute_b32 v12, v11, v7
	s_and_saveexec_b32 s2, vcc_lo
	s_cbranch_execz .LBB155_9
; %bb.8:
	s_mov_b32 s7, 0
	s_wait_dscnt 0x0
	v_dual_add_f32 v7, v7, v12 :: v_dual_mov_b32 v12, 0
	s_wait_alu 0xfffe
	s_lshl_b64 s[4:5], s[6:7], 2
	s_wait_alu 0xfffe
	s_add_nc_u64 s[4:5], s[0:1], s[4:5]
	global_store_b32 v12, v7, s[4:5]
.LBB155_9:
	s_wait_alu 0xfffe
	s_or_b32 exec_lo, exec_lo, s2
	ds_bpermute_b32 v7, v0, v10
	s_wait_dscnt 0x0
	v_add_f32_e32 v7, v10, v7
	ds_bpermute_b32 v10, v1, v7
	s_wait_dscnt 0x0
	v_add_f32_e32 v7, v7, v10
	ds_bpermute_b32 v10, v2, v7
	s_wait_dscnt 0x0
	v_add_f32_e32 v7, v7, v10
	ds_bpermute_b32 v10, v3, v7
	s_wait_dscnt 0x0
	v_add_f32_e32 v7, v7, v10
	ds_bpermute_b32 v10, v11, v7
	s_and_saveexec_b32 s2, vcc_lo
	s_cbranch_execz .LBB155_11
; %bb.10:
	s_lshl_b32 s4, s6, 1
	s_mov_b32 s5, 0
	s_wait_dscnt 0x0
	v_dual_add_f32 v7, v7, v10 :: v_dual_mov_b32 v10, 0
	s_wait_alu 0xfffe
	s_lshl_b64 s[4:5], s[4:5], 2
	s_wait_alu 0xfffe
	s_add_nc_u64 s[4:5], s[0:1], s[4:5]
	global_store_b32 v10, v7, s[4:5]
.LBB155_11:
	s_wait_alu 0xfffe
	s_or_b32 exec_lo, exec_lo, s2
	ds_bpermute_b32 v7, v0, v9
	s_wait_dscnt 0x0
	v_add_f32_e32 v7, v9, v7
	ds_bpermute_b32 v9, v1, v7
	s_wait_dscnt 0x0
	v_add_f32_e32 v7, v7, v9
	;; [unrolled: 3-line block ×4, first 2 shown]
	ds_bpermute_b32 v9, v11, v7
	s_and_saveexec_b32 s2, vcc_lo
	s_cbranch_execz .LBB155_13
; %bb.12:
	s_mul_i32 s4, s6, 3
	s_mov_b32 s5, 0
	s_wait_dscnt 0x0
	v_add_f32_e32 v7, v7, v9
	v_mov_b32_e32 v9, 0
	s_wait_alu 0xfffe
	s_lshl_b64 s[4:5], s[4:5], 2
	s_wait_alu 0xfffe
	s_add_nc_u64 s[4:5], s[0:1], s[4:5]
	global_store_b32 v9, v7, s[4:5]
.LBB155_13:
	s_wait_alu 0xfffe
	s_or_b32 exec_lo, exec_lo, s2
	ds_bpermute_b32 v7, v0, v8
	s_wait_dscnt 0x0
	v_add_f32_e32 v7, v8, v7
	ds_bpermute_b32 v8, v1, v7
	s_wait_dscnt 0x0
	v_add_f32_e32 v7, v7, v8
	;; [unrolled: 3-line block ×4, first 2 shown]
	ds_bpermute_b32 v8, v11, v7
	s_and_saveexec_b32 s2, vcc_lo
	s_cbranch_execz .LBB155_15
; %bb.14:
	s_lshl_b32 s4, s6, 2
	s_mov_b32 s5, 0
	s_wait_dscnt 0x0
	v_dual_add_f32 v7, v7, v8 :: v_dual_mov_b32 v8, 0
	s_wait_alu 0xfffe
	s_lshl_b64 s[4:5], s[4:5], 2
	s_wait_alu 0xfffe
	s_add_nc_u64 s[4:5], s[0:1], s[4:5]
	global_store_b32 v8, v7, s[4:5]
.LBB155_15:
	s_wait_alu 0xfffe
	s_or_b32 exec_lo, exec_lo, s2
	ds_bpermute_b32 v7, v0, v6
	s_wait_dscnt 0x0
	v_add_f32_e32 v6, v6, v7
	ds_bpermute_b32 v7, v1, v6
	s_wait_dscnt 0x0
	v_add_f32_e32 v6, v6, v7
	;; [unrolled: 3-line block ×4, first 2 shown]
	ds_bpermute_b32 v7, v11, v6
	s_and_saveexec_b32 s2, vcc_lo
	s_cbranch_execz .LBB155_17
; %bb.16:
	s_mul_i32 s4, s6, 5
	s_mov_b32 s5, 0
	s_wait_dscnt 0x0
	v_dual_add_f32 v6, v6, v7 :: v_dual_mov_b32 v7, 0
	s_wait_alu 0xfffe
	s_lshl_b64 s[4:5], s[4:5], 2
	s_wait_alu 0xfffe
	s_add_nc_u64 s[4:5], s[0:1], s[4:5]
	global_store_b32 v7, v6, s[4:5]
.LBB155_17:
	s_wait_alu 0xfffe
	s_or_b32 exec_lo, exec_lo, s2
	ds_bpermute_b32 v6, v0, v5
	s_wait_dscnt 0x0
	v_add_f32_e32 v5, v5, v6
	ds_bpermute_b32 v6, v1, v5
	s_wait_dscnt 0x0
	v_add_f32_e32 v5, v5, v6
	;; [unrolled: 3-line block ×4, first 2 shown]
	ds_bpermute_b32 v6, v11, v5
	s_and_saveexec_b32 s2, vcc_lo
	s_cbranch_execz .LBB155_19
; %bb.18:
	s_mul_i32 s4, s6, 6
	s_mov_b32 s5, 0
	s_wait_dscnt 0x0
	v_dual_add_f32 v5, v5, v6 :: v_dual_mov_b32 v6, 0
	s_wait_alu 0xfffe
	s_lshl_b64 s[4:5], s[4:5], 2
	s_wait_alu 0xfffe
	s_add_nc_u64 s[4:5], s[0:1], s[4:5]
	global_store_b32 v6, v5, s[4:5]
.LBB155_19:
	s_wait_alu 0xfffe
	s_or_b32 exec_lo, exec_lo, s2
	ds_bpermute_b32 v0, v0, v4
	s_wait_dscnt 0x0
	v_add_f32_e32 v0, v4, v0
	ds_bpermute_b32 v1, v1, v0
	s_wait_dscnt 0x0
	v_add_f32_e32 v0, v0, v1
	;; [unrolled: 3-line block ×4, first 2 shown]
	ds_bpermute_b32 v1, v11, v0
	s_and_b32 exec_lo, exec_lo, vcc_lo
	s_cbranch_execz .LBB155_21
; %bb.20:
	s_mul_i32 s2, s6, 7
	s_mov_b32 s3, 0
	s_wait_dscnt 0x0
	v_dual_add_f32 v0, v0, v1 :: v_dual_mov_b32 v1, 0
	s_wait_alu 0xfffe
	s_lshl_b64 s[2:3], s[2:3], 2
	s_wait_alu 0xfffe
	s_add_nc_u64 s[0:1], s[0:1], s[2:3]
	global_store_b32 v1, v0, s[0:1]
.LBB155_21:
	s_endpgm
	.section	.rodata,"a",@progbits
	.p2align	6, 0x0
	.amdhsa_kernel _ZL13mul_mat_vec_qIL9ggml_type14ELi8ELb0ELb0EEvPKvS2_PKi31ggml_cuda_mm_fusion_args_devicePfj15HIP_vector_typeIjLj3EEjjjS8_jjjS8_jjjj
		.amdhsa_group_segment_fixed_size 0
		.amdhsa_private_segment_fixed_size 0
		.amdhsa_kernarg_size 144
		.amdhsa_user_sgpr_count 2
		.amdhsa_user_sgpr_dispatch_ptr 0
		.amdhsa_user_sgpr_queue_ptr 0
		.amdhsa_user_sgpr_kernarg_segment_ptr 1
		.amdhsa_user_sgpr_dispatch_id 0
		.amdhsa_user_sgpr_private_segment_size 0
		.amdhsa_wavefront_size32 1
		.amdhsa_uses_dynamic_stack 0
		.amdhsa_enable_private_segment 0
		.amdhsa_system_sgpr_workgroup_id_x 1
		.amdhsa_system_sgpr_workgroup_id_y 1
		.amdhsa_system_sgpr_workgroup_id_z 1
		.amdhsa_system_sgpr_workgroup_info 0
		.amdhsa_system_vgpr_workitem_id 1
		.amdhsa_next_free_vgpr 67
		.amdhsa_next_free_sgpr 30
		.amdhsa_reserve_vcc 1
		.amdhsa_float_round_mode_32 0
		.amdhsa_float_round_mode_16_64 0
		.amdhsa_float_denorm_mode_32 3
		.amdhsa_float_denorm_mode_16_64 3
		.amdhsa_fp16_overflow 0
		.amdhsa_workgroup_processor_mode 1
		.amdhsa_memory_ordered 1
		.amdhsa_forward_progress 1
		.amdhsa_inst_pref_size 28
		.amdhsa_round_robin_scheduling 0
		.amdhsa_exception_fp_ieee_invalid_op 0
		.amdhsa_exception_fp_denorm_src 0
		.amdhsa_exception_fp_ieee_div_zero 0
		.amdhsa_exception_fp_ieee_overflow 0
		.amdhsa_exception_fp_ieee_underflow 0
		.amdhsa_exception_fp_ieee_inexact 0
		.amdhsa_exception_int_div_zero 0
	.end_amdhsa_kernel
	.section	.text._ZL13mul_mat_vec_qIL9ggml_type14ELi8ELb0ELb0EEvPKvS2_PKi31ggml_cuda_mm_fusion_args_devicePfj15HIP_vector_typeIjLj3EEjjjS8_jjjS8_jjjj,"axG",@progbits,_ZL13mul_mat_vec_qIL9ggml_type14ELi8ELb0ELb0EEvPKvS2_PKi31ggml_cuda_mm_fusion_args_devicePfj15HIP_vector_typeIjLj3EEjjjS8_jjjS8_jjjj,comdat
.Lfunc_end155:
	.size	_ZL13mul_mat_vec_qIL9ggml_type14ELi8ELb0ELb0EEvPKvS2_PKi31ggml_cuda_mm_fusion_args_devicePfj15HIP_vector_typeIjLj3EEjjjS8_jjjS8_jjjj, .Lfunc_end155-_ZL13mul_mat_vec_qIL9ggml_type14ELi8ELb0ELb0EEvPKvS2_PKi31ggml_cuda_mm_fusion_args_devicePfj15HIP_vector_typeIjLj3EEjjjS8_jjjS8_jjjj
                                        ; -- End function
	.set _ZL13mul_mat_vec_qIL9ggml_type14ELi8ELb0ELb0EEvPKvS2_PKi31ggml_cuda_mm_fusion_args_devicePfj15HIP_vector_typeIjLj3EEjjjS8_jjjS8_jjjj.num_vgpr, 67
	.set _ZL13mul_mat_vec_qIL9ggml_type14ELi8ELb0ELb0EEvPKvS2_PKi31ggml_cuda_mm_fusion_args_devicePfj15HIP_vector_typeIjLj3EEjjjS8_jjjS8_jjjj.num_agpr, 0
	.set _ZL13mul_mat_vec_qIL9ggml_type14ELi8ELb0ELb0EEvPKvS2_PKi31ggml_cuda_mm_fusion_args_devicePfj15HIP_vector_typeIjLj3EEjjjS8_jjjS8_jjjj.numbered_sgpr, 30
	.set _ZL13mul_mat_vec_qIL9ggml_type14ELi8ELb0ELb0EEvPKvS2_PKi31ggml_cuda_mm_fusion_args_devicePfj15HIP_vector_typeIjLj3EEjjjS8_jjjS8_jjjj.num_named_barrier, 0
	.set _ZL13mul_mat_vec_qIL9ggml_type14ELi8ELb0ELb0EEvPKvS2_PKi31ggml_cuda_mm_fusion_args_devicePfj15HIP_vector_typeIjLj3EEjjjS8_jjjS8_jjjj.private_seg_size, 0
	.set _ZL13mul_mat_vec_qIL9ggml_type14ELi8ELb0ELb0EEvPKvS2_PKi31ggml_cuda_mm_fusion_args_devicePfj15HIP_vector_typeIjLj3EEjjjS8_jjjS8_jjjj.uses_vcc, 1
	.set _ZL13mul_mat_vec_qIL9ggml_type14ELi8ELb0ELb0EEvPKvS2_PKi31ggml_cuda_mm_fusion_args_devicePfj15HIP_vector_typeIjLj3EEjjjS8_jjjS8_jjjj.uses_flat_scratch, 0
	.set _ZL13mul_mat_vec_qIL9ggml_type14ELi8ELb0ELb0EEvPKvS2_PKi31ggml_cuda_mm_fusion_args_devicePfj15HIP_vector_typeIjLj3EEjjjS8_jjjS8_jjjj.has_dyn_sized_stack, 0
	.set _ZL13mul_mat_vec_qIL9ggml_type14ELi8ELb0ELb0EEvPKvS2_PKi31ggml_cuda_mm_fusion_args_devicePfj15HIP_vector_typeIjLj3EEjjjS8_jjjS8_jjjj.has_recursion, 0
	.set _ZL13mul_mat_vec_qIL9ggml_type14ELi8ELb0ELb0EEvPKvS2_PKi31ggml_cuda_mm_fusion_args_devicePfj15HIP_vector_typeIjLj3EEjjjS8_jjjS8_jjjj.has_indirect_call, 0
	.section	.AMDGPU.csdata,"",@progbits
; Kernel info:
; codeLenInByte = 3532
; TotalNumSgprs: 32
; NumVgprs: 67
; ScratchSize: 0
; MemoryBound: 0
; FloatMode: 240
; IeeeMode: 1
; LDSByteSize: 0 bytes/workgroup (compile time only)
; SGPRBlocks: 0
; VGPRBlocks: 8
; NumSGPRsForWavesPerEU: 32
; NumVGPRsForWavesPerEU: 67
; Occupancy: 16
; WaveLimiterHint : 0
; COMPUTE_PGM_RSRC2:SCRATCH_EN: 0
; COMPUTE_PGM_RSRC2:USER_SGPR: 2
; COMPUTE_PGM_RSRC2:TRAP_HANDLER: 0
; COMPUTE_PGM_RSRC2:TGID_X_EN: 1
; COMPUTE_PGM_RSRC2:TGID_Y_EN: 1
; COMPUTE_PGM_RSRC2:TGID_Z_EN: 1
; COMPUTE_PGM_RSRC2:TIDIG_COMP_CNT: 1
	.section	.text._ZL17mul_mat_vec_q_moeIL9ggml_type16ELi2EEvPKvS2_PKiPfj15HIP_vector_typeIjLj3EEjjjjjjjjj,"axG",@progbits,_ZL17mul_mat_vec_q_moeIL9ggml_type16ELi2EEvPKvS2_PKiPfj15HIP_vector_typeIjLj3EEjjjjjjjjj,comdat
	.globl	_ZL17mul_mat_vec_q_moeIL9ggml_type16ELi2EEvPKvS2_PKiPfj15HIP_vector_typeIjLj3EEjjjjjjjjj ; -- Begin function _ZL17mul_mat_vec_q_moeIL9ggml_type16ELi2EEvPKvS2_PKiPfj15HIP_vector_typeIjLj3EEjjjjjjjjj
	.p2align	8
	.type	_ZL17mul_mat_vec_q_moeIL9ggml_type16ELi2EEvPKvS2_PKiPfj15HIP_vector_typeIjLj3EEjjjjjjjjj,@function
_ZL17mul_mat_vec_q_moeIL9ggml_type16ELi2EEvPKvS2_PKiPfj15HIP_vector_typeIjLj3EEjjjjjjjjj: ; @_ZL17mul_mat_vec_q_moeIL9ggml_type16ELi2EEvPKvS2_PKiPfj15HIP_vector_typeIjLj3EEjjjjjjjjj
; %bb.0:
	s_load_b256 s[4:11], s[0:1], 0x30
	v_bfe_u32 v13, v0, 10, 10
	s_mov_b32 s2, exec_lo
	s_wait_kmcnt 0x0
	s_delay_alu instid0(VALU_DEP_1)
	v_cmpx_gt_u32_e64 s11, v13
	s_cbranch_execz .LBB156_7
; %bb.1:
	s_clause 0x2
	s_load_b32 s3, s[0:1], 0x20
	s_load_b32 s2, s[0:1], 0x50
	s_load_b256 s[12:19], s[0:1], 0x0
	v_bfe_u32 v15, v0, 3, 7
	v_and_b32_e32 v14, 0x3ff, v0
	v_mov_b32_e32 v16, 0
	v_mov_b32_e32 v8, 0
	s_mov_b32 s20, exec_lo
	s_wait_kmcnt 0x0
	s_lshr_b32 s11, s3, 8
	s_lshl_b32 s3, ttmp9, 1
	s_wait_alu 0xfffe
	v_cmpx_gt_u32_e64 s11, v15
	s_cbranch_execz .LBB156_5
; %bb.2:
	s_mov_b32 s22, ttmp7
	v_lshrrev_b32_e32 v3, 3, v14
	v_mad_co_u64_u32 v[7:8], null, s2, v13, s[22:23]
	v_mov_b32_e32 v8, 0
	s_load_b96 s[0:2], s[0:1], 0x24
	v_lshlrev_b32_e32 v4, 1, v14
	s_delay_alu instid0(VALU_DEP_2) | instskip(NEXT) | instid1(VALU_DEP_1)
	v_lshlrev_b64_e32 v[0:1], 2, v[7:8]
	v_add_co_u32 v0, vcc_lo, s16, v0
	s_delay_alu instid0(VALU_DEP_1) | instskip(SKIP_4) | instid1(SALU_CYCLE_1)
	v_add_co_ci_u32_e64 v1, null, s17, v1, vcc_lo
	global_load_b32 v2, v[0:1], off
	v_mul_lo_u32 v0, s6, v13
	s_wait_kmcnt 0x0
	s_mul_hi_u32 s0, s0, ttmp7
	s_add_co_i32 s0, ttmp7, s0
	s_delay_alu instid0(SALU_CYCLE_1) | instskip(NEXT) | instid1(SALU_CYCLE_1)
	s_lshr_b32 s0, s0, s1
	s_mul_i32 s0, s0, s2
	s_delay_alu instid0(VALU_DEP_1) | instskip(SKIP_1) | instid1(SALU_CYCLE_1)
	v_mad_co_u64_u32 v[0:1], null, v0, 36, 0
	s_sub_co_i32 s0, ttmp7, s0
	s_mul_i32 s0, s0, s9
	v_mad_co_u64_u32 v[0:1], null, 0x120, v3, v[0:1]
	v_dual_mov_b32 v16, v8 :: v_dual_and_b32 v3, 7, v14
	s_delay_alu instid0(VALU_DEP_2) | instskip(SKIP_3) | instid1(VALU_DEP_1)
	v_mad_co_u64_u32 v[0:1], null, s0, 36, v[0:1]
	s_add_co_i32 s0, s3, 1
	v_mad_co_u64_u32 v[0:1], null, v3, 36, v[0:1]
	v_and_b32_e32 v3, 14, v4
	v_lshlrev_b32_e32 v3, 1, v3
	s_delay_alu instid0(VALU_DEP_3) | instskip(SKIP_1) | instid1(VALU_DEP_4)
	v_add_co_u32 v0, vcc_lo, s14, v0
	s_wait_alu 0xfffd
	v_add_co_ci_u32_e64 v1, null, s15, v1, vcc_lo
	s_delay_alu instid0(VALU_DEP_3) | instskip(SKIP_2) | instid1(VALU_DEP_1)
	v_lshlrev_b32_e32 v17, 1, v3
	s_wait_loadcnt 0x0
	v_mul_lo_u32 v2, v2, s8
	v_mad_co_u64_u32 v[9:10], null, s3, s5, v[2:3]
	s_wait_alu 0xfffe
	v_mad_co_u64_u32 v[10:11], null, s5, s0, v[2:3]
	v_add_co_u32 v11, vcc_lo, v0, 32
	s_wait_alu 0xfffd
	v_add_co_ci_u32_e64 v12, null, 0, v1, vcc_lo
	s_mov_b32 s5, 0
.LBB156_3:                              ; =>This Inner Loop Header: Depth=1
	s_clause 0x1
	global_load_b128 v[0:3], v[11:12], off offset:-32
	global_load_b128 v[4:7], v[11:12], off offset:-16
	s_getpc_b64 s[0:1]
	s_wait_alu 0xfffe
	s_sext_i32_i16 s1, s1
	s_add_co_u32 s0, s0, _ZL11iq2xxs_grid@rel32@lo+12
	s_wait_alu 0xfffe
	s_add_co_ci_u32 s1, s1, _ZL11iq2xxs_grid@rel32@hi+24
	s_wait_loadcnt 0x1
	v_cvt_f32_f16_e32 v0, v0
	v_add_nc_u32_e32 v18, v9, v15
	v_add_nc_u32_e32 v19, v10, v15
	;; [unrolled: 1-line block ×3, first 2 shown]
	s_delay_alu instid0(VALU_DEP_3) | instskip(NEXT) | instid1(VALU_DEP_3)
	v_mad_co_i64_i32 v[20:21], null, 0x42, v18, s[12:13]
	v_mad_co_i64_i32 v[18:19], null, 0x42, v19, s[12:13]
	s_delay_alu instid0(VALU_DEP_2) | instskip(SKIP_1) | instid1(VALU_DEP_3)
	v_add_co_u32 v22, vcc_lo, v20, v17
	s_wait_alu 0xfffd
	v_add_co_ci_u32_e64 v23, null, 0, v21, vcc_lo
	s_delay_alu instid0(VALU_DEP_3) | instskip(SKIP_1) | instid1(VALU_DEP_4)
	v_add_co_u32 v24, vcc_lo, v18, v17
	s_wait_alu 0xfffd
	v_add_co_ci_u32_e64 v25, null, 0, v19, vcc_lo
	s_clause 0x3
	global_load_b64 v[22:23], v[22:23], off offset:2
	global_load_b64 v[24:25], v[24:25], off offset:2
	global_load_u16 v18, v[18:19], off
	global_load_u16 v19, v[20:21], off
	s_wait_loadcnt 0x3
	v_and_b32_e32 v26, 0xff, v22
	v_lshrrev_b32_e32 v27, 5, v22
	v_lshrrev_b32_e32 v28, 13, v22
	;; [unrolled: 1-line block ×3, first 2 shown]
	v_and_b32_e32 v38, 0xff, v23
	v_bfe_u32 v39, v23, 7, 8
	v_bfe_u32 v40, v23, 14, 8
	v_bfe_u32 v41, v23, 21, 8
	s_wait_loadcnt 0x2
	v_and_b32_e32 v29, 0xff, v24
	v_lshrrev_b32_e32 v30, 5, v24
	v_lshrrev_b32_e32 v31, 13, v24
	;; [unrolled: 1-line block ×4, first 2 shown]
	v_lshlrev_b32_e32 v23, 3, v26
	v_and_b32_e32 v42, 0xff, v25
	v_bfe_u32 v43, v25, 7, 8
	v_bfe_u32 v44, v25, 14, 8
	v_bfe_u32 v45, v25, 21, 8
	v_lshrrev_b32_e32 v21, 27, v25
	v_and_b32_e32 v25, 0x7f8, v27
	v_and_b32_e32 v26, 0x7f8, v28
	;; [unrolled: 1-line block ×3, first 2 shown]
	v_lshlrev_b32_e32 v36, 3, v29
	v_and_b32_e32 v49, 0x7f8, v24
	s_clause 0x3
	global_load_b64 v[22:23], v23, s[0:1]
	global_load_b64 v[24:25], v25, s[0:1]
	;; [unrolled: 1-line block ×4, first 2 shown]
	v_bcnt_u32_b32 v34, v40, 0
	v_bcnt_u32_b32 v32, v38, 0
	;; [unrolled: 1-line block ×5, first 2 shown]
	v_and_b32_e32 v46, 0x7f8, v30
	v_bcnt_u32_b32 v30, v43, 0
	v_and_b32_e32 v48, 0x7f8, v31
	v_bcnt_u32_b32 v31, v45, 0
	v_and_b32_e32 v52, 1, v34
	v_and_b32_e32 v50, 1, v32
	;; [unrolled: 1-line block ×7, first 2 shown]
	s_clause 0x3
	global_load_b64 v[30:31], v36, s[0:1]
	global_load_b64 v[32:33], v46, s[0:1]
	;; [unrolled: 1-line block ×4, first 2 shown]
	v_lshlrev_b32_e32 v49, 7, v52
	v_lshlrev_b32_e32 v48, 7, v51
	;; [unrolled: 1-line block ×5, first 2 shown]
	v_xor_b32_e32 v40, v49, v40
	v_xor_b32_e32 v39, v48, v39
	;; [unrolled: 1-line block ×5, first 2 shown]
	v_mul_lo_u32 v40, 0x1010101, v40
	v_mul_lo_u32 v39, 0x1010101, v39
	;; [unrolled: 1-line block ×5, first 2 shown]
	v_lshlrev_b32_e32 v52, 7, v55
	v_bcnt_u32_b32 v47, v44, 0
	v_lshlrev_b32_e32 v53, 7, v56
	v_and_b32_e32 v54, 0x8040201, v40
	v_and_b32_e32 v57, 0x80402010, v40
	;; [unrolled: 1-line block ×5, first 2 shown]
	v_lshrrev_b16 v86, 8, v54
	v_lshrrev_b32_e32 v54, 24, v54
	v_lshrrev_b16 v88, 8, v57
	v_lshrrev_b32_e32 v89, 24, v57
	v_lshrrev_b16 v78, 8, v46
	v_cmp_ne_u16_e64 s0, 0, v86
	v_lshrrev_b16 v90, 8, v58
	v_and_b32_e32 v49, 0x80402010, v38
	v_and_b32_e32 v61, 0x80402010, v41
	v_lshrrev_b32_e32 v46, 24, v46
	s_wait_alu 0xf1ff
	v_cndmask_b32_e64 v86, 0, -1, s0
	v_cmp_ne_u16_e64 s0, 0, v54
	v_lshrrev_b32_e32 v58, 24, v58
	v_cmp_ne_u16_e32 vcc_lo, 0, v78
	v_lshrrev_b16 v80, 8, v49
	v_lshrrev_b16 v92, 8, v61
	s_wait_alu 0xf1ff
	v_cndmask_b32_e64 v54, 0, -1, s0
	v_cmp_ne_u16_e64 s0, 0, v88
	s_wait_alu 0xfffd
	v_cndmask_b32_e64 v78, 0, -1, vcc_lo
	v_cmp_ne_u16_e32 vcc_lo, 0, v46
	v_and_b32_e32 v62, 0x8040201, v42
	v_lshrrev_b32_e32 v81, 24, v49
	s_wait_alu 0xf1ff
	v_cndmask_b32_e64 v88, 0, -1, s0
	v_cmp_ne_u16_e64 s0, 0, v89
	v_lshrrev_b32_e32 v93, 24, v61
	s_wait_alu 0xfffd
	v_cndmask_b32_e64 v46, 0, -1, vcc_lo
	v_cmp_ne_u16_e32 vcc_lo, 0, v80
	v_lshrrev_b16 v82, 8, v50
	s_wait_alu 0xf1ff
	v_cndmask_b32_e64 v89, 0, -1, s0
	v_cmp_ne_u16_e64 s0, 0, v90
	v_lshrrev_b16 v94, 8, v62
	s_wait_alu 0xfffd
	v_cndmask_b32_e64 v80, 0, -1, vcc_lo
	v_cmp_ne_u16_e32 vcc_lo, 0, v81
	v_xor_b32_e32 v43, v52, v43
	s_wait_alu 0xf1ff
	v_cndmask_b32_e64 v90, 0, -1, s0
	v_cmp_ne_u16_e64 s0, 0, v58
	v_and_b32_e32 v47, 1, v47
	v_and_b32_e32 v65, 0x80402010, v42
	v_lshrrev_b32_e32 v50, 24, v50
	v_lshrrev_b32_e32 v62, 24, v62
	s_wait_alu 0xf1ff
	v_cndmask_b32_e64 v58, 0, -1, s0
	v_cmp_ne_u16_e64 s0, 0, v92
	s_wait_alu 0xfffd
	v_cndmask_b32_e64 v81, 0, -1, vcc_lo
	v_cmp_ne_u16_e32 vcc_lo, 0, v82
	v_mul_lo_u32 v43, 0x1010101, v43
	v_lshlrev_b32_e32 v47, 7, v47
	s_wait_alu 0xf1ff
	v_cndmask_b32_e64 v92, 0, -1, s0
	v_cmp_ne_u16_e64 s0, 0, v93
	v_xor_b32_e32 v45, v53, v45
	v_lshrrev_b32_e32 v51, 18, v39
	v_and_b32_e32 v53, 0x80402010, v39
	v_lshrrev_b16 v96, 8, v65
	s_wait_alu 0xf1ff
	v_cndmask_b32_e64 v93, 0, -1, s0
	v_cmp_ne_u16_e64 s0, 0, v94
	s_wait_alu 0xfffd
	v_cndmask_b32_e64 v82, 0, -1, vcc_lo
	v_cmp_ne_u16_e32 vcc_lo, 0, v50
	v_xor_b32_e32 v44, v47, v44
	v_lshrrev_b32_e32 v47, 18, v38
	s_wait_alu 0xf1ff
	v_cndmask_b32_e64 v94, 0, -1, s0
	v_cmp_ne_u16_e64 s0, 0, v62
	v_bfe_i32 v52, v39, 0, 1
	v_and_b32_e32 v66, 0x8040201, v43
	v_bfe_i32 v51, v51, 0, 1
	v_lshrrev_b16 v84, 8, v53
	v_lshrrev_b32_e32 v97, 24, v65
	s_wait_alu 0xfffd
	v_cndmask_b32_e64 v50, 0, -1, vcc_lo
	s_wait_alu 0xf1ff
	v_cndmask_b32_e64 v62, 0, -1, s0
	v_cmp_ne_u16_e64 s0, 0, v96
	v_bfe_i32 v48, v38, 0, 1
	v_bfe_i32 v47, v47, 0, 1
	v_and_b32_e32 v83, 0xff, v52
	v_lshrrev_b32_e32 v85, 24, v53
	v_lshrrev_b16 v98, 8, v66
	v_and_b32_e32 v112, 0xff, v51
	v_cmp_ne_u16_e32 vcc_lo, 0, v84
	v_lshlrev_b16 v82, 8, v82
	v_lshlrev_b16 v50, 8, v50
	s_wait_alu 0xf1ff
	v_cndmask_b32_e64 v96, 0, -1, s0
	v_cmp_ne_u16_e64 s0, 0, v97
	v_lshrrev_b32_e32 v39, 22, v39
	v_and_b32_e32 v69, 0x80402010, v43
	v_and_b32_e32 v79, 0xff, v48
	v_lshrrev_b16 v53, 4, v53
	v_lshrrev_b32_e32 v66, 24, v66
	v_and_b32_e32 v110, 0xff, v47
	v_lshlrev_b16 v78, 8, v78
	v_lshlrev_b16 v46, 8, v46
	s_wait_alu 0xfffd
	v_cndmask_b32_e64 v84, 0, -1, vcc_lo
	v_cmp_ne_u16_e32 vcc_lo, 0, v85
	v_or_b32_e32 v83, v83, v82
	v_or_b32_e32 v112, v112, v50
	s_wait_alu 0xf1ff
	v_cndmask_b32_e64 v97, 0, -1, s0
	v_cmp_ne_u16_e64 s0, 0, v98
	v_mul_lo_u32 v44, 0x1010101, v44
	v_lshrrev_b32_e32 v38, 22, v38
	v_lshrrev_b32_e32 v55, 18, v40
	v_lshrrev_b16 v49, 4, v49
	v_bfe_i32 v39, v39, 0, 1
	v_lshrrev_b16 v100, 8, v69
	v_bfe_i32 v53, v53, 0, 1
	v_or_b32_e32 v79, v79, v78
	v_or_b32_e32 v110, v110, v46
	s_wait_alu 0xfffd
	v_cndmask_b32_e64 v85, 0, -1, vcc_lo
	v_and_b32_e32 v83, 0xffff, v83
	v_lshlrev_b32_e32 v112, 16, v112
	s_wait_alu 0xf1ff
	v_cndmask_b32_e64 v98, 0, -1, s0
	v_cmp_ne_u16_e64 s0, 0, v66
	v_bfe_i32 v56, v40, 0, 1
	v_lshrrev_b32_e32 v59, 18, v41
	v_and_b32_e32 v70, 0x8040201, v44
	v_bfe_i32 v38, v38, 0, 1
	v_bfe_i32 v55, v55, 0, 1
	v_lshrrev_b32_e32 v101, 24, v69
	v_bfe_i32 v49, v49, 0, 1
	v_and_b32_e32 v113, 0xff, v39
	v_and_b32_e32 v79, 0xffff, v79
	v_lshlrev_b32_e32 v110, 16, v110
	v_or_b32_e32 v83, v83, v112
	v_and_b32_e32 v112, 0xff, v53
	v_lshlrev_b16 v84, 8, v84
	v_lshlrev_b16 v85, 8, v85
	s_wait_alu 0xf1ff
	v_cndmask_b32_e64 v66, 0, -1, s0
	v_cmp_ne_u16_e64 s0, 0, v100
	v_bfe_i32 v60, v41, 0, 1
	v_and_b32_e32 v87, 0xff, v56
	v_bfe_i32 v59, v59, 0, 1
	v_lshrrev_b16 v102, 8, v70
	v_and_b32_e32 v111, 0xff, v38
	v_and_b32_e32 v114, 0xff, v55
	v_or_b32_e32 v79, v79, v110
	v_and_b32_e32 v110, 0xff, v49
	v_lshlrev_b16 v80, 8, v80
	v_lshlrev_b16 v81, 8, v81
	v_or_b32_e32 v112, v112, v84
	v_or_b32_e32 v113, v113, v85
	s_wait_alu 0xf1ff
	v_cndmask_b32_e64 v100, 0, -1, s0
	v_cmp_ne_u16_e64 s0, 0, v101
	v_lshlrev_b16 v86, 8, v86
	v_lshlrev_b16 v54, 8, v54
	v_mul_lo_u32 v45, 0x1010101, v45
	v_lshrrev_b32_e32 v40, 22, v40
	v_lshrrev_b32_e32 v63, 18, v42
	;; [unrolled: 1-line block ×3, first 2 shown]
	v_lshrrev_b16 v57, 4, v57
	v_and_b32_e32 v91, 0xff, v60
	v_lshrrev_b32_e32 v70, 24, v70
	v_or_b32_e32 v110, v110, v80
	v_or_b32_e32 v111, v111, v81
	v_and_b32_e32 v112, 0xffff, v112
	v_lshlrev_b32_e32 v113, 16, v113
	s_wait_alu 0xf1ff
	v_cndmask_b32_e64 v101, 0, -1, s0
	v_cmp_ne_u16_e64 s0, 0, v102
	v_or_b32_e32 v87, v87, v86
	v_or_b32_e32 v114, v114, v54
	v_lshlrev_b16 v90, 8, v90
	v_lshlrev_b16 v58, 8, v58
	v_lshrrev_b32_e32 v41, 22, v41
	v_bfe_i32 v64, v42, 0, 1
	v_bfe_i32 v68, v43, 0, 1
	v_lshrrev_b32_e32 v71, 18, v44
	v_and_b32_e32 v72, 0x80402010, v44
	v_and_b32_e32 v75, 0x80402010, v45
	v_bfe_i32 v40, v40, 0, 1
	v_lshrrev_b16 v61, 4, v61
	v_bfe_i32 v63, v63, 0, 1
	v_bfe_i32 v67, v67, 0, 1
	;; [unrolled: 1-line block ×3, first 2 shown]
	v_and_b32_e32 v110, 0xffff, v110
	v_lshlrev_b32_e32 v111, 16, v111
	v_or_b32_e32 v112, v112, v113
	s_wait_alu 0xf1ff
	v_cndmask_b32_e64 v102, 0, -1, s0
	v_cmp_ne_u16_e64 s0, 0, v70
	v_and_b32_e32 v87, 0xffff, v87
	v_lshlrev_b32_e32 v114, 16, v114
	v_or_b32_e32 v91, v91, v90
	v_bfe_i32 v73, v44, 0, 1
	v_and_b32_e32 v74, 0x8040201, v45
	v_bfe_i32 v41, v41, 0, 1
	v_and_b32_e32 v95, 0xff, v64
	v_and_b32_e32 v99, 0xff, v68
	v_lshrrev_b16 v103, 8, v72
	v_bfe_i32 v71, v71, 0, 1
	v_lshrrev_b32_e32 v107, 24, v75
	v_or_b32_e32 v110, v110, v111
	v_and_b32_e32 v111, 0xff, v40
	v_bfe_i32 v61, v61, 0, 1
	v_and_b32_e32 v113, 0xff, v63
	s_wait_alu 0xf1ff
	v_cndmask_b32_e64 v70, 0, -1, s0
	v_or_b32_e32 v87, v87, v114
	v_and_b32_e32 v114, 0xff, v57
	v_lshlrev_b16 v88, 8, v88
	v_lshlrev_b16 v89, 8, v89
	v_and_b32_e32 v91, 0xffff, v91
	v_lshlrev_b16 v94, 8, v94
	v_lshlrev_b16 v62, 8, v62
	;; [unrolled: 1-line block ×4, first 2 shown]
	v_lshrrev_b32_e32 v42, 22, v42
	v_lshrrev_b32_e32 v43, 22, v43
	v_lshrrev_b16 v65, 4, v65
	v_lshrrev_b16 v69, 4, v69
	v_lshrrev_b32_e32 v104, 24, v72
	v_and_b32_e32 v105, 0xff, v73
	v_lshrrev_b32_e32 v106, 24, v74
	v_lshrrev_b16 v74, 8, v74
	v_cmp_ne_u16_e64 s0, 0, v107
	v_and_b32_e32 v107, 0xff, v71
	v_cmp_ne_u16_e64 s1, 0, v103
	v_or_b32_e32 v114, v114, v88
	v_or_b32_e32 v111, v111, v89
	v_lshlrev_b16 v92, 8, v92
	v_lshlrev_b16 v93, 8, v93
	v_or_b32_e32 v95, v95, v94
	v_or_b32_e32 v113, v113, v62
	;; [unrolled: 1-line block ×3, first 2 shown]
	v_lshlrev_b16 v102, 8, v102
	v_lshlrev_b16 v70, 8, v70
	v_lshrrev_b32_e32 v44, 22, v44
	v_lshrrev_b32_e32 v76, 18, v45
	v_bfe_i32 v42, v42, 0, 1
	v_bfe_i32 v43, v43, 0, 1
	v_lshrrev_b16 v72, 4, v72
	v_bfe_i32 v65, v65, 0, 1
	v_bfe_i32 v69, v69, 0, 1
	v_cmp_ne_u16_e32 vcc_lo, 0, v106
	s_wait_alu 0xf1fe
	v_cndmask_b32_e64 v103, 0, -1, s1
	v_cmp_ne_u16_e64 s1, 0, v104
	v_cmp_ne_u16_e64 s2, 0, v74
	v_and_b32_e32 v114, 0xffff, v114
	v_lshlrev_b32_e32 v111, 16, v111
	v_and_b32_e32 v95, 0xffff, v95
	v_lshlrev_b32_e32 v113, 16, v113
	v_and_b32_e32 v99, 0xffff, v99
	v_or_b32_e32 v105, v105, v102
	v_or_b32_e32 v107, v107, v70
	v_bfe_i32 v77, v45, 0, 1
	v_bfe_i32 v44, v44, 0, 1
	v_lshrrev_b16 v108, 8, v75
	v_bfe_i32 v76, v76, 0, 1
	v_and_b32_e32 v106, 0xff, v43
	v_bfe_i32 v72, v72, 0, 1
	s_wait_alu 0xf1ff
	v_cndmask_b32_e64 v104, 0, -1, s1
	v_cndmask_b32_e64 v74, 0, -1, s2
	v_or_b32_e32 v111, v114, v111
	s_wait_alu 0xfffd
	v_cndmask_b32_e64 v114, 0, -1, vcc_lo
	v_or_b32_e32 v95, v95, v113
	v_and_b32_e32 v113, 0xff, v65
	v_lshlrev_b16 v96, 8, v96
	v_lshlrev_b16 v97, 8, v97
	;; [unrolled: 1-line block ×4, first 2 shown]
	v_and_b32_e32 v105, 0xffff, v105
	v_lshlrev_b32_e32 v107, 16, v107
	v_and_b32_e32 v109, 0xff, v77
	v_cmp_ne_u16_e64 s1, 0, v108
	v_and_b32_e32 v108, 0xff, v44
	v_or_b32_e32 v113, v113, v96
	v_or_b32_e32 v106, v106, v101
	v_lshlrev_b16 v103, 8, v103
	v_or_b32_e32 v105, v105, v107
	v_and_b32_e32 v107, 0xff, v72
	v_lshlrev_b16 v104, 8, v104
	v_lshlrev_b16 v74, 8, v74
	;; [unrolled: 1-line block ×3, first 2 shown]
	v_lshrrev_b32_e32 v45, 22, v45
	v_lshrrev_b16 v75, 4, v75
	v_and_b32_e32 v113, 0xffff, v113
	v_lshlrev_b32_e32 v106, 16, v106
	v_or_b32_e32 v107, v107, v103
	v_or_b32_e32 v108, v108, v104
	;; [unrolled: 1-line block ×3, first 2 shown]
	v_bfe_i32 v45, v45, 0, 1
	v_bfe_i32 v75, v75, 0, 1
	v_and_b32_e32 v107, 0xffff, v107
	v_lshlrev_b32_e32 v108, 16, v108
	v_and_b32_e32 v109, 0xffff, v109
	s_wait_loadcnt 0x7
	v_xor_b32_e32 v22, v22, v79
	v_and_b32_e32 v79, 0xff, v59
	s_wait_loadcnt 0x6
	v_xor_b32_e32 v25, v25, v112
	v_and_b32_e32 v112, 0xff, v67
	v_xor_b32_e32 v23, v23, v110
	v_and_b32_e32 v110, 0xff, v41
	v_or_b32_e32 v79, v79, v58
	v_xor_b32_e32 v24, v24, v83
	v_or_b32_e32 v112, v112, v66
	v_and_b32_e32 v83, 0xff, v42
	v_or_b32_e32 v110, v110, v93
	v_lshlrev_b32_e32 v79, 16, v79
	v_or_b32_e32 v107, v107, v108
	v_lshlrev_b32_e32 v112, 16, v112
	;; [unrolled: 2-line block ×3, first 2 shown]
	v_or_b32_e32 v79, v91, v79
	v_and_b32_e32 v91, 0xff, v61
	v_or_b32_e32 v99, v99, v112
	v_and_b32_e32 v112, 0xff, v69
	v_lshlrev_b32_e32 v83, 16, v83
	v_and_b32_e32 v108, 0xff, v45
	v_or_b32_e32 v91, v91, v92
	v_lshlrev_b16 v48, 8, v48
	v_or_b32_e32 v112, v112, v100
	v_or_b32_e32 v83, v113, v83
	s_wait_alu 0xf1ff
	v_cndmask_b32_e64 v113, 0, -1, s1
	v_and_b32_e32 v91, 0xffff, v91
	v_lshlrev_b16 v53, 8, v53
	v_and_b32_e32 v112, 0xffff, v112
	s_wait_loadcnt 0x5
	v_xor_b32_e32 v26, v26, v87
	v_lshlrev_b16 v113, 8, v113
	v_or_b32_e32 v91, v91, v110
	v_and_b32_e32 v110, 0xff, v76
	v_or_b32_e32 v106, v112, v106
	v_cndmask_b32_e64 v112, 0, -1, s0
	s_wait_loadcnt 0x4
	v_xor_b32_e32 v28, v28, v79
	v_xor_b32_e32 v29, v29, v91
	v_or_b32_e32 v110, v110, v114
	s_wait_loadcnt 0x3
	v_xor_b32_e32 v31, v31, v83
	v_lshlrev_b16 v112, 8, v112
	s_wait_loadcnt 0x2
	v_xor_b32_e32 v33, v33, v106
	v_lshlrev_b16 v83, 8, v22
	v_lshlrev_b32_e32 v110, 16, v110
	v_and_b32_e32 v87, 0xffffff00, v23
	v_or_b32_e32 v108, v108, v112
	v_lshlrev_b16 v106, 8, v25
	v_lshlrev_b16 v52, 8, v52
	v_or_b32_e32 v109, v109, v110
	v_and_b32_e32 v110, 0xff, v75
	v_lshlrev_b32_e32 v108, 16, v108
	v_lshlrev_b16 v56, 8, v56
	v_lshlrev_b16 v60, 8, v60
	;; [unrolled: 1-line block ×3, first 2 shown]
	v_or_b32_e32 v110, v110, v113
	v_xor_b32_e32 v27, v27, v111
	v_xor_b32_e32 v30, v30, v95
	;; [unrolled: 1-line block ×3, first 2 shown]
	s_wait_loadcnt 0x1
	v_xor_b32_e32 v34, v34, v105
	v_and_b32_e32 v110, 0xffff, v110
	v_xor_b32_e32 v35, v35, v107
	v_and_b32_e32 v79, 0xffffff00, v22
	v_and_b32_e32 v95, 0xffffff00, v24
	v_lshlrev_b16 v99, 8, v24
	v_or_b32_e32 v108, v110, v108
	global_load_b32 v110, v[11:12], off
	v_sub_nc_i16 v48, v83, v48 clamp
	v_lshlrev_b16 v83, 8, v28
	v_sub_nc_i16 v80, v87, v80 clamp
	s_wait_loadcnt 0x1
	v_xor_b32_e32 v37, v37, v108
	v_lshlrev_b16 v108, 8, v26
	v_and_b32_e32 v87, 0xffffff00, v29
	v_sub_nc_i16 v53, v106, v53 clamp
	v_lshlrev_b16 v106, 8, v31
	v_lshlrev_b16 v64, 8, v64
	;; [unrolled: 1-line block ×6, first 2 shown]
	v_xor_b32_e32 v36, v36, v109
	v_lshlrev_b16 v91, 8, v23
	v_and_b32_e32 v105, 0xffffff00, v25
	v_and_b32_e32 v107, 0xffffff00, v26
	;; [unrolled: 1-line block ×3, first 2 shown]
	v_sub_nc_i16 v78, v79, v78 clamp
	v_and_b32_e32 v79, 0xffffff00, v28
	v_sub_nc_i16 v82, v95, v82 clamp
	v_and_b32_e32 v95, 0xffffff00, v30
	v_sub_nc_i16 v52, v99, v52 clamp
	v_lshlrev_b16 v99, 8, v30
	v_sub_nc_i16 v56, v108, v56 clamp
	v_lshlrev_b16 v108, 8, v32
	;; [unrolled: 2-line block ×3, first 2 shown]
	v_sub_nc_i16 v87, v87, v92 clamp
	v_and_b32_e32 v92, 0xffffff00, v35
	v_sub_nc_i16 v65, v106, v65 clamp
	v_lshlrev_b16 v106, 8, v37
	v_lshrrev_b32_e32 v22, 16, v22
	v_lshrrev_b32_e32 v28, 16, v28
	;; [unrolled: 1-line block ×3, first 2 shown]
	v_lshlrev_b16 v77, 8, v77
	v_lshlrev_b16 v47, 8, v47
	;; [unrolled: 1-line block ×7, first 2 shown]
	v_sub_nc_i16 v49, v91, v49 clamp
	v_lshlrev_b16 v91, 8, v29
	v_sub_nc_i16 v84, v105, v84 clamp
	v_and_b32_e32 v105, 0xffffff00, v31
	v_sub_nc_i16 v86, v107, v86 clamp
	v_and_b32_e32 v107, 0xffffff00, v32
	v_sub_nc_i16 v88, v109, v88 clamp
	v_and_b32_e32 v109, 0xffffff00, v33
	v_sub_nc_i16 v94, v95, v94 clamp
	v_and_b32_e32 v95, 0xffffff00, v36
	v_sub_nc_i16 v64, v99, v64 clamp
	v_lshlrev_b16 v99, 8, v36
	v_lshrrev_b32_e32 v23, 16, v23
	v_lshrrev_b32_e32 v24, 16, v24
	;; [unrolled: 1-line block ×5, first 2 shown]
	v_sub_nc_i16 v68, v108, v68 clamp
	v_sub_nc_i16 v73, v83, v73 clamp
	;; [unrolled: 1-line block ×4, first 2 shown]
	v_and_b32_e32 v92, 0xffffff00, v22
	v_lshlrev_b16 v22, 8, v22
	v_and_b32_e32 v106, 0xffffff00, v28
	v_lshlrev_b16 v28, 8, v28
	;; [unrolled: 2-line block ×3, first 2 shown]
	v_lshlrev_b16 v38, 8, v38
	v_lshlrev_b16 v51, 8, v51
	v_lshlrev_b16 v41, 8, v41
	v_lshlrev_b16 v42, 8, v42
	v_lshlrev_b16 v69, 8, v69
	v_lshlrev_b16 v72, 8, v72
	v_sub_nc_i16 v57, v111, v57 clamp
	v_lshlrev_b16 v111, 8, v33
	v_sub_nc_i16 v61, v91, v61 clamp
	v_lshlrev_b16 v91, 8, v35
	v_sub_nc_i16 v96, v105, v96 clamp
	v_and_b32_e32 v105, 0xffffff00, v37
	v_lshrrev_b32_e32 v27, 16, v27
	v_lshrrev_b32_e32 v32, 16, v32
	v_sub_nc_i16 v98, v107, v98 clamp
	v_sub_nc_i16 v100, v109, v100 clamp
	;; [unrolled: 1-line block ×4, first 2 shown]
	v_and_b32_e32 v95, 0xffffff00, v23
	v_lshlrev_b16 v23, 8, v23
	v_and_b32_e32 v99, 0xffffff00, v24
	v_lshlrev_b16 v24, 8, v24
	v_and_b32_e32 v103, 0xffffff00, v26
	v_and_b32_e32 v107, 0xffffff00, v29
	v_lshlrev_b16 v29, 8, v29
	v_and_b32_e32 v109, 0xffffff00, v31
	v_lshlrev_b16 v31, 8, v31
	v_sub_nc_i16 v46, v92, v46 clamp
	v_sub_nc_i16 v22, v22, v47 clamp
	;; [unrolled: 1-line block ×5, first 2 shown]
	v_lshlrev_b16 v40, 8, v40
	v_lshlrev_b16 v67, 8, v67
	v_sub_nc_i16 v79, v79, v90 clamp
	v_and_b32_e32 v90, 0xffffff00, v34
	v_lshrrev_b32_e32 v25, 16, v25
	v_lshrrev_b32_e32 v33, 16, v33
	v_sub_nc_i16 v69, v111, v69 clamp
	v_sub_nc_i16 v72, v91, v72 clamp
	v_sub_nc_i16 v91, v105, v113 clamp
	v_and_b32_e32 v105, 0xffffff00, v27
	v_lshlrev_b16 v27, 8, v27
	v_and_b32_e32 v111, 0xffffff00, v32
	v_lshlrev_b16 v32, 8, v32
	v_perm_b32 v48, v48, v78, 0xc0c0105
	v_sub_nc_i16 v81, v95, v81 clamp
	v_sub_nc_i16 v23, v23, v38 clamp
	;; [unrolled: 1-line block ×3, first 2 shown]
	v_perm_b32 v51, v53, v84, 0xc0c0105
	v_sub_nc_i16 v53, v103, v54 clamp
	v_perm_b32 v54, v57, v88, 0xc0c0105
	v_perm_b32 v57, v61, v87, 0xc0c0105
	v_sub_nc_i16 v29, v29, v41 clamp
	v_perm_b32 v41, v64, v94, 0xc0c0105
	v_sub_nc_i16 v61, v109, v97 clamp
	v_sub_nc_i16 v31, v31, v42 clamp
	v_perm_b32 v22, v22, v46, 0xc0c0105
	v_perm_b32 v30, v30, v59, 0xc0c0105
	v_lshlrev_b16 v39, 8, v39
	v_lshlrev_b16 v43, 8, v43
	v_lshrrev_b32_e32 v34, 16, v34
	v_sub_nc_i16 v90, v90, v102 clamp
	v_and_b32_e32 v102, 0xffffff00, v25
	v_lshlrev_b16 v25, 8, v25
	v_and_b32_e32 v113, 0xffffff00, v33
	v_lshlrev_b16 v33, 8, v33
	v_perm_b32 v49, v49, v80, 0xc0c0105
	v_sub_nc_i16 v50, v99, v50 clamp
	v_sub_nc_i16 v27, v27, v40 clamp
	v_perm_b32 v40, v60, v79, 0xc0c0105
	v_perm_b32 v60, v65, v96, 0xc0c0105
	v_sub_nc_i16 v62, v111, v66 clamp
	v_sub_nc_i16 v32, v32, v67 clamp
	v_perm_b32 v23, v23, v81, 0xc0c0105
	v_perm_b32 v31, v31, v61, 0xc0c0105
	v_lshl_or_b32 v22, v22, 16, v48
	v_lshl_or_b32 v30, v30, 16, v41
	v_lshlrev_b16 v55, 8, v55
	v_lshlrev_b16 v71, 8, v71
	v_lshrrev_b32_e32 v35, 16, v35
	v_lshlrev_b16 v26, 8, v26
	v_and_b32_e32 v78, 0xffffff00, v34
	v_lshlrev_b16 v34, 8, v34
	v_perm_b32 v38, v52, v82, 0xc0c0105
	v_sub_nc_i16 v52, v102, v85 clamp
	v_sub_nc_i16 v25, v25, v39 clamp
	v_perm_b32 v42, v68, v98, 0xc0c0105
	v_sub_nc_i16 v64, v113, v101 clamp
	v_sub_nc_i16 v33, v33, v43 clamp
	v_perm_b32 v24, v24, v50, 0xc0c0105
	v_perm_b32 v32, v32, v62, 0xc0c0105
	v_lshl_or_b32 v23, v23, 16, v49
	v_lshl_or_b32 v31, v31, 16, v60
	v_dot4_i32_iu8 v22, v22, v1, 0 neg_lo:[1,1,0]
	v_dot4_i32_iu8 v1, v30, v1, 0 neg_lo:[1,1,0]
	v_lshlrev_b16 v44, 8, v44
	v_lshrrev_b32_e32 v36, 16, v36
	v_and_b32_e32 v92, 0xffffff00, v35
	v_lshlrev_b16 v35, 8, v35
	v_sub_nc_i16 v26, v26, v55 clamp
	v_perm_b32 v63, v69, v100, 0xc0c0105
	v_sub_nc_i16 v65, v78, v70 clamp
	v_sub_nc_i16 v34, v34, v71 clamp
	v_perm_b32 v25, v25, v52, 0xc0c0105
	v_perm_b32 v33, v33, v64, 0xc0c0105
	v_lshl_or_b32 v24, v24, 16, v38
	v_lshl_or_b32 v30, v32, 16, v42
	v_dot4_i32_iu8 v22, v23, v2, v22 neg_lo:[1,1,0]
	v_dot4_i32_iu8 v1, v31, v2, v1 neg_lo:[1,1,0]
	v_lshlrev_b16 v76, 8, v76
	v_lshrrev_b32_e32 v37, 16, v37
	v_and_b32_e32 v47, 0xffffff00, v36
	v_lshlrev_b16 v36, 8, v36
	v_perm_b32 v39, v56, v86, 0xc0c0105
	v_sub_nc_i16 v55, v105, v89 clamp
	v_perm_b32 v43, v73, v90, 0xc0c0105
	v_sub_nc_i16 v67, v92, v104 clamp
	v_sub_nc_i16 v35, v35, v44 clamp
	v_perm_b32 v26, v26, v53, 0xc0c0105
	v_perm_b32 v34, v34, v65, 0xc0c0105
	v_lshl_or_b32 v2, v25, 16, v51
	v_lshl_or_b32 v23, v33, 16, v63
	v_dot4_i32_iu8 v22, v24, v3, v22 neg_lo:[1,1,0]
	v_dot4_i32_iu8 v1, v30, v3, v1 neg_lo:[1,1,0]
	v_lshlrev_b16 v45, 8, v45
	v_and_b32_e32 v80, 0xffffff00, v37
	v_lshlrev_b16 v37, 8, v37
	v_sub_nc_i16 v56, v106, v58 clamp
	v_perm_b32 v66, v72, v83, 0xc0c0105
	v_sub_nc_i16 v47, v47, v114 clamp
	v_sub_nc_i16 v36, v36, v76 clamp
	v_perm_b32 v27, v27, v55, 0xc0c0105
	v_perm_b32 v35, v35, v67, 0xc0c0105
	v_lshl_or_b32 v3, v26, 16, v39
	v_lshl_or_b32 v24, v34, 16, v43
	v_dot4_i32_iu8 v2, v2, v4, v22 neg_lo:[1,1,0]
	v_dot4_i32_iu8 v1, v23, v4, v1 neg_lo:[1,1,0]
	v_sub_nc_i16 v58, v107, v93 clamp
	v_perm_b32 v44, v77, v74, 0xc0c0105
	v_sub_nc_i16 v69, v80, v112 clamp
	v_sub_nc_i16 v37, v37, v45 clamp
	v_perm_b32 v28, v28, v56, 0xc0c0105
	v_perm_b32 v36, v36, v47, 0xc0c0105
	v_lshl_or_b32 v4, v27, 16, v54
	v_lshl_or_b32 v22, v35, 16, v66
	v_dot4_i32_iu8 v2, v3, v5, v2 neg_lo:[1,1,0]
	v_dot4_i32_iu8 v1, v24, v5, v1 neg_lo:[1,1,0]
	v_perm_b32 v68, v75, v91, 0xc0c0105
	v_perm_b32 v29, v29, v58, 0xc0c0105
	;; [unrolled: 1-line block ×3, first 2 shown]
	v_lshl_or_b32 v3, v28, 16, v40
	v_lshl_or_b32 v5, v36, 16, v44
	v_dot4_i32_iu8 v2, v4, v6, v2 neg_lo:[1,1,0]
	v_dot4_i32_iu8 v1, v22, v6, v1 neg_lo:[1,1,0]
	v_lshl_or_b32 v4, v29, 16, v57
	v_lshl_or_b32 v6, v37, 16, v68
	v_add_co_u32 v11, vcc_lo, 0x480, v11
	v_dot4_i32_iu8 v2, v3, v7, v2 neg_lo:[1,1,0]
	v_dot4_i32_iu8 v1, v5, v7, v1 neg_lo:[1,1,0]
	v_or_b32_e32 v3, 1, v20
	v_or_b32_e32 v5, 1, v21
	v_cmp_le_u32_e64 s0, s11, v15
	s_wait_alu 0xfffd
	v_add_co_ci_u32_e64 v12, null, 0, v12, vcc_lo
	s_or_b32 s5, s0, s5
	s_wait_loadcnt 0x0
	v_dot4_i32_iu8 v2, v4, v110, v2 neg_lo:[1,1,0]
	v_dot4_i32_iu8 v1, v6, v110, v1 neg_lo:[1,1,0]
	s_delay_alu instid0(VALU_DEP_2) | instskip(NEXT) | instid1(VALU_DEP_2)
	v_mul_lo_u32 v2, v2, v3
	v_mul_lo_u32 v1, v1, v5
	s_delay_alu instid0(VALU_DEP_2) | instskip(NEXT) | instid1(VALU_DEP_2)
	v_ashrrev_i32_e32 v3, 31, v2
	v_ashrrev_i32_e32 v4, 31, v1
	s_delay_alu instid0(VALU_DEP_2) | instskip(NEXT) | instid1(VALU_DEP_2)
	v_lshrrev_b32_e32 v3, 29, v3
	v_lshrrev_b32_e32 v4, 29, v4
	s_delay_alu instid0(VALU_DEP_2) | instskip(NEXT) | instid1(VALU_DEP_2)
	v_add_nc_u32_e32 v2, v2, v3
	v_add_nc_u32_e32 v1, v1, v4
	v_cvt_f32_f16_e32 v3, v19
	v_cvt_f32_f16_e32 v4, v18
	s_delay_alu instid0(VALU_DEP_4) | instskip(NEXT) | instid1(VALU_DEP_4)
	v_ashrrev_i32_e32 v2, 3, v2
	v_ashrrev_i32_e32 v1, 3, v1
	s_delay_alu instid0(VALU_DEP_4) | instskip(NEXT) | instid1(VALU_DEP_4)
	v_mul_f32_e32 v3, v3, v0
	v_mul_f32_e32 v0, v4, v0
	s_delay_alu instid0(VALU_DEP_4) | instskip(NEXT) | instid1(VALU_DEP_4)
	v_cvt_f32_i32_e32 v2, v2
	v_cvt_f32_i32_e32 v1, v1
	s_delay_alu instid0(VALU_DEP_2) | instskip(NEXT) | instid1(VALU_DEP_2)
	v_fmac_f32_e32 v8, v3, v2
	v_fmac_f32_e32 v16, v0, v1
	s_wait_alu 0xfffe
	s_and_not1_b32 exec_lo, exec_lo, s5
	s_cbranch_execnz .LBB156_3
; %bb.4:
	s_or_b32 exec_lo, exec_lo, s5
.LBB156_5:
	s_delay_alu instid0(SALU_CYCLE_1) | instskip(SKIP_1) | instid1(VALU_DEP_1)
	s_or_b32 exec_lo, exec_lo, s20
	v_mbcnt_lo_u32_b32 v0, -1, 0
	v_xor_b32_e32 v1, 16, v0
	v_xor_b32_e32 v3, 8, v0
	;; [unrolled: 1-line block ×3, first 2 shown]
	s_delay_alu instid0(VALU_DEP_3) | instskip(SKIP_3) | instid1(VALU_DEP_2)
	v_cmp_gt_i32_e32 vcc_lo, 32, v1
	s_wait_alu 0xfffd
	v_cndmask_b32_e32 v1, v0, v1, vcc_lo
	v_cmp_gt_i32_e32 vcc_lo, 32, v3
	v_lshlrev_b32_e32 v1, 2, v1
	s_wait_alu 0xfffd
	v_cndmask_b32_e32 v3, v0, v3, vcc_lo
	v_cmp_gt_i32_e32 vcc_lo, 32, v5
	ds_bpermute_b32 v2, v1, v8
	v_lshlrev_b32_e32 v3, 2, v3
	s_wait_alu 0xfffd
	v_cndmask_b32_e32 v5, v0, v5, vcc_lo
	s_wait_dscnt 0x0
	s_delay_alu instid0(VALU_DEP_1)
	v_dual_add_f32 v2, v8, v2 :: v_dual_lshlrev_b32 v5, 2, v5
	ds_bpermute_b32 v1, v1, v16
	ds_bpermute_b32 v4, v3, v2
	s_wait_dscnt 0x0
	v_dual_add_f32 v2, v2, v4 :: v_dual_add_f32 v1, v16, v1
	ds_bpermute_b32 v3, v3, v1
	s_wait_dscnt 0x0
	v_add_f32_e32 v1, v1, v3
	ds_bpermute_b32 v3, v5, v2
	ds_bpermute_b32 v4, v5, v1
	v_xor_b32_e32 v5, 2, v0
	s_delay_alu instid0(VALU_DEP_1) | instskip(SKIP_3) | instid1(VALU_DEP_1)
	v_cmp_gt_i32_e32 vcc_lo, 32, v5
	s_wait_alu 0xfffd
	v_cndmask_b32_e32 v5, v0, v5, vcc_lo
	s_wait_dscnt 0x1
	v_dual_add_f32 v2, v2, v3 :: v_dual_lshlrev_b32 v5, 2, v5
	s_wait_dscnt 0x0
	v_add_f32_e32 v1, v1, v4
	ds_bpermute_b32 v3, v5, v2
	ds_bpermute_b32 v4, v5, v1
	v_xor_b32_e32 v5, 1, v0
	s_delay_alu instid0(VALU_DEP_1) | instskip(SKIP_4) | instid1(VALU_DEP_2)
	v_cmp_gt_i32_e32 vcc_lo, 32, v5
	s_wait_alu 0xfffd
	v_cndmask_b32_e32 v0, v0, v5, vcc_lo
	v_cmp_gt_u32_e32 vcc_lo, 2, v14
	s_wait_dscnt 0x1
	v_dual_add_f32 v0, v2, v3 :: v_dual_lshlrev_b32 v5, 2, v0
	s_wait_dscnt 0x0
	v_dual_add_f32 v1, v1, v4 :: v_dual_add_nc_u32 v4, s3, v14
	ds_bpermute_b32 v2, v5, v0
	ds_bpermute_b32 v3, v5, v1
	v_cmp_gt_u32_e64 s0, s4, v4
	s_and_b32 s0, vcc_lo, s0
	s_wait_alu 0xfffe
	s_and_b32 exec_lo, exec_lo, s0
	s_cbranch_execz .LBB156_7
; %bb.6:
	v_mul_lo_u32 v4, s7, v13
	v_or_b32_e32 v6, s3, v14
	s_mul_i32 s0, s10, ttmp7
	s_wait_dscnt 0x1
	v_dual_mov_b32 v5, 0 :: v_dual_add_f32 v2, v0, v2
	s_wait_dscnt 0x0
	v_add_f32_e32 v3, v1, v3
	v_cmp_eq_u32_e32 vcc_lo, 1, v14
	s_wait_alu 0xfffe
	v_add3_u32 v4, v6, v4, s0
	s_wait_alu 0xfffd
	v_cndmask_b32_e32 v2, v2, v3, vcc_lo
	s_delay_alu instid0(VALU_DEP_2) | instskip(NEXT) | instid1(VALU_DEP_1)
	v_lshlrev_b64_e32 v[0:1], 2, v[4:5]
	v_add_co_u32 v0, vcc_lo, s18, v0
	s_wait_alu 0xfffd
	s_delay_alu instid0(VALU_DEP_2)
	v_add_co_ci_u32_e64 v1, null, s19, v1, vcc_lo
	global_store_b32 v[0:1], v2, off
.LBB156_7:
	s_nop 0
	s_sendmsg sendmsg(MSG_DEALLOC_VGPRS)
	s_endpgm
	.section	.rodata,"a",@progbits
	.p2align	6, 0x0
	.amdhsa_kernel _ZL17mul_mat_vec_q_moeIL9ggml_type16ELi2EEvPKvS2_PKiPfj15HIP_vector_typeIjLj3EEjjjjjjjjj
		.amdhsa_group_segment_fixed_size 0
		.amdhsa_private_segment_fixed_size 0
		.amdhsa_kernarg_size 84
		.amdhsa_user_sgpr_count 2
		.amdhsa_user_sgpr_dispatch_ptr 0
		.amdhsa_user_sgpr_queue_ptr 0
		.amdhsa_user_sgpr_kernarg_segment_ptr 1
		.amdhsa_user_sgpr_dispatch_id 0
		.amdhsa_user_sgpr_private_segment_size 0
		.amdhsa_wavefront_size32 1
		.amdhsa_uses_dynamic_stack 0
		.amdhsa_enable_private_segment 0
		.amdhsa_system_sgpr_workgroup_id_x 1
		.amdhsa_system_sgpr_workgroup_id_y 1
		.amdhsa_system_sgpr_workgroup_id_z 0
		.amdhsa_system_sgpr_workgroup_info 0
		.amdhsa_system_vgpr_workitem_id 1
		.amdhsa_next_free_vgpr 115
		.amdhsa_next_free_sgpr 24
		.amdhsa_reserve_vcc 1
		.amdhsa_float_round_mode_32 0
		.amdhsa_float_round_mode_16_64 0
		.amdhsa_float_denorm_mode_32 3
		.amdhsa_float_denorm_mode_16_64 3
		.amdhsa_fp16_overflow 0
		.amdhsa_workgroup_processor_mode 1
		.amdhsa_memory_ordered 1
		.amdhsa_forward_progress 1
		.amdhsa_inst_pref_size 47
		.amdhsa_round_robin_scheduling 0
		.amdhsa_exception_fp_ieee_invalid_op 0
		.amdhsa_exception_fp_denorm_src 0
		.amdhsa_exception_fp_ieee_div_zero 0
		.amdhsa_exception_fp_ieee_overflow 0
		.amdhsa_exception_fp_ieee_underflow 0
		.amdhsa_exception_fp_ieee_inexact 0
		.amdhsa_exception_int_div_zero 0
	.end_amdhsa_kernel
	.section	.text._ZL17mul_mat_vec_q_moeIL9ggml_type16ELi2EEvPKvS2_PKiPfj15HIP_vector_typeIjLj3EEjjjjjjjjj,"axG",@progbits,_ZL17mul_mat_vec_q_moeIL9ggml_type16ELi2EEvPKvS2_PKiPfj15HIP_vector_typeIjLj3EEjjjjjjjjj,comdat
.Lfunc_end156:
	.size	_ZL17mul_mat_vec_q_moeIL9ggml_type16ELi2EEvPKvS2_PKiPfj15HIP_vector_typeIjLj3EEjjjjjjjjj, .Lfunc_end156-_ZL17mul_mat_vec_q_moeIL9ggml_type16ELi2EEvPKvS2_PKiPfj15HIP_vector_typeIjLj3EEjjjjjjjjj
                                        ; -- End function
	.set _ZL17mul_mat_vec_q_moeIL9ggml_type16ELi2EEvPKvS2_PKiPfj15HIP_vector_typeIjLj3EEjjjjjjjjj.num_vgpr, 115
	.set _ZL17mul_mat_vec_q_moeIL9ggml_type16ELi2EEvPKvS2_PKiPfj15HIP_vector_typeIjLj3EEjjjjjjjjj.num_agpr, 0
	.set _ZL17mul_mat_vec_q_moeIL9ggml_type16ELi2EEvPKvS2_PKiPfj15HIP_vector_typeIjLj3EEjjjjjjjjj.numbered_sgpr, 24
	.set _ZL17mul_mat_vec_q_moeIL9ggml_type16ELi2EEvPKvS2_PKiPfj15HIP_vector_typeIjLj3EEjjjjjjjjj.num_named_barrier, 0
	.set _ZL17mul_mat_vec_q_moeIL9ggml_type16ELi2EEvPKvS2_PKiPfj15HIP_vector_typeIjLj3EEjjjjjjjjj.private_seg_size, 0
	.set _ZL17mul_mat_vec_q_moeIL9ggml_type16ELi2EEvPKvS2_PKiPfj15HIP_vector_typeIjLj3EEjjjjjjjjj.uses_vcc, 1
	.set _ZL17mul_mat_vec_q_moeIL9ggml_type16ELi2EEvPKvS2_PKiPfj15HIP_vector_typeIjLj3EEjjjjjjjjj.uses_flat_scratch, 0
	.set _ZL17mul_mat_vec_q_moeIL9ggml_type16ELi2EEvPKvS2_PKiPfj15HIP_vector_typeIjLj3EEjjjjjjjjj.has_dyn_sized_stack, 0
	.set _ZL17mul_mat_vec_q_moeIL9ggml_type16ELi2EEvPKvS2_PKiPfj15HIP_vector_typeIjLj3EEjjjjjjjjj.has_recursion, 0
	.set _ZL17mul_mat_vec_q_moeIL9ggml_type16ELi2EEvPKvS2_PKiPfj15HIP_vector_typeIjLj3EEjjjjjjjjj.has_indirect_call, 0
	.section	.AMDGPU.csdata,"",@progbits
; Kernel info:
; codeLenInByte = 6016
; TotalNumSgprs: 26
; NumVgprs: 115
; ScratchSize: 0
; MemoryBound: 0
; FloatMode: 240
; IeeeMode: 1
; LDSByteSize: 0 bytes/workgroup (compile time only)
; SGPRBlocks: 0
; VGPRBlocks: 14
; NumSGPRsForWavesPerEU: 26
; NumVGPRsForWavesPerEU: 115
; Occupancy: 12
; WaveLimiterHint : 1
; COMPUTE_PGM_RSRC2:SCRATCH_EN: 0
; COMPUTE_PGM_RSRC2:USER_SGPR: 2
; COMPUTE_PGM_RSRC2:TRAP_HANDLER: 0
; COMPUTE_PGM_RSRC2:TGID_X_EN: 1
; COMPUTE_PGM_RSRC2:TGID_Y_EN: 1
; COMPUTE_PGM_RSRC2:TGID_Z_EN: 0
; COMPUTE_PGM_RSRC2:TIDIG_COMP_CNT: 1
	.section	.text._ZL13mul_mat_vec_qIL9ggml_type16ELi1ELb1ELb1EEvPKvS2_PKi31ggml_cuda_mm_fusion_args_devicePfj15HIP_vector_typeIjLj3EEjjjS8_jjjS8_jjjj,"axG",@progbits,_ZL13mul_mat_vec_qIL9ggml_type16ELi1ELb1ELb1EEvPKvS2_PKi31ggml_cuda_mm_fusion_args_devicePfj15HIP_vector_typeIjLj3EEjjjS8_jjjS8_jjjj,comdat
	.globl	_ZL13mul_mat_vec_qIL9ggml_type16ELi1ELb1ELb1EEvPKvS2_PKi31ggml_cuda_mm_fusion_args_devicePfj15HIP_vector_typeIjLj3EEjjjS8_jjjS8_jjjj ; -- Begin function _ZL13mul_mat_vec_qIL9ggml_type16ELi1ELb1ELb1EEvPKvS2_PKi31ggml_cuda_mm_fusion_args_devicePfj15HIP_vector_typeIjLj3EEjjjS8_jjjS8_jjjj
	.p2align	8
	.type	_ZL13mul_mat_vec_qIL9ggml_type16ELi1ELb1ELb1EEvPKvS2_PKi31ggml_cuda_mm_fusion_args_devicePfj15HIP_vector_typeIjLj3EEjjjS8_jjjS8_jjjj,@function
_ZL13mul_mat_vec_qIL9ggml_type16ELi1ELb1ELb1EEvPKvS2_PKi31ggml_cuda_mm_fusion_args_devicePfj15HIP_vector_typeIjLj3EEjjjS8_jjjS8_jjjj: ; @_ZL13mul_mat_vec_qIL9ggml_type16ELi1ELb1ELb1EEvPKvS2_PKi31ggml_cuda_mm_fusion_args_devicePfj15HIP_vector_typeIjLj3EEjjjS8_jjjS8_jjjj
; %bb.0:
	s_clause 0x3
	s_load_b256 s[8:15], s[0:1], 0x0
	s_load_b128 s[16:19], s[0:1], 0x20
	s_load_b128 s[20:23], s[0:1], 0x40
	;; [unrolled: 1-line block ×3, first 2 shown]
	s_and_b32 s27, ttmp7, 0xffff
	s_wait_kmcnt 0x0
	s_cmp_lg_u64 s[12:13], 0
	s_cselect_b32 s2, -1, 0
	s_cmp_eq_u64 s[12:13], 0
	s_cbranch_scc1 .LBB157_24
; %bb.1:
	s_lshl_b32 s3, s27, 2
	s_load_b32 s28, s[12:13], s3 offset:0x0
	s_clause 0x1
	s_load_b32 s30, s[0:1], 0x50
	s_load_b32 s29, s[0:1], 0x78
	s_cbranch_execnz .LBB157_3
.LBB157_2:
	s_load_b64 s[12:13], s[0:1], 0x5c
	s_wait_kmcnt 0x0
	s_mul_hi_u32 s3, s12, s27
	s_delay_alu instid0(SALU_CYCLE_1) | instskip(NEXT) | instid1(SALU_CYCLE_1)
	s_add_co_i32 s3, s27, s3
	s_lshr_b32 s28, s3, s13
.LBB157_3:
	s_and_not1_b32 vcc_lo, exec_lo, s2
	s_mov_b32 s3, s27
	s_mov_b32 s31, s27
	s_cbranch_vccnz .LBB157_5
; %bb.4:
	s_mul_hi_u32 s2, s21, s27
	s_wait_kmcnt 0x0
	s_mov_b32 s3, s28
	s_add_co_i32 s2, s27, s2
	s_delay_alu instid0(SALU_CYCLE_1) | instskip(NEXT) | instid1(SALU_CYCLE_1)
	s_lshr_b32 s2, s2, s22
	s_mul_i32 s2, s2, s23
	s_delay_alu instid0(SALU_CYCLE_1)
	s_sub_co_i32 s31, s27, s2
.LBB157_5:
	s_load_b96 s[24:26], s[0:1], 0x80
	v_bfe_u32 v25, v0, 10, 10
	v_dual_mov_b32 v23, 0 :: v_dual_and_b32 v22, 0x3ff, v0
	s_lshr_b32 s21, ttmp7, 16
	s_cmp_lg_u64 s[14:15], 0
	v_mov_b32_e32 v24, 0
	s_delay_alu instid0(VALU_DEP_2) | instskip(SKIP_3) | instid1(VALU_DEP_1)
	v_or_b32_e32 v0, v22, v25
	s_cselect_b32 s2, -1, 0
	s_mov_b32 s23, 0
	s_mul_i32 s12, s3, s6
	v_cmp_eq_u32_e32 vcc_lo, 0, v0
	s_and_b32 s13, s2, vcc_lo
	s_delay_alu instid0(SALU_CYCLE_1)
	s_and_saveexec_b32 s3, s13
	s_cbranch_execz .LBB157_7
; %bb.6:
	s_wait_kmcnt 0x0
	s_mul_i32 s22, s26, s21
	s_mov_b32 s13, s23
	s_lshl_b64 s[22:23], s[22:23], 2
	s_mov_b32 s34, ttmp9
	s_lshl_b64 s[36:37], s[12:13], 2
	s_add_nc_u64 s[14:15], s[14:15], s[22:23]
	s_ashr_i32 s35, ttmp9, 31
	v_lshlrev_b32_e32 v0, 2, v22
	s_add_nc_u64 s[14:15], s[14:15], s[36:37]
	s_lshl_b64 s[22:23], s[34:35], 2
	s_delay_alu instid0(SALU_CYCLE_1)
	s_add_nc_u64 s[14:15], s[14:15], s[22:23]
	global_load_b32 v24, v0, s[14:15]
.LBB157_7:
	s_or_b32 exec_lo, exec_lo, s3
	s_cmp_lg_u64 s[16:17], 0
	s_cselect_b32 s14, -1, 0
	s_cmp_lg_u64 s[18:19], 0
	s_cselect_b32 s3, -1, 0
	s_delay_alu instid0(SALU_CYCLE_1) | instskip(NEXT) | instid1(SALU_CYCLE_1)
	s_and_b32 s13, s3, s14
	s_and_b32 s13, s13, vcc_lo
	s_delay_alu instid0(SALU_CYCLE_1)
	s_and_saveexec_b32 s15, s13
	s_cbranch_execz .LBB157_9
; %bb.8:
	s_wait_kmcnt 0x0
	s_mul_i32 s34, s26, s21
	s_mov_b32 s35, 0
	s_mov_b32 s22, ttmp9
	s_lshl_b64 s[36:37], s[34:35], 2
	s_mov_b32 s13, s35
	s_add_nc_u64 s[18:19], s[18:19], s[36:37]
	s_lshl_b64 s[12:13], s[12:13], 2
	s_ashr_i32 s23, ttmp9, 31
	v_lshlrev_b32_e32 v0, 2, v22
	s_add_nc_u64 s[12:13], s[18:19], s[12:13]
	s_lshl_b64 s[18:19], s[22:23], 2
	s_delay_alu instid0(SALU_CYCLE_1)
	s_add_nc_u64 s[12:13], s[12:13], s[18:19]
	global_load_b32 v23, v0, s[12:13]
.LBB157_9:
	s_or_b32 exec_lo, exec_lo, s15
	v_lshl_add_u32 v0, v25, 5, v22
	v_dual_mov_b32 v28, 0 :: v_dual_mov_b32 v27, 0
	v_cndmask_b32_e64 v26, 0, 1, s14
	s_lshr_b32 s15, s20, 8
	s_delay_alu instid0(VALU_DEP_3) | instskip(SKIP_2) | instid1(VALU_DEP_1)
	v_lshrrev_b32_e32 v29, 3, v0
	s_mov_b32 s18, exec_lo
	s_wait_alu 0xfffe
	v_cmpx_gt_u32_e64 s15, v29
	s_cbranch_execz .LBB157_15
; %bb.10:
	v_lshrrev_b32_e32 v0, 3, v0
	s_mul_i32 s12, s31, s5
	s_mov_b32 s13, 0
	s_wait_kmcnt 0x0
	s_mul_i32 s5, s25, s21
	s_mul_u64 s[22:23], s[12:13], 36
	v_dual_mov_b32 v27, 0 :: v_dual_and_b32 v2, 7, v22
	v_mad_co_u64_u32 v[0:1], null, 0x120, v0, s[22:23]
	v_dual_mov_b32 v28, 0 :: v_dual_lshlrev_b32 v3, 1, v22
	s_mul_i32 s30, s30, ttmp9
	s_delay_alu instid0(VALU_DEP_2)
	v_mad_co_u64_u32 v[0:1], null, s5, 36, v[0:1]
	s_mul_hi_u32 s5, s7, s21
	s_mul_i32 s7, s28, s4
	s_wait_alu 0xfffe
	s_add_co_i32 s5, s21, s5
	s_wait_alu 0xfffe
	s_lshr_b32 s4, s5, s29
	v_mad_co_u64_u32 v[0:1], null, v2, 36, v[0:1]
	v_and_b32_e32 v2, 14, v3
	s_wait_alu 0xfffe
	s_mul_i32 s4, s4, s24
	s_wait_alu 0xfffe
	s_add_co_i32 s4, s4, s30
	v_lshlrev_b32_e32 v2, 1, v2
	s_delay_alu instid0(VALU_DEP_3) | instskip(NEXT) | instid1(VALU_DEP_1)
	v_add_co_u32 v0, vcc_lo, s10, v0
	v_add_co_ci_u32_e64 v1, null, s11, v1, vcc_lo
	s_delay_alu instid0(VALU_DEP_3) | instskip(NEXT) | instid1(VALU_DEP_3)
	v_lshlrev_b32_e32 v30, 1, v2
	v_add_co_u32 v8, vcc_lo, v0, 32
	s_wait_alu 0xfffd
	s_delay_alu instid0(VALU_DEP_3)
	v_add_co_ci_u32_e64 v9, null, 0, v1, vcc_lo
	s_wait_alu 0xfffe
	s_add_co_i32 s7, s7, s4
	s_branch .LBB157_12
.LBB157_11:                             ;   in Loop: Header=BB157_12 Depth=1
	v_and_b32_e32 v20, 0xff, v11
	v_bfe_u32 v21, v11, 7, 8
	v_add_nc_u32_e32 v29, 4, v29
	v_add_co_u32 v8, s4, 0x480, v8
	s_delay_alu instid0(VALU_DEP_4) | instskip(NEXT) | instid1(VALU_DEP_4)
	v_bcnt_u32_b32 v32, v20, 0
	v_bcnt_u32_b32 v33, v21, 0
	s_wait_alu 0xf1ff
	v_add_co_ci_u32_e64 v9, null, 0, v9, s4
	s_delay_alu instid0(VALU_DEP_3) | instskip(NEXT) | instid1(VALU_DEP_3)
	v_and_b32_e32 v32, 1, v32
	v_and_b32_e32 v33, 1, v33
	s_delay_alu instid0(VALU_DEP_2) | instskip(NEXT) | instid1(VALU_DEP_2)
	v_lshlrev_b32_e32 v32, 7, v32
	v_lshlrev_b32_e32 v33, 7, v33
	s_delay_alu instid0(VALU_DEP_2) | instskip(NEXT) | instid1(VALU_DEP_2)
	v_xor_b32_e32 v20, v32, v20
	v_xor_b32_e32 v21, v33, v21
	s_delay_alu instid0(VALU_DEP_2) | instskip(NEXT) | instid1(VALU_DEP_2)
	v_mul_lo_u32 v20, 0x1010101, v20
	v_mul_lo_u32 v21, 0x1010101, v21
	s_delay_alu instid0(VALU_DEP_2)
	v_and_b32_e32 v32, 0x8040201, v20
	v_and_b32_e32 v35, 0x80402010, v20
	v_lshrrev_b32_e32 v33, 18, v20
	v_bfe_i32 v34, v20, 0, 1
	v_lshrrev_b32_e32 v20, 22, v20
	v_lshrrev_b16 v39, 8, v32
	v_lshrrev_b32_e32 v32, 24, v32
	v_lshrrev_b16 v41, 8, v35
	v_lshrrev_b32_e32 v42, 24, v35
	v_and_b32_e32 v36, 0x8040201, v21
	v_cmp_ne_u16_e32 vcc_lo, 0, v39
	v_bfe_i32 v33, v33, 0, 1
	v_lshrrev_b16 v35, 4, v35
	v_and_b32_e32 v40, 0xff, v34
	v_bfe_i32 v20, v20, 0, 1
	s_wait_alu 0xfffd
	v_cndmask_b32_e64 v39, 0, -1, vcc_lo
	v_cmp_ne_u16_e32 vcc_lo, 0, v32
	v_lshrrev_b16 v43, 8, v36
	v_and_b32_e32 v45, 0xff, v33
	v_bfe_i32 v35, v35, 0, 1
	v_lshlrev_b16 v39, 8, v39
	s_wait_alu 0xfffd
	v_cndmask_b32_e64 v32, 0, -1, vcc_lo
	v_cmp_ne_u16_e32 vcc_lo, 0, v41
	v_lshrrev_b32_e32 v36, 24, v36
	v_and_b32_e32 v46, 0xff, v20
	v_and_b32_e32 v47, 0xff, v35
	v_lshlrev_b16 v32, 8, v32
	s_wait_alu 0xfffd
	v_cndmask_b32_e64 v41, 0, -1, vcc_lo
	v_cmp_ne_u16_e32 vcc_lo, 0, v42
	v_or_b32_e32 v40, v40, v39
	v_lshrrev_b32_e32 v37, 18, v21
	v_or_b32_e32 v45, v45, v32
	v_lshlrev_b16 v41, 8, v41
	s_wait_alu 0xfffd
	v_cndmask_b32_e64 v42, 0, -1, vcc_lo
	v_cmp_ne_u16_e32 vcc_lo, 0, v43
	v_and_b32_e32 v40, 0xffff, v40
	v_lshlrev_b32_e32 v45, 16, v45
	v_or_b32_e32 v47, v47, v41
	v_lshlrev_b16 v42, 8, v42
	s_wait_alu 0xfffd
	v_cndmask_b32_e64 v43, 0, -1, vcc_lo
	v_cmp_ne_u16_e32 vcc_lo, 0, v36
	v_bfe_i32 v38, v21, 0, 1
	v_bfe_i32 v37, v37, 0, 1
	v_or_b32_e32 v46, v46, v42
	v_and_b32_e32 v47, 0xffff, v47
	s_wait_alu 0xfffd
	v_cndmask_b32_e64 v36, 0, -1, vcc_lo
	v_or_b32_e32 v40, v40, v45
	v_and_b32_e32 v44, 0xff, v38
	v_lshlrev_b32_e32 v46, 16, v46
	v_and_b32_e32 v45, 0xff, v37
	v_lshlrev_b16 v43, 8, v43
	v_lshlrev_b16 v36, 8, v36
	s_wait_loadcnt 0x3
	v_xor_b32_e32 v18, v18, v40
	v_or_b32_e32 v46, v47, v46
	v_lshlrev_b16 v34, 8, v34
	v_or_b32_e32 v40, v44, v43
	v_or_b32_e32 v44, v45, v36
	v_lshrrev_b32_e32 v45, 16, v18
	v_xor_b32_e32 v19, v19, v46
	v_lshlrev_b16 v33, 8, v33
	v_and_b32_e32 v46, 0xffffff00, v18
	v_lshlrev_b16 v18, 8, v18
	v_and_b32_e32 v49, 0xffffff00, v45
	v_lshrrev_b32_e32 v47, 16, v19
	v_and_b32_e32 v48, 0xffffff00, v19
	v_lshlrev_b16 v45, 8, v45
	v_lshlrev_b16 v35, 8, v35
	;; [unrolled: 1-line block ×3, first 2 shown]
	v_sub_nc_i16 v39, v46, v39 clamp
	v_sub_nc_i16 v18, v18, v34 clamp
	v_sub_nc_i16 v32, v49, v32 clamp
	v_sub_nc_i16 v33, v45, v33 clamp
	v_sub_nc_i16 v34, v48, v41 clamp
	v_and_b32_e32 v41, 0xffffff00, v47
	v_lshlrev_b16 v45, 8, v47
	v_lshlrev_b16 v20, 8, v20
	v_perm_b32 v18, v18, v39, 0xc0c0105
	v_perm_b32 v32, v33, v32, 0xc0c0105
	v_sub_nc_i16 v19, v19, v35 clamp
	v_sub_nc_i16 v35, v41, v42 clamp
	;; [unrolled: 1-line block ×3, first 2 shown]
	v_and_b32_e32 v33, 0xffff, v40
	v_lshlrev_b32_e32 v39, 16, v44
	v_lshl_or_b32 v18, v32, 16, v18
	v_perm_b32 v19, v19, v34, 0xc0c0105
	v_perm_b32 v20, v20, v35, 0xc0c0105
	v_bfe_u32 v32, v11, 14, 8
	v_or_b32_e32 v33, v33, v39
	v_dot4_i32_iu8 v5, v18, v5, 0 neg_lo:[1,1,0]
	v_and_b32_e32 v35, 0x80402010, v21
	v_lshl_or_b32 v18, v20, 16, v19
	v_bcnt_u32_b32 v19, v32, 0
	s_wait_loadcnt 0x2
	v_xor_b32_e32 v16, v16, v33
	v_lshlrev_b16 v34, 8, v38
	v_lshrrev_b16 v38, 8, v35
	v_lshrrev_b32_e32 v21, 22, v21
	v_and_b32_e32 v19, 1, v19
	v_lshlrev_b16 v33, 8, v16
	v_and_b32_e32 v20, 0xffffff00, v16
	v_cmp_ne_u16_e32 vcc_lo, 0, v38
	v_lshrrev_b32_e32 v16, 16, v16
	v_lshlrev_b32_e32 v19, 7, v19
	v_sub_nc_i16 v33, v33, v34 clamp
	v_lshrrev_b16 v34, 4, v35
	v_lshrrev_b32_e32 v35, 24, v35
	v_and_b32_e32 v39, 0xffffff00, v16
	v_xor_b32_e32 v19, v19, v32
	s_wait_alu 0xfffd
	v_cndmask_b32_e64 v32, 0, -1, vcc_lo
	v_bfe_i32 v34, v34, 0, 1
	v_lshlrev_b16 v16, 8, v16
	v_cmp_ne_u16_e32 vcc_lo, 0, v35
	v_mul_lo_u32 v19, 0x1010101, v19
	v_lshlrev_b16 v32, 8, v32
	v_and_b32_e32 v38, 0xff, v34
	v_lshlrev_b16 v37, 8, v37
	v_bfe_i32 v21, v21, 0, 1
	s_wait_alu 0xfffd
	v_cndmask_b32_e64 v35, 0, -1, vcc_lo
	v_sub_nc_i16 v36, v39, v36 clamp
	v_or_b32_e32 v38, v38, v32
	v_and_b32_e32 v41, 0x8040201, v19
	v_sub_nc_i16 v16, v16, v37 clamp
	v_and_b32_e32 v40, 0xff, v21
	v_lshlrev_b16 v35, 8, v35
	v_and_b32_e32 v37, 0xffff, v38
	v_lshrrev_b16 v38, 8, v41
	v_lshrrev_b32_e32 v41, 24, v41
	v_bfe_i32 v42, v19, 0, 1
	v_or_b32_e32 v39, v40, v35
	v_lshrrev_b32_e32 v40, 18, v19
	v_cmp_ne_u16_e32 vcc_lo, 0, v38
	v_sub_nc_i16 v20, v20, v43 clamp
	v_and_b32_e32 v43, 0xff, v42
	v_lshlrev_b32_e32 v39, 16, v39
	v_bfe_i32 v40, v40, 0, 1
	s_wait_alu 0xfffd
	v_cndmask_b32_e64 v38, 0, -1, vcc_lo
	v_cmp_ne_u16_e32 vcc_lo, 0, v41
	v_perm_b32 v20, v33, v20, 0xc0c0105
	v_or_b32_e32 v37, v37, v39
	v_and_b32_e32 v44, 0xff, v40
	v_lshlrev_b16 v38, 8, v38
	s_wait_alu 0xfffd
	v_cndmask_b32_e64 v41, 0, -1, vcc_lo
	v_perm_b32 v16, v16, v36, 0xc0c0105
	v_xor_b32_e32 v17, v17, v37
	v_dot4_i32_iu8 v5, v18, v6, v5 neg_lo:[1,1,0]
	v_or_b32_e32 v33, v43, v38
	v_lshlrev_b16 v41, 8, v41
	v_lshl_or_b32 v6, v16, 16, v20
	v_lshrrev_b32_e32 v20, 16, v17
	v_lshlrev_b16 v34, 8, v34
	v_and_b32_e32 v16, 0xffff, v33
	v_or_b32_e32 v36, v44, v41
	v_and_b32_e32 v33, 0xffffff00, v17
	v_lshlrev_b16 v17, 8, v17
	v_lshlrev_b16 v21, 8, v21
	v_dot4_i32_iu8 v5, v6, v7, v5 neg_lo:[1,1,0]
	v_lshlrev_b32_e32 v18, 16, v36
	v_and_b32_e32 v7, 0x80402010, v19
	v_sub_nc_i16 v32, v33, v32 clamp
	v_lshrrev_b32_e32 v19, 22, v19
	v_lshlrev_b16 v36, 8, v42
	v_or_b32_e32 v16, v16, v18
	v_and_b32_e32 v18, 0xffffff00, v20
	v_lshlrev_b16 v20, 8, v20
	v_bfe_i32 v19, v19, 0, 1
	s_wait_loadcnt 0x1
	v_xor_b32_e32 v14, v14, v16
	v_sub_nc_i16 v16, v17, v34 clamp
	v_sub_nc_i16 v17, v18, v35 clamp
	v_sub_nc_i16 v18, v20, v21 clamp
	v_lshrrev_b16 v21, 8, v7
	v_lshrrev_b16 v20, 4, v7
	v_lshrrev_b32_e32 v7, 24, v7
	v_perm_b32 v16, v16, v32, 0xc0c0105
	v_bfe_u32 v32, v11, 21, 8
	v_cmp_ne_u16_e32 vcc_lo, 0, v21
	v_bfe_i32 v20, v20, 0, 1
	v_and_b32_e32 v34, 0xff, v19
	v_and_b32_e32 v6, 0xffffff00, v14
	v_bcnt_u32_b32 v35, v32, 0
	s_wait_alu 0xfffd
	v_cndmask_b32_e64 v21, 0, -1, vcc_lo
	v_cmp_ne_u16_e32 vcc_lo, 0, v7
	v_and_b32_e32 v33, 0xff, v20
	v_perm_b32 v17, v18, v17, 0xc0c0105
	v_and_b32_e32 v35, 1, v35
	v_lshlrev_b16 v21, 8, v21
	s_wait_alu 0xfffd
	v_cndmask_b32_e64 v7, 0, -1, vcc_lo
	v_lshrrev_b32_e32 v18, 16, v14
	v_sub_nc_i16 v6, v6, v38 clamp
	v_lshlrev_b32_e32 v35, 7, v35
	v_or_b32_e32 v33, v33, v21
	v_lshlrev_b16 v7, 8, v7
	v_lshlrev_b16 v14, 8, v14
	v_and_b32_e32 v37, 0xffffff00, v18
	v_lshlrev_b16 v18, 8, v18
	v_lshlrev_b16 v38, 8, v40
	v_or_b32_e32 v34, v34, v7
	v_and_b32_e32 v33, 0xffff, v33
	v_xor_b32_e32 v32, v35, v32
	v_sub_nc_i16 v14, v14, v36 clamp
	v_sub_nc_i16 v36, v37, v41 clamp
	v_lshlrev_b32_e32 v34, 16, v34
	v_sub_nc_i16 v18, v18, v38 clamp
	v_lshl_or_b32 v16, v17, 16, v16
	v_mul_lo_u32 v17, 0x1010101, v32
	v_perm_b32 v6, v14, v6, 0xc0c0105
	v_or_b32_e32 v33, v33, v34
	v_perm_b32 v14, v18, v36, 0xc0c0105
	v_dot4_i32_iu8 v0, v16, v0, v5 neg_lo:[1,1,0]
	v_lshlrev_b16 v16, 8, v20
	v_lshlrev_b16 v19, 8, v19
	v_xor_b32_e32 v15, v15, v33
	v_lshl_or_b32 v5, v14, 16, v6
	v_and_b32_e32 v14, 0x8040201, v17
	v_lshrrev_b32_e32 v18, 18, v17
	v_and_b32_e32 v32, 0x80402010, v17
	v_and_b32_e32 v6, 0xffffff00, v15
	v_dot4_i32_iu8 v0, v5, v1, v0 neg_lo:[1,1,0]
	v_lshlrev_b16 v5, 8, v15
	v_bfe_i32 v20, v17, 0, 1
	v_bfe_i32 v18, v18, 0, 1
	v_sub_nc_i16 v1, v6, v21 clamp
	v_lshrrev_b16 v6, 8, v14
	v_lshrrev_b32_e32 v14, 24, v14
	v_lshrrev_b16 v34, 8, v32
	v_and_b32_e32 v21, 0xff, v20
	v_sub_nc_i16 v5, v5, v16 clamp
	v_cmp_ne_u16_e32 vcc_lo, 0, v6
	v_and_b32_e32 v16, 0xff, v18
	v_lshrrev_b16 v33, 4, v32
	v_lshrrev_b32_e32 v32, 24, v32
	v_perm_b32 v1, v5, v1, 0xc0c0105
	s_wait_alu 0xfffd
	v_cndmask_b32_e64 v6, 0, -1, vcc_lo
	v_cmp_ne_u16_e32 vcc_lo, 0, v14
	v_lshrrev_b32_e32 v17, 22, v17
	v_bfe_i32 v33, v33, 0, 1
	v_lshrrev_b32_e32 v15, 16, v15
	v_lshlrev_b16 v6, 8, v6
	s_wait_alu 0xfffd
	v_cndmask_b32_e64 v14, 0, -1, vcc_lo
	v_cmp_ne_u16_e32 vcc_lo, 0, v34
	v_bfe_i32 v17, v17, 0, 1
	v_lshlrev_b16 v20, 8, v20
	v_or_b32_e32 v21, v21, v6
	v_lshlrev_b16 v14, 8, v14
	s_wait_alu 0xfffd
	v_cndmask_b32_e64 v34, 0, -1, vcc_lo
	v_cmp_ne_u16_e32 vcc_lo, 0, v32
	v_and_b32_e32 v35, 0xff, v17
	v_and_b32_e32 v21, 0xffff, v21
	v_or_b32_e32 v5, v16, v14
	v_lshlrev_b16 v34, 8, v34
	s_wait_alu 0xfffd
	v_cndmask_b32_e64 v32, 0, -1, vcc_lo
	v_and_b32_e32 v16, 0xffffff00, v15
	v_lshlrev_b16 v15, 8, v15
	v_lshlrev_b32_e32 v5, 16, v5
	v_lshlrev_b16 v17, 8, v17
	v_lshlrev_b16 v32, 8, v32
	v_sub_nc_i16 v7, v16, v7 clamp
	v_sub_nc_i16 v15, v15, v19 clamp
	v_or_b32_e32 v5, v21, v5
	v_and_b32_e32 v21, 0xff, v33
	v_cmp_le_u32_e32 vcc_lo, s15, v29
	s_delay_alu instid0(VALU_DEP_4)
	v_perm_b32 v7, v15, v7, 0xc0c0105
	s_wait_loadcnt 0x0
	v_xor_b32_e32 v5, v12, v5
	v_or_b32_e32 v12, v21, v34
	v_or_b32_e32 v21, v35, v32
	s_or_b32 s13, vcc_lo, s13
	v_lshl_or_b32 v1, v7, 16, v1
	v_and_b32_e32 v16, 0xffffff00, v5
	v_and_b32_e32 v12, 0xffff, v12
	v_lshlrev_b32_e32 v19, 16, v21
	v_lshlrev_b16 v21, 8, v5
	v_lshrrev_b32_e32 v5, 16, v5
	v_sub_nc_i16 v6, v16, v6 clamp
	v_dot4_i32_iu8 v0, v1, v2, v0 neg_lo:[1,1,0]
	v_or_b32_e32 v12, v12, v19
	v_sub_nc_i16 v15, v21, v20 clamp
	v_and_b32_e32 v16, 0xffffff00, v5
	v_lshlrev_b16 v5, 8, v5
	s_delay_alu instid0(VALU_DEP_4) | instskip(SKIP_1) | instid1(VALU_DEP_4)
	v_xor_b32_e32 v12, v13, v12
	v_lshlrev_b16 v13, 8, v18
	v_sub_nc_i16 v7, v16, v14 clamp
	v_perm_b32 v6, v15, v6, 0xc0c0105
	v_lshlrev_b16 v15, 8, v33
	v_lshrrev_b32_e32 v14, 16, v12
	v_sub_nc_i16 v5, v5, v13 clamp
	v_and_b32_e32 v13, 0xffffff00, v12
	v_lshlrev_b16 v12, 8, v12
	s_delay_alu instid0(VALU_DEP_4)
	v_and_b32_e32 v16, 0xffffff00, v14
	v_lshlrev_b16 v14, 8, v14
	v_perm_b32 v5, v5, v7, 0xc0c0105
	v_sub_nc_i16 v7, v13, v34 clamp
	v_sub_nc_i16 v12, v12, v15 clamp
	;; [unrolled: 1-line block ×4, first 2 shown]
	v_lshl_or_b32 v1, v5, 16, v6
	s_delay_alu instid0(VALU_DEP_4) | instskip(NEXT) | instid1(VALU_DEP_3)
	v_perm_b32 v2, v12, v7, 0xc0c0105
	v_perm_b32 v5, v14, v13, 0xc0c0105
	s_delay_alu instid0(VALU_DEP_3) | instskip(NEXT) | instid1(VALU_DEP_2)
	v_dot4_i32_iu8 v0, v1, v3, v0 neg_lo:[1,1,0]
	v_lshl_or_b32 v1, v5, 16, v2
	v_lshrrev_b32_e32 v2, 27, v11
	s_delay_alu instid0(VALU_DEP_2) | instskip(NEXT) | instid1(VALU_DEP_2)
	v_dot4_i32_iu8 v0, v1, v10, v0 neg_lo:[1,1,0]
	v_or_b32_e32 v1, 1, v2
	s_delay_alu instid0(VALU_DEP_1) | instskip(NEXT) | instid1(VALU_DEP_1)
	v_mul_lo_u32 v0, v0, v1
	v_ashrrev_i32_e32 v1, 31, v0
	s_delay_alu instid0(VALU_DEP_1) | instskip(NEXT) | instid1(VALU_DEP_1)
	v_lshrrev_b32_e32 v1, 29, v1
	v_add_nc_u32_e32 v0, v0, v1
	v_cvt_f32_f16_e32 v1, v31
	s_delay_alu instid0(VALU_DEP_2) | instskip(NEXT) | instid1(VALU_DEP_2)
	v_ashrrev_i32_e32 v0, 3, v0
	v_mul_f32_e32 v1, v1, v4
	s_delay_alu instid0(VALU_DEP_2) | instskip(NEXT) | instid1(VALU_DEP_1)
	v_cvt_f32_i32_e32 v0, v0
	v_fmac_f32_e32 v28, v1, v0
	s_and_not1_b32 exec_lo, exec_lo, s13
	s_cbranch_execz .LBB157_14
.LBB157_12:                             ; =>This Inner Loop Header: Depth=1
	v_add_nc_u32_e32 v20, s7, v29
	s_getpc_b64 s[4:5]
	s_wait_alu 0xfffe
	s_sext_i32_i16 s5, s5
	s_add_co_u32 s4, s4, _ZL11iq2xxs_grid@rel32@lo+12
	s_wait_alu 0xfffe
	s_add_co_ci_u32 s5, s5, _ZL11iq2xxs_grid@rel32@hi+24
	v_mad_co_i64_i32 v[0:1], null, 0x42, v20, s[8:9]
	s_delay_alu instid0(VALU_DEP_1) | instskip(SKIP_1) | instid1(VALU_DEP_2)
	v_add_co_u32 v2, vcc_lo, v0, v30
	s_wait_alu 0xfffd
	v_add_co_ci_u32_e64 v3, null, 0, v1, vcc_lo
	s_and_not1_b32 vcc_lo, exec_lo, s14
	s_clause 0x1
	global_load_u16 v31, v[0:1], off
	global_load_b64 v[10:11], v[2:3], off offset:2
	s_clause 0x1
	global_load_b128 v[4:7], v[8:9], off offset:-32
	global_load_b128 v[0:3], v[8:9], off offset:-16
	s_wait_loadcnt 0x1
	v_cvt_f32_f16_e32 v4, v4
	v_and_b32_e32 v12, 0xff, v10
	v_lshrrev_b32_e32 v13, 5, v10
	v_lshrrev_b32_e32 v14, 13, v10
	;; [unrolled: 1-line block ×3, first 2 shown]
	s_delay_alu instid0(VALU_DEP_4) | instskip(NEXT) | instid1(VALU_DEP_4)
	v_lshlrev_b32_e32 v12, 3, v12
	v_and_b32_e32 v13, 0x7f8, v13
	s_delay_alu instid0(VALU_DEP_4) | instskip(NEXT) | instid1(VALU_DEP_4)
	v_and_b32_e32 v14, 0x7f8, v14
	v_and_b32_e32 v21, 0x7f8, v10
	global_load_b32 v10, v[8:9], off
	s_clause 0x3
	global_load_b64 v[18:19], v12, s[4:5]
	global_load_b64 v[16:17], v13, s[4:5]
	global_load_b64 v[14:15], v14, s[4:5]
	global_load_b64 v[12:13], v21, s[4:5]
	s_wait_alu 0xfffe
	s_cbranch_vccnz .LBB157_11
; %bb.13:                               ;   in Loop: Header=BB157_12 Depth=1
	v_mad_co_i64_i32 v[32:33], null, 0x42, v20, s[16:17]
	s_delay_alu instid0(VALU_DEP_1) | instskip(SKIP_1) | instid1(VALU_DEP_2)
	v_add_co_u32 v20, vcc_lo, v32, v30
	s_wait_alu 0xfffd
	v_add_co_ci_u32_e64 v21, null, 0, v33, vcc_lo
	s_clause 0x1
	global_load_b64 v[20:21], v[20:21], off offset:2
	global_load_u16 v40, v[32:33], off
	s_wait_loadcnt 0x1
	v_and_b32_e32 v32, 0xff, v20
	v_lshrrev_b32_e32 v33, 5, v20
	v_lshrrev_b32_e32 v34, 13, v20
	;; [unrolled: 1-line block ×3, first 2 shown]
	v_bfe_u32 v43, v21, 14, 8
	v_lshlrev_b32_e32 v32, 3, v32
	v_and_b32_e32 v35, 0x7f8, v33
	v_and_b32_e32 v36, 0x7f8, v34
	;; [unrolled: 1-line block ×3, first 2 shown]
	v_bfe_u32 v44, v21, 21, 8
	s_clause 0x3
	global_load_b64 v[32:33], v32, s[4:5]
	global_load_b64 v[34:35], v35, s[4:5]
	;; [unrolled: 1-line block ×4, first 2 shown]
	v_and_b32_e32 v20, 0xff, v21
	v_bcnt_u32_b32 v46, v43, 0
	v_bcnt_u32_b32 v47, v44, 0
	v_bfe_u32 v41, v21, 7, 8
	v_lshrrev_b32_e32 v21, 27, v21
	v_bcnt_u32_b32 v42, v20, 0
	v_and_b32_e32 v46, 1, v46
	v_and_b32_e32 v47, 1, v47
	v_bcnt_u32_b32 v45, v41, 0
	v_or_b32_e32 v21, 1, v21
	v_and_b32_e32 v42, 1, v42
	s_delay_alu instid0(VALU_DEP_3) | instskip(NEXT) | instid1(VALU_DEP_2)
	v_and_b32_e32 v45, 1, v45
	v_lshlrev_b32_e32 v42, 7, v42
	s_delay_alu instid0(VALU_DEP_2) | instskip(NEXT) | instid1(VALU_DEP_2)
	v_lshlrev_b32_e32 v45, 7, v45
	v_xor_b32_e32 v20, v42, v20
	v_lshlrev_b32_e32 v42, 7, v46
	v_lshlrev_b32_e32 v46, 7, v47
	s_delay_alu instid0(VALU_DEP_4) | instskip(NEXT) | instid1(VALU_DEP_4)
	v_xor_b32_e32 v41, v45, v41
	v_mul_lo_u32 v20, 0x1010101, v20
	s_delay_alu instid0(VALU_DEP_4) | instskip(NEXT) | instid1(VALU_DEP_4)
	v_xor_b32_e32 v42, v42, v43
	v_xor_b32_e32 v43, v46, v44
	s_delay_alu instid0(VALU_DEP_4) | instskip(NEXT) | instid1(VALU_DEP_3)
	v_mul_lo_u32 v41, 0x1010101, v41
	v_mul_lo_u32 v42, 0x1010101, v42
	s_delay_alu instid0(VALU_DEP_3)
	v_mul_lo_u32 v43, 0x1010101, v43
	v_and_b32_e32 v44, 0x8040201, v20
	v_and_b32_e32 v47, 0x80402010, v20
	v_lshrrev_b32_e32 v45, 18, v20
	v_and_b32_e32 v48, 0x8040201, v41
	v_and_b32_e32 v51, 0x80402010, v41
	v_lshrrev_b16 v60, 8, v44
	v_lshrrev_b32_e32 v44, 24, v44
	v_lshrrev_b16 v62, 8, v47
	v_lshrrev_b32_e32 v63, 24, v47
	v_lshrrev_b16 v64, 8, v48
	v_cmp_ne_u16_e32 vcc_lo, 0, v60
	v_lshrrev_b32_e32 v48, 24, v48
	v_lshrrev_b16 v66, 8, v51
	v_and_b32_e32 v52, 0x8040201, v42
	v_lshrrev_b32_e32 v67, 24, v51
	s_wait_alu 0xfffd
	v_cndmask_b32_e64 v60, 0, -1, vcc_lo
	v_cmp_ne_u16_e32 vcc_lo, 0, v44
	v_and_b32_e32 v55, 0x80402010, v42
	v_lshrrev_b16 v68, 8, v52
	v_lshrrev_b32_e32 v52, 24, v52
	v_and_b32_e32 v56, 0x8040201, v43
	s_wait_alu 0xfffd
	v_cndmask_b32_e64 v44, 0, -1, vcc_lo
	v_cmp_ne_u16_e32 vcc_lo, 0, v62
	v_lshrrev_b16 v70, 8, v55
	v_lshrrev_b32_e32 v71, 24, v55
	v_lshrrev_b16 v72, 8, v56
	v_bfe_i32 v46, v20, 0, 1
	s_wait_alu 0xfffd
	v_cndmask_b32_e64 v62, 0, -1, vcc_lo
	v_cmp_ne_u16_e32 vcc_lo, 0, v63
	v_lshrrev_b32_e32 v20, 22, v20
	v_lshrrev_b32_e32 v49, 18, v41
	v_and_b32_e32 v59, 0x80402010, v43
	v_bfe_i32 v45, v45, 0, 1
	s_wait_alu 0xfffd
	v_cndmask_b32_e64 v63, 0, -1, vcc_lo
	v_cmp_ne_u16_e32 vcc_lo, 0, v64
	v_lshrrev_b16 v47, 4, v47
	v_lshrrev_b32_e32 v56, 24, v56
	v_bfe_i32 v50, v41, 0, 1
	v_lshrrev_b32_e32 v53, 18, v42
	s_wait_alu 0xfffd
	v_cndmask_b32_e64 v64, 0, -1, vcc_lo
	v_cmp_ne_u16_e32 vcc_lo, 0, v48
	v_lshrrev_b32_e32 v57, 18, v43
	v_and_b32_e32 v61, 0xff, v46
	v_bfe_i32 v20, v20, 0, 1
	v_bfe_i32 v49, v49, 0, 1
	s_wait_alu 0xfffd
	v_cndmask_b32_e64 v48, 0, -1, vcc_lo
	v_cmp_ne_u16_e32 vcc_lo, 0, v66
	v_lshrrev_b16 v74, 8, v59
	v_and_b32_e32 v76, 0xff, v45
	v_bfe_i32 v47, v47, 0, 1
	v_lshlrev_b16 v60, 8, v60
	s_wait_alu 0xfffd
	v_cndmask_b32_e64 v66, 0, -1, vcc_lo
	v_cmp_ne_u16_e32 vcc_lo, 0, v67
	v_lshlrev_b16 v44, 8, v44
	v_lshrrev_b32_e32 v41, 22, v41
	v_bfe_i32 v54, v42, 0, 1
	v_bfe_i32 v58, v43, 0, 1
	s_wait_alu 0xfffd
	v_cndmask_b32_e64 v67, 0, -1, vcc_lo
	v_cmp_ne_u16_e32 vcc_lo, 0, v68
	v_and_b32_e32 v65, 0xff, v50
	v_lshrrev_b16 v51, 4, v51
	v_bfe_i32 v53, v53, 0, 1
	v_bfe_i32 v57, v57, 0, 1
	s_wait_alu 0xfffd
	v_cndmask_b32_e64 v68, 0, -1, vcc_lo
	v_cmp_ne_u16_e32 vcc_lo, 0, v52
	v_lshrrev_b32_e32 v75, 24, v59
	v_and_b32_e32 v77, 0xff, v20
	v_and_b32_e32 v78, 0xff, v49
	;; [unrolled: 1-line block ×3, first 2 shown]
	s_wait_alu 0xfffd
	v_cndmask_b32_e64 v52, 0, -1, vcc_lo
	v_cmp_ne_u16_e32 vcc_lo, 0, v70
	v_lshlrev_b16 v62, 8, v62
	v_lshlrev_b16 v63, 8, v63
	;; [unrolled: 1-line block ×4, first 2 shown]
	s_wait_alu 0xfffd
	v_cndmask_b32_e64 v70, 0, -1, vcc_lo
	v_cmp_ne_u16_e32 vcc_lo, 0, v71
	v_or_b32_e32 v61, v61, v60
	v_or_b32_e32 v76, v76, v44
	v_lshrrev_b32_e32 v42, 22, v42
	v_lshrrev_b32_e32 v43, 22, v43
	s_wait_alu 0xfffd
	v_cndmask_b32_e64 v71, 0, -1, vcc_lo
	v_cmp_ne_u16_e32 vcc_lo, 0, v72
	v_bfe_i32 v41, v41, 0, 1
	v_and_b32_e32 v69, 0xff, v54
	v_lshrrev_b16 v55, 4, v55
	v_and_b32_e32 v73, 0xff, v58
	s_wait_alu 0xfffd
	v_cndmask_b32_e64 v72, 0, -1, vcc_lo
	v_cmp_ne_u16_e32 vcc_lo, 0, v56
	v_lshrrev_b16 v59, 4, v59
	v_bfe_i32 v51, v51, 0, 1
	v_and_b32_e32 v80, 0xff, v53
	v_and_b32_e32 v82, 0xff, v57
	s_wait_alu 0xfffd
	v_cndmask_b32_e64 v56, 0, -1, vcc_lo
	v_cmp_ne_u16_e32 vcc_lo, 0, v74
	v_lshlrev_b16 v68, 8, v68
	v_lshlrev_b16 v52, 8, v52
	;; [unrolled: 1-line block ×4, first 2 shown]
	s_wait_alu 0xfffd
	v_cndmask_b32_e64 v74, 0, -1, vcc_lo
	v_cmp_ne_u16_e32 vcc_lo, 0, v75
	v_or_b32_e32 v84, v84, v62
	v_or_b32_e32 v77, v77, v63
	;; [unrolled: 1-line block ×4, first 2 shown]
	v_and_b32_e32 v61, 0xffff, v61
	v_lshlrev_b32_e32 v76, 16, v76
	v_bfe_i32 v42, v42, 0, 1
	v_bfe_i32 v43, v43, 0, 1
	v_and_b32_e32 v79, 0xff, v41
	v_bfe_i32 v55, v55, 0, 1
	v_bfe_i32 v59, v59, 0, 1
	s_wait_alu 0xfffd
	v_cndmask_b32_e64 v75, 0, -1, vcc_lo
	v_and_b32_e32 v85, 0xff, v51
	v_lshlrev_b16 v66, 8, v66
	v_lshlrev_b16 v67, 8, v67
	v_or_b32_e32 v69, v69, v68
	v_or_b32_e32 v80, v80, v52
	v_or_b32_e32 v73, v73, v72
	v_or_b32_e32 v82, v82, v56
	v_and_b32_e32 v84, 0xffff, v84
	v_lshlrev_b32_e32 v77, 16, v77
	v_and_b32_e32 v65, 0xffff, v65
	v_lshlrev_b32_e32 v78, 16, v78
	v_or_b32_e32 v61, v61, v76
	v_and_b32_e32 v81, 0xff, v42
	v_and_b32_e32 v83, 0xff, v43
	;; [unrolled: 1-line block ×3, first 2 shown]
	v_lshlrev_b16 v70, 8, v70
	v_lshlrev_b16 v71, 8, v71
	v_and_b32_e32 v87, 0xff, v59
	v_lshlrev_b16 v74, 8, v74
	v_lshlrev_b16 v75, 8, v75
	v_or_b32_e32 v85, v85, v66
	v_or_b32_e32 v79, v79, v67
	v_and_b32_e32 v69, 0xffff, v69
	v_lshlrev_b32_e32 v80, 16, v80
	v_and_b32_e32 v73, 0xffff, v73
	v_lshlrev_b32_e32 v82, 16, v82
	v_or_b32_e32 v76, v84, v77
	v_or_b32_e32 v65, v65, v78
	v_lshlrev_b16 v46, 8, v46
	v_or_b32_e32 v86, v86, v70
	v_or_b32_e32 v81, v81, v71
	;; [unrolled: 1-line block ×4, first 2 shown]
	v_and_b32_e32 v85, 0xffff, v85
	v_lshlrev_b32_e32 v79, 16, v79
	v_or_b32_e32 v69, v69, v80
	v_or_b32_e32 v73, v73, v82
	v_lshlrev_b16 v45, 8, v45
	v_lshlrev_b16 v47, 8, v47
	v_and_b32_e32 v86, 0xffff, v86
	v_lshlrev_b32_e32 v81, 16, v81
	v_and_b32_e32 v87, 0xffff, v87
	v_lshlrev_b32_e32 v83, 16, v83
	v_or_b32_e32 v77, v85, v79
	v_lshlrev_b16 v50, 8, v50
	v_lshlrev_b16 v20, 8, v20
	v_or_b32_e32 v78, v86, v81
	v_or_b32_e32 v79, v87, v83
	v_lshlrev_b16 v49, 8, v49
	v_lshlrev_b16 v51, 8, v51
	;; [unrolled: 1-line block ×11, first 2 shown]
	s_wait_loadcnt 0x2
	v_xor_b32_e32 v34, v34, v65
	v_xor_b32_e32 v32, v32, v61
	v_xor_b32_e32 v33, v33, v76
	s_wait_loadcnt 0x1
	v_xor_b32_e32 v36, v36, v69
	s_wait_loadcnt 0x0
	v_xor_b32_e32 v38, v38, v73
	v_xor_b32_e32 v35, v35, v77
	v_lshrrev_b32_e32 v61, 16, v32
	v_and_b32_e32 v65, 0xffffff00, v32
	v_lshlrev_b16 v32, 8, v32
	v_lshrrev_b32_e32 v69, 16, v33
	v_and_b32_e32 v73, 0xffffff00, v33
	v_lshlrev_b16 v33, 8, v33
	v_lshrrev_b32_e32 v76, 16, v34
	v_sub_nc_i16 v32, v32, v46 clamp
	v_and_b32_e32 v46, 0xffffff00, v61
	v_lshlrev_b16 v61, 8, v61
	v_and_b32_e32 v77, 0xffffff00, v34
	v_lshlrev_b16 v34, 8, v34
	v_sub_nc_i16 v60, v65, v60 clamp
	v_sub_nc_i16 v33, v33, v47 clamp
	v_and_b32_e32 v47, 0xffffff00, v69
	v_lshlrev_b16 v65, 8, v69
	v_sub_nc_i16 v44, v46, v44 clamp
	v_sub_nc_i16 v45, v61, v45 clamp
	v_xor_b32_e32 v37, v37, v78
	v_xor_b32_e32 v39, v39, v79
	v_lshrrev_b32_e32 v78, 16, v35
	v_and_b32_e32 v79, 0xffffff00, v35
	v_lshlrev_b16 v35, 8, v35
	v_sub_nc_i16 v62, v73, v62 clamp
	v_sub_nc_i16 v34, v34, v50 clamp
	v_and_b32_e32 v50, 0xffffff00, v76
	v_lshlrev_b16 v69, 8, v76
	v_perm_b32 v32, v32, v60, 0xc0c0105
	v_sub_nc_i16 v46, v47, v63 clamp
	v_sub_nc_i16 v20, v65, v20 clamp
	v_perm_b32 v44, v45, v44, 0xc0c0105
	v_lshrrev_b32_e32 v80, 16, v36
	v_and_b32_e32 v81, 0xffffff00, v36
	v_lshlrev_b16 v36, 8, v36
	v_sub_nc_i16 v64, v77, v64 clamp
	v_sub_nc_i16 v35, v35, v51 clamp
	v_and_b32_e32 v51, 0xffffff00, v78
	v_lshlrev_b16 v73, 8, v78
	v_perm_b32 v33, v33, v62, 0xc0c0105
	v_sub_nc_i16 v47, v50, v48 clamp
	v_sub_nc_i16 v48, v69, v49 clamp
	v_perm_b32 v20, v20, v46, 0xc0c0105
	v_lshl_or_b32 v32, v44, 16, v32
	v_lshrrev_b32_e32 v82, 16, v37
	v_and_b32_e32 v83, 0xffffff00, v37
	v_lshlrev_b16 v37, 8, v37
	v_sub_nc_i16 v66, v79, v66 clamp
	v_sub_nc_i16 v36, v36, v54 clamp
	v_and_b32_e32 v54, 0xffffff00, v80
	v_lshlrev_b16 v76, 8, v80
	v_perm_b32 v34, v34, v64, 0xc0c0105
	v_sub_nc_i16 v45, v51, v67 clamp
	v_sub_nc_i16 v41, v73, v41 clamp
	v_perm_b32 v47, v48, v47, 0xc0c0105
	v_lshl_or_b32 v20, v20, 16, v33
	v_dot4_i32_iu8 v32, v32, v5, 0 neg_lo:[1,1,0]
	v_lshrrev_b32_e32 v84, 16, v38
	v_and_b32_e32 v85, 0xffffff00, v38
	v_lshlrev_b16 v38, 8, v38
	v_sub_nc_i16 v68, v81, v68 clamp
	v_sub_nc_i16 v70, v83, v70 clamp
	;; [unrolled: 1-line block ×3, first 2 shown]
	v_and_b32_e32 v55, 0xffffff00, v82
	v_lshlrev_b16 v77, 8, v82
	v_perm_b32 v35, v35, v66, 0xc0c0105
	v_sub_nc_i16 v44, v54, v52 clamp
	v_sub_nc_i16 v46, v76, v53 clamp
	v_perm_b32 v41, v41, v45, 0xc0c0105
	v_lshl_or_b32 v34, v47, 16, v34
	v_dot4_i32_iu8 v20, v20, v6, v32 neg_lo:[1,1,0]
	v_lshrrev_b32_e32 v86, 16, v39
	v_and_b32_e32 v87, 0xffffff00, v39
	v_lshlrev_b16 v39, 8, v39
	v_sub_nc_i16 v38, v38, v58 clamp
	v_and_b32_e32 v58, 0xffffff00, v84
	v_lshlrev_b16 v78, 8, v84
	v_perm_b32 v36, v36, v68, 0xc0c0105
	v_perm_b32 v33, v37, v70, 0xc0c0105
	v_sub_nc_i16 v37, v55, v71 clamp
	v_sub_nc_i16 v32, v77, v42 clamp
	v_perm_b32 v42, v46, v44, 0xc0c0105
	v_lshl_or_b32 v35, v41, 16, v35
	v_dot4_i32_iu8 v20, v34, v7, v20 neg_lo:[1,1,0]
	v_sub_nc_i16 v72, v85, v72 clamp
	v_sub_nc_i16 v39, v39, v59 clamp
	v_and_b32_e32 v59, 0xffffff00, v86
	v_lshlrev_b16 v79, 8, v86
	v_sub_nc_i16 v34, v58, v56 clamp
	v_sub_nc_i16 v41, v78, v57 clamp
	v_perm_b32 v32, v32, v37, 0xc0c0105
	v_lshl_or_b32 v36, v42, 16, v36
	v_dot4_i32_iu8 v20, v35, v0, v20 neg_lo:[1,1,0]
	v_sub_nc_i16 v74, v87, v74 clamp
	v_perm_b32 v38, v38, v72, 0xc0c0105
	v_sub_nc_i16 v35, v59, v75 clamp
	v_sub_nc_i16 v37, v79, v43 clamp
	v_perm_b32 v34, v41, v34, 0xc0c0105
	v_lshl_or_b32 v32, v32, 16, v33
	v_dot4_i32_iu8 v20, v36, v1, v20 neg_lo:[1,1,0]
	v_perm_b32 v33, v39, v74, 0xc0c0105
	v_perm_b32 v35, v37, v35, 0xc0c0105
	v_lshl_or_b32 v34, v34, 16, v38
	s_delay_alu instid0(VALU_DEP_4) | instskip(NEXT) | instid1(VALU_DEP_3)
	v_dot4_i32_iu8 v20, v32, v2, v20 neg_lo:[1,1,0]
	v_lshl_or_b32 v32, v35, 16, v33
	s_delay_alu instid0(VALU_DEP_2) | instskip(NEXT) | instid1(VALU_DEP_1)
	v_dot4_i32_iu8 v20, v34, v3, v20 neg_lo:[1,1,0]
	v_dot4_i32_iu8 v20, v32, v10, v20 neg_lo:[1,1,0]
	s_delay_alu instid0(VALU_DEP_1) | instskip(NEXT) | instid1(VALU_DEP_1)
	v_mul_lo_u32 v20, v20, v21
	v_ashrrev_i32_e32 v21, 31, v20
	s_delay_alu instid0(VALU_DEP_1) | instskip(NEXT) | instid1(VALU_DEP_1)
	v_lshrrev_b32_e32 v21, 29, v21
	v_add_nc_u32_e32 v20, v20, v21
	v_cvt_f32_f16_e32 v21, v40
	s_delay_alu instid0(VALU_DEP_2) | instskip(NEXT) | instid1(VALU_DEP_2)
	v_ashrrev_i32_e32 v20, 3, v20
	v_mul_f32_e32 v21, v4, v21
	s_delay_alu instid0(VALU_DEP_2) | instskip(NEXT) | instid1(VALU_DEP_1)
	v_cvt_f32_i32_e32 v20, v20
	v_fmac_f32_e32 v27, v21, v20
	s_branch .LBB157_11
.LBB157_14:
	s_or_b32 exec_lo, exec_lo, s13
.LBB157_15:
	s_delay_alu instid0(SALU_CYCLE_1)
	s_or_b32 exec_lo, exec_lo, s18
	s_load_b32 s4, s[0:1], 0x30
	s_wait_loadcnt 0x0
	; wave barrier
	global_inv scope:SCOPE_SE
	s_mov_b32 s5, exec_lo
	v_cmpx_eq_u32_e32 0, v25
	s_cbranch_execz .LBB157_43
; %bb.16:
	v_mbcnt_lo_u32_b32 v1, -1, 0
	s_delay_alu instid0(VALU_DEP_1) | instskip(SKIP_2) | instid1(VALU_DEP_3)
	v_xor_b32_e32 v0, 16, v1
	v_xor_b32_e32 v3, 8, v1
	;; [unrolled: 1-line block ×3, first 2 shown]
	v_cmp_gt_i32_e32 vcc_lo, 32, v0
	s_wait_alu 0xfffd
	v_cndmask_b32_e32 v0, v1, v0, vcc_lo
	v_cmp_gt_i32_e32 vcc_lo, 32, v3
	s_wait_alu 0xfffd
	v_cndmask_b32_e32 v3, v1, v3, vcc_lo
	v_cmp_gt_i32_e32 vcc_lo, 32, v4
	s_delay_alu instid0(VALU_DEP_2)
	v_lshlrev_b32_e32 v3, 2, v3
	v_lshlrev_b32_e32 v0, 2, v0
	s_wait_alu 0xfffd
	v_cndmask_b32_e32 v4, v1, v4, vcc_lo
	ds_bpermute_b32 v2, v0, v28
	s_wait_dscnt 0x0
	v_add_f32_e32 v2, v28, v2
	ds_bpermute_b32 v5, v3, v2
	s_wait_dscnt 0x0
	v_add_f32_e32 v2, v2, v5
	v_xor_b32_e32 v5, 2, v1
	s_delay_alu instid0(VALU_DEP_1) | instskip(SKIP_2) | instid1(VALU_DEP_1)
	v_cmp_gt_i32_e32 vcc_lo, 32, v5
	s_wait_alu 0xfffd
	v_cndmask_b32_e32 v5, v1, v5, vcc_lo
	v_lshlrev_b32_e32 v5, 2, v5
	v_lshlrev_b32_e32 v4, 2, v4
	ds_bpermute_b32 v6, v4, v2
	s_wait_dscnt 0x0
	v_add_f32_e32 v2, v2, v6
	v_xor_b32_e32 v6, 1, v1
	ds_bpermute_b32 v7, v5, v2
	v_cmp_gt_i32_e32 vcc_lo, 32, v6
	s_wait_alu 0xfffd
	v_cndmask_b32_e32 v1, v1, v6, vcc_lo
	v_cmp_ne_u32_e32 vcc_lo, 1, v26
	s_delay_alu instid0(VALU_DEP_2)
	v_lshlrev_b32_e32 v6, 2, v1
	s_wait_dscnt 0x0
	v_add_f32_e32 v1, v2, v7
	ds_bpermute_b32 v2, v6, v1
	s_cbranch_vccnz .LBB157_18
; %bb.17:
	ds_bpermute_b32 v0, v0, v27
	s_wait_dscnt 0x0
	v_add_f32_e32 v0, v27, v0
	ds_bpermute_b32 v3, v3, v0
	s_wait_dscnt 0x0
	v_add_f32_e32 v0, v0, v3
	;; [unrolled: 3-line block ×5, first 2 shown]
.LBB157_18:
	v_cmp_eq_u32_e32 vcc_lo, 0, v22
	s_and_b32 exec_lo, exec_lo, vcc_lo
	s_cbranch_execz .LBB157_43
; %bb.19:
	s_wait_dscnt 0x0
	v_add_f32_e32 v0, v1, v2
	v_cmp_ne_u32_e32 vcc_lo, 1, v26
	s_delay_alu instid0(VALU_DEP_2) | instskip(NEXT) | instid1(VALU_DEP_1)
	v_add_f32_e32 v1, v24, v0
	v_cndmask_b32_e64 v0, v0, v1, s2
	s_cbranch_vccnz .LBB157_42
; %bb.20:
	v_add_f32_e32 v1, v23, v27
	s_wait_kmcnt 0x0
	s_cmp_lt_i32 s4, 2
	s_mov_b32 s2, 0
	s_delay_alu instid0(VALU_DEP_1)
	v_cndmask_b32_e64 v1, v27, v1, s3
	s_cbranch_scc1 .LBB157_25
; %bb.21:
	s_cmp_gt_i32 s4, 2
	s_cbranch_scc0 .LBB157_26
; %bb.22:
	s_cmp_eq_u32 s4, 3
	s_cbranch_scc0 .LBB157_27
; %bb.23:
	v_max_num_f32_e32 v2, v1, v1
	s_mov_b32 s3, 0xc0e00000
	s_delay_alu instid0(VALU_DEP_1) | instskip(NEXT) | instid1(VALU_DEP_1)
	v_min_num_f32_e32 v2, 0x40e00000, v2
	v_mul_f32_e32 v3, 0xbfd9db23, v2
	s_delay_alu instid0(VALU_DEP_1) | instskip(NEXT) | instid1(VALU_DEP_1)
	v_mul_f32_e32 v4, 0x3fb8aa3b, v3
	v_fma_f32 v5, 0x3fb8aa3b, v3, -v4
	v_rndne_f32_e32 v6, v4
	s_delay_alu instid0(VALU_DEP_1) | instskip(NEXT) | instid1(VALU_DEP_1)
	v_dual_fmamk_f32 v5, v3, 0x32a5705f, v5 :: v_dual_sub_f32 v4, v4, v6
	v_add_f32_e32 v4, v4, v5
	v_cvt_i32_f32_e32 v5, v6
	v_cmp_ngt_f32_e32 vcc_lo, 0xc2ce8ed0, v3
	s_delay_alu instid0(VALU_DEP_3) | instskip(NEXT) | instid1(TRANS32_DEP_1)
	v_exp_f32_e32 v4, v4
	v_ldexp_f32 v4, v4, v5
	s_wait_alu 0xfffd
	s_delay_alu instid0(VALU_DEP_1) | instskip(SKIP_2) | instid1(VALU_DEP_2)
	v_cndmask_b32_e32 v4, 0, v4, vcc_lo
	v_cmp_nlt_f32_e32 vcc_lo, 0x42b17218, v3
	s_wait_alu 0xfffd
	v_cndmask_b32_e32 v3, 0x7f800000, v4, vcc_lo
	s_delay_alu instid0(VALU_DEP_1) | instskip(NEXT) | instid1(VALU_DEP_1)
	v_add_f32_e32 v3, 1.0, v3
	v_div_scale_f32 v4, null, v3, v3, v2
	v_div_scale_f32 v7, vcc_lo, v2, v3, v2
	s_delay_alu instid0(VALU_DEP_2) | instskip(NEXT) | instid1(TRANS32_DEP_1)
	v_rcp_f32_e32 v5, v4
	v_fma_f32 v6, -v4, v5, 1.0
	s_delay_alu instid0(VALU_DEP_1) | instskip(NEXT) | instid1(VALU_DEP_1)
	v_fmac_f32_e32 v5, v6, v5
	v_mul_f32_e32 v6, v7, v5
	s_delay_alu instid0(VALU_DEP_1) | instskip(NEXT) | instid1(VALU_DEP_1)
	v_fma_f32 v8, -v4, v6, v7
	v_fmac_f32_e32 v6, v8, v5
	s_delay_alu instid0(VALU_DEP_1) | instskip(SKIP_1) | instid1(VALU_DEP_1)
	v_fma_f32 v4, -v4, v6, v7
	s_wait_alu 0xfffd
	v_div_fmas_f32 v4, v4, v5, v6
	s_delay_alu instid0(VALU_DEP_1) | instskip(SKIP_2) | instid1(VALU_DEP_1)
	v_div_fixup_f32 v2, v4, v3, v2
	v_max_num_f32_e32 v7, v0, v0
	s_wait_alu 0xfffe
	v_minmax_num_f32 v5, v7, 0x40e00000, s3
	s_mov_b32 s3, 0
	s_delay_alu instid0(VALU_DEP_1) | instskip(NEXT) | instid1(VALU_DEP_1)
	v_add_f32_e32 v3, 1.0, v5
	v_mul_f32_e32 v2, v3, v2
	s_branch .LBB157_28
.LBB157_24:
                                        ; implicit-def: $sgpr28
	s_clause 0x1
	s_load_b32 s30, s[0:1], 0x50
	s_load_b32 s29, s[0:1], 0x78
	s_branch .LBB157_2
.LBB157_25:
	s_mov_b32 s3, 0
                                        ; implicit-def: $vgpr2
	s_cbranch_execnz .LBB157_32
	s_branch .LBB157_33
.LBB157_26:
	s_mov_b32 s5, -1
	s_mov_b32 s3, 0
                                        ; implicit-def: $vgpr2
	s_branch .LBB157_29
.LBB157_27:
	s_mov_b32 s3, -1
                                        ; implicit-def: $vgpr2
.LBB157_28:
	s_mov_b32 s5, 0
.LBB157_29:
	s_wait_alu 0xfffe
	s_and_b32 vcc_lo, exec_lo, s5
	s_wait_alu 0xfffe
	s_cbranch_vccz .LBB157_31
; %bb.30:
	v_mul_f32_e32 v2, 0xbfb8aa3b, v1
	v_cmp_nlt_f32_e32 vcc_lo, 0x42ce8ed0, v1
	s_delay_alu instid0(VALU_DEP_2) | instskip(SKIP_1) | instid1(VALU_DEP_2)
	v_rndne_f32_e32 v3, v2
	v_fma_f32 v4, 0xbfb8aa3b, v1, -v2
	v_sub_f32_e32 v2, v2, v3
	s_delay_alu instid0(VALU_DEP_2) | instskip(SKIP_1) | instid1(VALU_DEP_2)
	v_fmamk_f32 v4, v1, 0xb2a5705f, v4
	v_cvt_i32_f32_e32 v3, v3
	v_add_f32_e32 v2, v2, v4
	s_delay_alu instid0(VALU_DEP_1) | instskip(NEXT) | instid1(TRANS32_DEP_1)
	v_exp_f32_e32 v2, v2
	v_ldexp_f32 v2, v2, v3
	s_wait_alu 0xfffd
	s_delay_alu instid0(VALU_DEP_1) | instskip(SKIP_2) | instid1(VALU_DEP_2)
	v_cndmask_b32_e32 v2, 0, v2, vcc_lo
	v_cmp_ngt_f32_e32 vcc_lo, 0xc2b17218, v1
	s_wait_alu 0xfffd
	v_cndmask_b32_e32 v2, 0x7f800000, v2, vcc_lo
	s_delay_alu instid0(VALU_DEP_1) | instskip(NEXT) | instid1(VALU_DEP_1)
	v_add_f32_e32 v2, 1.0, v2
	v_div_scale_f32 v3, null, v2, v2, v1
	s_delay_alu instid0(VALU_DEP_1) | instskip(NEXT) | instid1(TRANS32_DEP_1)
	v_rcp_f32_e32 v4, v3
	v_fma_f32 v5, -v3, v4, 1.0
	s_delay_alu instid0(VALU_DEP_1) | instskip(SKIP_1) | instid1(VALU_DEP_1)
	v_fmac_f32_e32 v4, v5, v4
	v_div_scale_f32 v5, vcc_lo, v1, v2, v1
	v_mul_f32_e32 v6, v5, v4
	s_delay_alu instid0(VALU_DEP_1) | instskip(NEXT) | instid1(VALU_DEP_1)
	v_fma_f32 v7, -v3, v6, v5
	v_fmac_f32_e32 v6, v7, v4
	s_delay_alu instid0(VALU_DEP_1) | instskip(SKIP_1) | instid1(VALU_DEP_1)
	v_fma_f32 v3, -v3, v6, v5
	s_wait_alu 0xfffd
	v_div_fmas_f32 v3, v3, v4, v6
	s_delay_alu instid0(VALU_DEP_1) | instskip(NEXT) | instid1(VALU_DEP_1)
	v_div_fixup_f32 v2, v3, v2, v1
	v_mul_f32_e32 v2, v0, v2
.LBB157_31:
	s_branch .LBB157_33
.LBB157_32:
	s_cmp_lg_u32 s4, 1
	s_mov_b32 s2, -1
	s_cselect_b32 s3, -1, 0
.LBB157_33:
	s_wait_alu 0xfffe
	s_and_not1_b32 vcc_lo, exec_lo, s3
	s_wait_alu 0xfffe
	s_cbranch_vccz .LBB157_35
; %bb.34:
	s_and_not1_b32 vcc_lo, exec_lo, s2
	s_wait_alu 0xfffe
	s_cbranch_vccz .LBB157_36
	s_branch .LBB157_41
.LBB157_35:
	v_mul_f32_e32 v2, v1, v0
	s_cbranch_execnz .LBB157_41
.LBB157_36:
	v_mul_f32_e32 v2, 0x3d372713, v1
	v_mul_f32_e32 v3, 0x3f4c422a, v1
	s_delay_alu instid0(VALU_DEP_2) | instskip(NEXT) | instid1(VALU_DEP_1)
	v_fma_f32 v2, v1, v2, 1.0
	v_mul_f32_e32 v2, v3, v2
                                        ; implicit-def: $vgpr3
	s_delay_alu instid0(VALU_DEP_1)
	v_cmp_ngt_f32_e64 s2, 0x3f200000, |v2|
	s_and_saveexec_b32 s3, s2
	s_wait_alu 0xfffe
	s_xor_b32 s2, exec_lo, s3
	s_cbranch_execz .LBB157_38
; %bb.37:
	v_add_f32_e64 v3, |v2|, |v2|
	s_delay_alu instid0(VALU_DEP_1) | instskip(SKIP_1) | instid1(VALU_DEP_2)
	v_mul_f32_e32 v4, 0x3fb8aa3b, v3
	v_cmp_ngt_f32_e32 vcc_lo, 0xc2ce8ed0, v3
	v_rndne_f32_e32 v5, v4
	v_fma_f32 v6, 0x3fb8aa3b, v3, -v4
	s_delay_alu instid0(VALU_DEP_2) | instskip(NEXT) | instid1(VALU_DEP_2)
	v_sub_f32_e32 v4, v4, v5
	v_fmamk_f32 v6, v3, 0x32a5705f, v6
	v_cvt_i32_f32_e32 v5, v5
	s_delay_alu instid0(VALU_DEP_2) | instskip(NEXT) | instid1(VALU_DEP_1)
	v_add_f32_e32 v4, v4, v6
	v_exp_f32_e32 v4, v4
	s_delay_alu instid0(TRANS32_DEP_1) | instskip(SKIP_1) | instid1(VALU_DEP_1)
	v_ldexp_f32 v4, v4, v5
	s_wait_alu 0xfffd
	v_cndmask_b32_e32 v4, 0, v4, vcc_lo
	v_cmp_nlt_f32_e32 vcc_lo, 0x42b17218, v3
	s_wait_alu 0xfffd
	s_delay_alu instid0(VALU_DEP_2) | instskip(NEXT) | instid1(VALU_DEP_1)
	v_cndmask_b32_e32 v3, 0x7f800000, v4, vcc_lo
	v_add_f32_e32 v3, 1.0, v3
	s_delay_alu instid0(VALU_DEP_1) | instskip(NEXT) | instid1(TRANS32_DEP_1)
	v_rcp_f32_e32 v3, v3
	v_fma_f32 v3, v3, -2.0, 1.0
.LBB157_38:
	s_wait_alu 0xfffe
	s_and_not1_saveexec_b32 s2, s2
	s_cbranch_execz .LBB157_40
; %bb.39:
	v_mul_f32_e32 v3, v2, v2
	s_mov_b32 s3, 0xbbbac73d
	s_wait_alu 0xfffe
	s_delay_alu instid0(VALU_DEP_1) | instskip(NEXT) | instid1(VALU_DEP_1)
	v_fmaak_f32 v4, s3, v3, 0x3ca908c9
	v_fmaak_f32 v4, v3, v4, 0xbd5c1c4e
	s_delay_alu instid0(VALU_DEP_1) | instskip(NEXT) | instid1(VALU_DEP_1)
	v_fmaak_f32 v4, v3, v4, 0x3e088382
	v_fmaak_f32 v4, v3, v4, 0xbeaaaa99
	s_delay_alu instid0(VALU_DEP_1) | instskip(NEXT) | instid1(VALU_DEP_1)
	v_mul_f32_e64 v4, |v2|, v4
	v_fma_f32 v3, v3, v4, |v2|
.LBB157_40:
	s_wait_alu 0xfffe
	s_or_b32 exec_lo, exec_lo, s2
	s_delay_alu instid0(VALU_DEP_1) | instskip(NEXT) | instid1(VALU_DEP_1)
	v_bfi_b32 v2, 0x7fffffff, v3, v2
	v_dual_mul_f32 v1, 0.5, v1 :: v_dual_add_f32 v2, 1.0, v2
	s_delay_alu instid0(VALU_DEP_1) | instskip(NEXT) | instid1(VALU_DEP_1)
	v_mul_f32_e32 v1, v1, v2
	v_mul_f32_e32 v2, v0, v1
.LBB157_41:
	s_delay_alu instid0(VALU_DEP_1)
	v_mov_b32_e32 v0, v2
.LBB157_42:
	s_load_b64 s[0:1], s[0:1], 0x38
	s_mul_i32 s2, s6, s27
	s_wait_kmcnt 0x0
	s_mul_i32 s3, s26, s21
	s_wait_alu 0xfffe
	s_add_co_i32 s2, s2, ttmp9
	v_lshlrev_b32_e32 v1, 2, v22
	s_wait_alu 0xfffe
	s_add_co_i32 s2, s2, s3
	s_mov_b32 s3, 0
	s_wait_alu 0xfffe
	s_lshl_b64 s[2:3], s[2:3], 2
	s_wait_alu 0xfffe
	s_add_nc_u64 s[0:1], s[0:1], s[2:3]
	global_store_b32 v1, v0, s[0:1]
.LBB157_43:
	s_endpgm
	.section	.rodata,"a",@progbits
	.p2align	6, 0x0
	.amdhsa_kernel _ZL13mul_mat_vec_qIL9ggml_type16ELi1ELb1ELb1EEvPKvS2_PKi31ggml_cuda_mm_fusion_args_devicePfj15HIP_vector_typeIjLj3EEjjjS8_jjjS8_jjjj
		.amdhsa_group_segment_fixed_size 0
		.amdhsa_private_segment_fixed_size 0
		.amdhsa_kernarg_size 144
		.amdhsa_user_sgpr_count 2
		.amdhsa_user_sgpr_dispatch_ptr 0
		.amdhsa_user_sgpr_queue_ptr 0
		.amdhsa_user_sgpr_kernarg_segment_ptr 1
		.amdhsa_user_sgpr_dispatch_id 0
		.amdhsa_user_sgpr_private_segment_size 0
		.amdhsa_wavefront_size32 1
		.amdhsa_uses_dynamic_stack 0
		.amdhsa_enable_private_segment 0
		.amdhsa_system_sgpr_workgroup_id_x 1
		.amdhsa_system_sgpr_workgroup_id_y 1
		.amdhsa_system_sgpr_workgroup_id_z 1
		.amdhsa_system_sgpr_workgroup_info 0
		.amdhsa_system_vgpr_workitem_id 1
		.amdhsa_next_free_vgpr 88
		.amdhsa_next_free_sgpr 38
		.amdhsa_reserve_vcc 1
		.amdhsa_float_round_mode_32 0
		.amdhsa_float_round_mode_16_64 0
		.amdhsa_float_denorm_mode_32 3
		.amdhsa_float_denorm_mode_16_64 3
		.amdhsa_fp16_overflow 0
		.amdhsa_workgroup_processor_mode 1
		.amdhsa_memory_ordered 1
		.amdhsa_forward_progress 1
		.amdhsa_inst_pref_size 58
		.amdhsa_round_robin_scheduling 0
		.amdhsa_exception_fp_ieee_invalid_op 0
		.amdhsa_exception_fp_denorm_src 0
		.amdhsa_exception_fp_ieee_div_zero 0
		.amdhsa_exception_fp_ieee_overflow 0
		.amdhsa_exception_fp_ieee_underflow 0
		.amdhsa_exception_fp_ieee_inexact 0
		.amdhsa_exception_int_div_zero 0
	.end_amdhsa_kernel
	.section	.text._ZL13mul_mat_vec_qIL9ggml_type16ELi1ELb1ELb1EEvPKvS2_PKi31ggml_cuda_mm_fusion_args_devicePfj15HIP_vector_typeIjLj3EEjjjS8_jjjS8_jjjj,"axG",@progbits,_ZL13mul_mat_vec_qIL9ggml_type16ELi1ELb1ELb1EEvPKvS2_PKi31ggml_cuda_mm_fusion_args_devicePfj15HIP_vector_typeIjLj3EEjjjS8_jjjS8_jjjj,comdat
.Lfunc_end157:
	.size	_ZL13mul_mat_vec_qIL9ggml_type16ELi1ELb1ELb1EEvPKvS2_PKi31ggml_cuda_mm_fusion_args_devicePfj15HIP_vector_typeIjLj3EEjjjS8_jjjS8_jjjj, .Lfunc_end157-_ZL13mul_mat_vec_qIL9ggml_type16ELi1ELb1ELb1EEvPKvS2_PKi31ggml_cuda_mm_fusion_args_devicePfj15HIP_vector_typeIjLj3EEjjjS8_jjjS8_jjjj
                                        ; -- End function
	.set _ZL13mul_mat_vec_qIL9ggml_type16ELi1ELb1ELb1EEvPKvS2_PKi31ggml_cuda_mm_fusion_args_devicePfj15HIP_vector_typeIjLj3EEjjjS8_jjjS8_jjjj.num_vgpr, 88
	.set _ZL13mul_mat_vec_qIL9ggml_type16ELi1ELb1ELb1EEvPKvS2_PKi31ggml_cuda_mm_fusion_args_devicePfj15HIP_vector_typeIjLj3EEjjjS8_jjjS8_jjjj.num_agpr, 0
	.set _ZL13mul_mat_vec_qIL9ggml_type16ELi1ELb1ELb1EEvPKvS2_PKi31ggml_cuda_mm_fusion_args_devicePfj15HIP_vector_typeIjLj3EEjjjS8_jjjS8_jjjj.numbered_sgpr, 38
	.set _ZL13mul_mat_vec_qIL9ggml_type16ELi1ELb1ELb1EEvPKvS2_PKi31ggml_cuda_mm_fusion_args_devicePfj15HIP_vector_typeIjLj3EEjjjS8_jjjS8_jjjj.num_named_barrier, 0
	.set _ZL13mul_mat_vec_qIL9ggml_type16ELi1ELb1ELb1EEvPKvS2_PKi31ggml_cuda_mm_fusion_args_devicePfj15HIP_vector_typeIjLj3EEjjjS8_jjjS8_jjjj.private_seg_size, 0
	.set _ZL13mul_mat_vec_qIL9ggml_type16ELi1ELb1ELb1EEvPKvS2_PKi31ggml_cuda_mm_fusion_args_devicePfj15HIP_vector_typeIjLj3EEjjjS8_jjjS8_jjjj.uses_vcc, 1
	.set _ZL13mul_mat_vec_qIL9ggml_type16ELi1ELb1ELb1EEvPKvS2_PKi31ggml_cuda_mm_fusion_args_devicePfj15HIP_vector_typeIjLj3EEjjjS8_jjjS8_jjjj.uses_flat_scratch, 0
	.set _ZL13mul_mat_vec_qIL9ggml_type16ELi1ELb1ELb1EEvPKvS2_PKi31ggml_cuda_mm_fusion_args_devicePfj15HIP_vector_typeIjLj3EEjjjS8_jjjS8_jjjj.has_dyn_sized_stack, 0
	.set _ZL13mul_mat_vec_qIL9ggml_type16ELi1ELb1ELb1EEvPKvS2_PKi31ggml_cuda_mm_fusion_args_devicePfj15HIP_vector_typeIjLj3EEjjjS8_jjjS8_jjjj.has_recursion, 0
	.set _ZL13mul_mat_vec_qIL9ggml_type16ELi1ELb1ELb1EEvPKvS2_PKi31ggml_cuda_mm_fusion_args_devicePfj15HIP_vector_typeIjLj3EEjjjS8_jjjS8_jjjj.has_indirect_call, 0
	.section	.AMDGPU.csdata,"",@progbits
; Kernel info:
; codeLenInByte = 7356
; TotalNumSgprs: 40
; NumVgprs: 88
; ScratchSize: 0
; MemoryBound: 0
; FloatMode: 240
; IeeeMode: 1
; LDSByteSize: 0 bytes/workgroup (compile time only)
; SGPRBlocks: 0
; VGPRBlocks: 10
; NumSGPRsForWavesPerEU: 40
; NumVGPRsForWavesPerEU: 88
; Occupancy: 16
; WaveLimiterHint : 0
; COMPUTE_PGM_RSRC2:SCRATCH_EN: 0
; COMPUTE_PGM_RSRC2:USER_SGPR: 2
; COMPUTE_PGM_RSRC2:TRAP_HANDLER: 0
; COMPUTE_PGM_RSRC2:TGID_X_EN: 1
; COMPUTE_PGM_RSRC2:TGID_Y_EN: 1
; COMPUTE_PGM_RSRC2:TGID_Z_EN: 1
; COMPUTE_PGM_RSRC2:TIDIG_COMP_CNT: 1
	.section	.text._ZL13mul_mat_vec_qIL9ggml_type16ELi1ELb0ELb1EEvPKvS2_PKi31ggml_cuda_mm_fusion_args_devicePfj15HIP_vector_typeIjLj3EEjjjS8_jjjS8_jjjj,"axG",@progbits,_ZL13mul_mat_vec_qIL9ggml_type16ELi1ELb0ELb1EEvPKvS2_PKi31ggml_cuda_mm_fusion_args_devicePfj15HIP_vector_typeIjLj3EEjjjS8_jjjS8_jjjj,comdat
	.globl	_ZL13mul_mat_vec_qIL9ggml_type16ELi1ELb0ELb1EEvPKvS2_PKi31ggml_cuda_mm_fusion_args_devicePfj15HIP_vector_typeIjLj3EEjjjS8_jjjS8_jjjj ; -- Begin function _ZL13mul_mat_vec_qIL9ggml_type16ELi1ELb0ELb1EEvPKvS2_PKi31ggml_cuda_mm_fusion_args_devicePfj15HIP_vector_typeIjLj3EEjjjS8_jjjS8_jjjj
	.p2align	8
	.type	_ZL13mul_mat_vec_qIL9ggml_type16ELi1ELb0ELb1EEvPKvS2_PKi31ggml_cuda_mm_fusion_args_devicePfj15HIP_vector_typeIjLj3EEjjjS8_jjjS8_jjjj,@function
_ZL13mul_mat_vec_qIL9ggml_type16ELi1ELb0ELb1EEvPKvS2_PKi31ggml_cuda_mm_fusion_args_devicePfj15HIP_vector_typeIjLj3EEjjjS8_jjjS8_jjjj: ; @_ZL13mul_mat_vec_qIL9ggml_type16ELi1ELb0ELb1EEvPKvS2_PKi31ggml_cuda_mm_fusion_args_devicePfj15HIP_vector_typeIjLj3EEjjjS8_jjjS8_jjjj
; %bb.0:
	s_clause 0x1
	s_load_b64 s[2:3], s[0:1], 0x10
	s_load_b128 s[8:11], s[0:1], 0x40
	s_and_b32 s15, ttmp7, 0xffff
	s_wait_kmcnt 0x0
	s_cmp_lg_u64 s[2:3], 0
	s_cselect_b32 s12, -1, 0
	s_cmp_eq_u64 s[2:3], 0
	s_cbranch_scc1 .LBB158_13
; %bb.1:
	s_lshl_b32 s4, s15, 2
	s_load_b32 s19, s[2:3], s4 offset:0x0
	s_clause 0x1
	s_load_b128 s[4:7], s[0:1], 0x68
	s_load_b32 s20, s[0:1], 0x50
	s_cbranch_execnz .LBB158_3
.LBB158_2:
	s_load_b64 s[2:3], s[0:1], 0x5c
	s_wait_kmcnt 0x0
	s_mul_hi_u32 s2, s2, s15
	s_delay_alu instid0(SALU_CYCLE_1) | instskip(NEXT) | instid1(SALU_CYCLE_1)
	s_add_co_i32 s2, s15, s2
	s_lshr_b32 s19, s2, s3
.LBB158_3:
	s_load_b32 s21, s[0:1], 0x78
	s_and_not1_b32 vcc_lo, exec_lo, s12
	s_mov_b32 s2, s15
	s_cbranch_vccnz .LBB158_5
; %bb.4:
	s_mul_hi_u32 s2, s9, s15
	s_delay_alu instid0(SALU_CYCLE_1) | instskip(NEXT) | instid1(SALU_CYCLE_1)
	s_add_co_i32 s2, s15, s2
	s_lshr_b32 s2, s2, s10
	s_delay_alu instid0(SALU_CYCLE_1) | instskip(NEXT) | instid1(SALU_CYCLE_1)
	s_mul_i32 s2, s2, s11
	s_sub_co_i32 s2, s15, s2
.LBB158_5:
	s_load_b96 s[12:14], s[0:1], 0x80
	v_bfe_u32 v9, v0, 10, 10
	v_and_b32_e32 v8, 0x3ff, v0
	v_mov_b32_e32 v10, 0
	s_lshr_b32 s18, s8, 8
	s_lshr_b32 s16, ttmp7, 16
	s_mov_b32 s17, exec_lo
	v_lshl_or_b32 v0, v9, 5, v8
	s_delay_alu instid0(VALU_DEP_1) | instskip(NEXT) | instid1(VALU_DEP_1)
	v_lshrrev_b32_e32 v11, 3, v0
	v_cmpx_gt_u32_e64 s18, v11
	s_cbranch_execz .LBB158_9
; %bb.6:
	v_lshrrev_b32_e32 v0, 3, v0
	s_wait_kmcnt 0x0
	s_mul_i32 s2, s2, s5
	s_mov_b32 s3, 0
	v_and_b32_e32 v2, 7, v8
	s_mul_u64 s[8:9], s[2:3], 36
	s_mul_i32 s2, s13, s16
	v_mad_co_u64_u32 v[0:1], null, 0x120, v0, s[8:9]
	s_load_b128 s[8:11], s[0:1], 0x0
	v_dual_mov_b32 v10, 0 :: v_dual_lshlrev_b32 v3, 1, v8
	s_mul_i32 s20, s20, ttmp9
	v_mad_co_u64_u32 v[0:1], null, s2, 36, v[0:1]
	s_mul_hi_u32 s2, s7, s16
	s_mul_i32 s7, s19, s4
	s_wait_alu 0xfffe
	s_add_co_i32 s2, s16, s2
	s_wait_alu 0xfffe
	s_lshr_b32 s2, s2, s21
	v_mad_co_u64_u32 v[0:1], null, v2, 36, v[0:1]
	v_and_b32_e32 v2, 14, v3
	s_wait_alu 0xfffe
	s_mul_i32 s2, s2, s12
	s_wait_alu 0xfffe
	s_add_co_i32 s2, s2, s20
	v_lshlrev_b32_e32 v2, 1, v2
	s_wait_kmcnt 0x0
	v_add_co_u32 v0, vcc_lo, s10, v0
	s_delay_alu instid0(VALU_DEP_1) | instskip(NEXT) | instid1(VALU_DEP_3)
	v_add_co_ci_u32_e64 v1, null, s11, v1, vcc_lo
	v_lshlrev_b32_e32 v12, 1, v2
	s_delay_alu instid0(VALU_DEP_3) | instskip(SKIP_1) | instid1(VALU_DEP_3)
	v_add_co_u32 v4, vcc_lo, v0, 32
	s_wait_alu 0xfffd
	v_add_co_ci_u32_e64 v5, null, 0, v1, vcc_lo
	s_wait_alu 0xfffe
	s_add_co_i32 s7, s7, s2
.LBB158_7:                              ; =>This Inner Loop Header: Depth=1
	s_delay_alu instid0(SALU_CYCLE_1)
	v_add_nc_u32_e32 v0, s7, v11
	s_getpc_b64 s[4:5]
	s_sext_i32_i16 s5, s5
	s_add_co_u32 s4, s4, _ZL11iq2xxs_grid@rel32@lo+8
	s_add_co_ci_u32 s5, s5, _ZL11iq2xxs_grid@rel32@hi+16
	v_add_nc_u32_e32 v11, 4, v11
	v_mad_co_i64_i32 v[13:14], null, 0x42, v0, s[8:9]
	s_delay_alu instid0(VALU_DEP_2)
	v_cmp_le_u32_e64 s2, s18, v11
	s_or_b32 s3, s2, s3
	v_add_co_u32 v0, vcc_lo, v13, v12
	s_wait_alu 0xfffd
	v_add_co_ci_u32_e64 v1, null, 0, v14, vcc_lo
	global_load_b64 v[6:7], v[0:1], off offset:2
	global_load_b128 v[0:3], v[4:5], off offset:-32
	global_load_u16 v25, v[13:14], off
	s_wait_loadcnt 0x1
	v_cvt_f32_f16_e32 v0, v0
	v_and_b32_e32 v13, 0xff, v6
	v_lshrrev_b32_e32 v14, 5, v6
	v_lshrrev_b32_e32 v15, 13, v6
	;; [unrolled: 1-line block ×3, first 2 shown]
	v_and_b32_e32 v26, 0xff, v7
	v_lshlrev_b32_e32 v13, 3, v13
	v_and_b32_e32 v14, 0x7f8, v14
	v_and_b32_e32 v15, 0x7f8, v15
	;; [unrolled: 1-line block ×3, first 2 shown]
	s_clause 0x3
	global_load_b64 v[17:18], v13, s[4:5]
	global_load_b64 v[19:20], v14, s[4:5]
	;; [unrolled: 1-line block ×4, first 2 shown]
	s_clause 0x1
	global_load_b128 v[13:16], v[4:5], off offset:-16
	global_load_b32 v6, v[4:5], off
	v_bcnt_u32_b32 v30, v26, 0
	v_bfe_u32 v27, v7, 7, 8
	v_bfe_u32 v29, v7, 21, 8
	;; [unrolled: 1-line block ×3, first 2 shown]
	v_lshrrev_b32_e32 v7, 27, v7
	v_and_b32_e32 v30, 1, v30
	v_bcnt_u32_b32 v31, v27, 0
	v_bcnt_u32_b32 v33, v29, 0
	;; [unrolled: 1-line block ×3, first 2 shown]
	s_delay_alu instid0(VALU_DEP_4) | instskip(NEXT) | instid1(VALU_DEP_4)
	v_lshlrev_b32_e32 v30, 7, v30
	v_and_b32_e32 v31, 1, v31
	s_delay_alu instid0(VALU_DEP_4) | instskip(NEXT) | instid1(VALU_DEP_4)
	v_and_b32_e32 v33, 1, v33
	v_and_b32_e32 v32, 1, v32
	s_delay_alu instid0(VALU_DEP_4) | instskip(NEXT) | instid1(VALU_DEP_4)
	v_xor_b32_e32 v26, v30, v26
	v_lshlrev_b32_e32 v31, 7, v31
	s_delay_alu instid0(VALU_DEP_4) | instskip(NEXT) | instid1(VALU_DEP_4)
	v_lshlrev_b32_e32 v33, 7, v33
	v_lshlrev_b32_e32 v32, 7, v32
	s_delay_alu instid0(VALU_DEP_4) | instskip(NEXT) | instid1(VALU_DEP_4)
	v_mul_lo_u32 v26, 0x1010101, v26
	v_xor_b32_e32 v27, v31, v27
	s_delay_alu instid0(VALU_DEP_4) | instskip(NEXT) | instid1(VALU_DEP_4)
	v_xor_b32_e32 v29, v33, v29
	v_xor_b32_e32 v28, v32, v28
	s_delay_alu instid0(VALU_DEP_3) | instskip(NEXT) | instid1(VALU_DEP_3)
	v_mul_lo_u32 v27, 0x1010101, v27
	v_mul_lo_u32 v29, 0x1010101, v29
	v_and_b32_e32 v30, 0x8040201, v26
	v_and_b32_e32 v33, 0x80402010, v26
	v_mul_lo_u32 v28, 0x1010101, v28
	v_lshrrev_b32_e32 v31, 18, v26
	v_bfe_i32 v32, v26, 0, 1
	v_lshrrev_b16 v46, 8, v30
	v_lshrrev_b32_e32 v30, 24, v30
	v_lshrrev_b16 v48, 8, v33
	v_and_b32_e32 v34, 0x8040201, v27
	v_lshrrev_b32_e32 v49, 24, v33
	v_cmp_ne_u16_e32 vcc_lo, 0, v46
	v_and_b32_e32 v37, 0x80402010, v27
	v_and_b32_e32 v38, 0x8040201, v28
	v_lshrrev_b16 v50, 8, v34
	v_lshrrev_b32_e32 v34, 24, v34
	s_wait_alu 0xfffd
	v_cndmask_b32_e64 v46, 0, -1, vcc_lo
	v_cmp_ne_u16_e32 vcc_lo, 0, v30
	v_lshrrev_b16 v52, 8, v37
	v_lshrrev_b32_e32 v53, 24, v37
	v_lshrrev_b16 v54, 8, v38
	v_and_b32_e32 v41, 0x80402010, v28
	s_wait_alu 0xfffd
	v_cndmask_b32_e64 v30, 0, -1, vcc_lo
	v_cmp_ne_u16_e32 vcc_lo, 0, v48
	v_lshrrev_b32_e32 v38, 24, v38
	v_and_b32_e32 v42, 0x8040201, v29
	v_lshrrev_b16 v56, 8, v41
	v_lshrrev_b32_e32 v57, 24, v41
	s_wait_alu 0xfffd
	v_cndmask_b32_e64 v48, 0, -1, vcc_lo
	v_cmp_ne_u16_e32 vcc_lo, 0, v49
	v_lshrrev_b16 v58, 8, v42
	v_lshrrev_b32_e32 v26, 22, v26
	v_lshrrev_b32_e32 v35, 18, v27
	v_and_b32_e32 v45, 0x80402010, v29
	s_wait_alu 0xfffd
	v_cndmask_b32_e64 v49, 0, -1, vcc_lo
	v_cmp_ne_u16_e32 vcc_lo, 0, v50
	v_bfe_i32 v31, v31, 0, 1
	v_lshrrev_b16 v33, 4, v33
	v_lshrrev_b32_e32 v42, 24, v42
	v_bfe_i32 v36, v27, 0, 1
	s_wait_alu 0xfffd
	v_cndmask_b32_e64 v50, 0, -1, vcc_lo
	v_cmp_ne_u16_e32 vcc_lo, 0, v34
	v_lshrrev_b32_e32 v39, 18, v28
	v_lshrrev_b32_e32 v43, 18, v29
	v_and_b32_e32 v47, 0xff, v32
	v_bfe_i32 v26, v26, 0, 1
	s_wait_alu 0xfffd
	v_cndmask_b32_e64 v34, 0, -1, vcc_lo
	v_cmp_ne_u16_e32 vcc_lo, 0, v52
	v_bfe_i32 v35, v35, 0, 1
	v_lshrrev_b16 v60, 8, v45
	v_and_b32_e32 v62, 0xff, v31
	v_bfe_i32 v33, v33, 0, 1
	s_wait_alu 0xfffd
	v_cndmask_b32_e64 v52, 0, -1, vcc_lo
	v_cmp_ne_u16_e32 vcc_lo, 0, v53
	v_lshlrev_b16 v46, 8, v46
	v_lshlrev_b16 v30, 8, v30
	v_lshrrev_b32_e32 v27, 22, v27
	v_bfe_i32 v40, v28, 0, 1
	s_wait_alu 0xfffd
	v_cndmask_b32_e64 v53, 0, -1, vcc_lo
	v_cmp_ne_u16_e32 vcc_lo, 0, v54
	v_bfe_i32 v44, v29, 0, 1
	v_and_b32_e32 v51, 0xff, v36
	v_lshrrev_b16 v37, 4, v37
	v_bfe_i32 v39, v39, 0, 1
	s_wait_alu 0xfffd
	v_cndmask_b32_e64 v54, 0, -1, vcc_lo
	v_cmp_ne_u16_e32 vcc_lo, 0, v38
	v_bfe_i32 v43, v43, 0, 1
	v_lshrrev_b32_e32 v61, 24, v45
	v_and_b32_e32 v63, 0xff, v26
	v_and_b32_e32 v64, 0xff, v35
	s_wait_alu 0xfffd
	v_cndmask_b32_e64 v38, 0, -1, vcc_lo
	v_cmp_ne_u16_e32 vcc_lo, 0, v56
	v_and_b32_e32 v70, 0xff, v33
	v_lshlrev_b16 v48, 8, v48
	v_lshlrev_b16 v49, 8, v49
	;; [unrolled: 1-line block ×3, first 2 shown]
	s_wait_alu 0xfffd
	v_cndmask_b32_e64 v56, 0, -1, vcc_lo
	v_cmp_ne_u16_e32 vcc_lo, 0, v57
	v_lshlrev_b16 v34, 8, v34
	v_or_b32_e32 v47, v47, v46
	v_or_b32_e32 v62, v62, v30
	v_lshrrev_b32_e32 v28, 22, v28
	s_wait_alu 0xfffd
	v_cndmask_b32_e64 v57, 0, -1, vcc_lo
	v_cmp_ne_u16_e32 vcc_lo, 0, v58
	v_lshrrev_b32_e32 v29, 22, v29
	v_bfe_i32 v27, v27, 0, 1
	v_and_b32_e32 v55, 0xff, v40
	v_lshrrev_b16 v41, 4, v41
	s_wait_alu 0xfffd
	v_cndmask_b32_e64 v58, 0, -1, vcc_lo
	v_cmp_ne_u16_e32 vcc_lo, 0, v42
	v_and_b32_e32 v59, 0xff, v44
	v_lshrrev_b16 v45, 4, v45
	v_bfe_i32 v37, v37, 0, 1
	v_and_b32_e32 v66, 0xff, v39
	s_wait_alu 0xfffd
	v_cndmask_b32_e64 v42, 0, -1, vcc_lo
	v_cmp_ne_u16_e32 vcc_lo, 0, v60
	v_and_b32_e32 v68, 0xff, v43
	v_lshlrev_b16 v54, 8, v54
	v_lshlrev_b16 v38, 8, v38
	;; [unrolled: 1-line block ×3, first 2 shown]
	s_wait_alu 0xfffd
	v_cndmask_b32_e64 v60, 0, -1, vcc_lo
	v_cmp_ne_u16_e32 vcc_lo, 0, v61
	v_lshlrev_b16 v42, 8, v42
	v_or_b32_e32 v70, v70, v48
	v_or_b32_e32 v63, v63, v49
	;; [unrolled: 1-line block ×4, first 2 shown]
	v_and_b32_e32 v47, 0xffff, v47
	v_lshlrev_b32_e32 v62, 16, v62
	v_bfe_i32 v28, v28, 0, 1
	v_bfe_i32 v29, v29, 0, 1
	v_and_b32_e32 v65, 0xff, v27
	v_bfe_i32 v41, v41, 0, 1
	v_bfe_i32 v45, v45, 0, 1
	s_wait_alu 0xfffd
	v_cndmask_b32_e64 v61, 0, -1, vcc_lo
	v_and_b32_e32 v71, 0xff, v37
	v_lshlrev_b16 v52, 8, v52
	v_lshlrev_b16 v53, 8, v53
	v_or_b32_e32 v55, v55, v54
	v_or_b32_e32 v66, v66, v38
	;; [unrolled: 1-line block ×4, first 2 shown]
	v_and_b32_e32 v70, 0xffff, v70
	v_lshlrev_b32_e32 v63, 16, v63
	v_and_b32_e32 v51, 0xffff, v51
	v_lshlrev_b32_e32 v64, 16, v64
	v_or_b32_e32 v47, v47, v62
	v_and_b32_e32 v67, 0xff, v28
	v_and_b32_e32 v69, 0xff, v29
	;; [unrolled: 1-line block ×3, first 2 shown]
	v_lshlrev_b16 v56, 8, v56
	v_lshlrev_b16 v57, 8, v57
	v_and_b32_e32 v73, 0xff, v45
	v_lshlrev_b16 v60, 8, v60
	v_lshlrev_b16 v61, 8, v61
	v_or_b32_e32 v71, v71, v52
	v_or_b32_e32 v65, v65, v53
	v_and_b32_e32 v55, 0xffff, v55
	v_lshlrev_b32_e32 v66, 16, v66
	v_and_b32_e32 v59, 0xffff, v59
	v_lshlrev_b32_e32 v68, 16, v68
	v_or_b32_e32 v62, v70, v63
	v_or_b32_e32 v51, v51, v64
	v_lshlrev_b16 v32, 8, v32
	v_or_b32_e32 v72, v72, v56
	v_or_b32_e32 v67, v67, v57
	;; [unrolled: 1-line block ×4, first 2 shown]
	v_and_b32_e32 v71, 0xffff, v71
	v_lshlrev_b32_e32 v65, 16, v65
	v_or_b32_e32 v55, v55, v66
	v_or_b32_e32 v59, v59, v68
	v_lshlrev_b16 v31, 8, v31
	v_lshlrev_b16 v33, 8, v33
	v_and_b32_e32 v72, 0xffff, v72
	v_lshlrev_b32_e32 v67, 16, v67
	v_and_b32_e32 v73, 0xffff, v73
	v_lshlrev_b32_e32 v69, 16, v69
	v_or_b32_e32 v63, v71, v65
	v_lshlrev_b16 v36, 8, v36
	v_lshlrev_b16 v26, 8, v26
	v_or_b32_e32 v64, v72, v67
	v_or_b32_e32 v65, v73, v69
	v_lshlrev_b16 v35, 8, v35
	v_lshlrev_b16 v37, 8, v37
	;; [unrolled: 1-line block ×11, first 2 shown]
	v_add_co_u32 v4, vcc_lo, 0x480, v4
	s_wait_alu 0xfffd
	v_add_co_ci_u32_e64 v5, null, 0, v5, vcc_lo
	s_wait_loadcnt 0x5
	v_xor_b32_e32 v17, v17, v47
	v_xor_b32_e32 v18, v18, v62
	s_wait_loadcnt 0x4
	v_xor_b32_e32 v19, v19, v51
	s_wait_loadcnt 0x3
	;; [unrolled: 2-line block ×3, first 2 shown]
	v_xor_b32_e32 v23, v23, v59
	v_lshrrev_b32_e32 v47, 16, v17
	v_and_b32_e32 v51, 0xffffff00, v17
	v_lshlrev_b16 v17, 8, v17
	v_lshrrev_b32_e32 v55, 16, v18
	v_and_b32_e32 v59, 0xffffff00, v18
	v_lshlrev_b16 v18, 8, v18
	v_xor_b32_e32 v20, v20, v63
	v_sub_nc_i16 v17, v17, v32 clamp
	v_and_b32_e32 v32, 0xffffff00, v47
	v_lshlrev_b16 v47, 8, v47
	v_lshrrev_b32_e32 v62, 16, v19
	v_and_b32_e32 v63, 0xffffff00, v19
	v_lshlrev_b16 v19, 8, v19
	v_sub_nc_i16 v46, v51, v46 clamp
	v_sub_nc_i16 v18, v18, v33 clamp
	v_and_b32_e32 v33, 0xffffff00, v55
	v_lshlrev_b16 v51, 8, v55
	v_sub_nc_i16 v30, v32, v30 clamp
	v_sub_nc_i16 v31, v47, v31 clamp
	v_xor_b32_e32 v22, v22, v64
	v_xor_b32_e32 v24, v24, v65
	v_lshrrev_b32_e32 v64, 16, v20
	v_and_b32_e32 v65, 0xffffff00, v20
	v_lshlrev_b16 v20, 8, v20
	v_sub_nc_i16 v48, v59, v48 clamp
	v_sub_nc_i16 v19, v19, v36 clamp
	v_and_b32_e32 v36, 0xffffff00, v62
	v_lshlrev_b16 v55, 8, v62
	v_perm_b32 v17, v17, v46, 0xc0c0105
	v_sub_nc_i16 v32, v33, v49 clamp
	v_sub_nc_i16 v26, v51, v26 clamp
	v_perm_b32 v30, v31, v30, 0xc0c0105
	v_lshrrev_b32_e32 v66, 16, v21
	v_and_b32_e32 v67, 0xffffff00, v21
	v_lshlrev_b16 v21, 8, v21
	v_sub_nc_i16 v50, v63, v50 clamp
	v_sub_nc_i16 v20, v20, v37 clamp
	v_and_b32_e32 v37, 0xffffff00, v64
	v_lshlrev_b16 v59, 8, v64
	v_perm_b32 v18, v18, v48, 0xc0c0105
	v_sub_nc_i16 v33, v36, v34 clamp
	v_sub_nc_i16 v34, v55, v35 clamp
	v_perm_b32 v26, v26, v32, 0xc0c0105
	v_lshl_or_b32 v17, v30, 16, v17
	v_lshrrev_b32_e32 v68, 16, v22
	v_and_b32_e32 v69, 0xffffff00, v22
	v_lshlrev_b16 v22, 8, v22
	v_sub_nc_i16 v52, v65, v52 clamp
	v_sub_nc_i16 v21, v21, v40 clamp
	v_and_b32_e32 v40, 0xffffff00, v66
	v_lshlrev_b16 v62, 8, v66
	v_perm_b32 v19, v19, v50, 0xc0c0105
	v_sub_nc_i16 v35, v37, v53 clamp
	v_sub_nc_i16 v27, v59, v27 clamp
	v_perm_b32 v30, v34, v33, 0xc0c0105
	v_lshl_or_b32 v18, v26, 16, v18
	v_dot4_i32_iu8 v1, v17, v1, 0 neg_lo:[1,1,0]
	v_lshrrev_b32_e32 v70, 16, v23
	v_and_b32_e32 v71, 0xffffff00, v23
	v_lshlrev_b16 v23, 8, v23
	v_sub_nc_i16 v54, v67, v54 clamp
	v_sub_nc_i16 v22, v22, v41 clamp
	v_and_b32_e32 v41, 0xffffff00, v68
	v_lshlrev_b16 v63, 8, v68
	v_perm_b32 v20, v20, v52, 0xc0c0105
	v_sub_nc_i16 v36, v40, v38 clamp
	v_sub_nc_i16 v37, v62, v39 clamp
	v_perm_b32 v26, v27, v35, 0xc0c0105
	v_lshl_or_b32 v19, v30, 16, v19
	v_dot4_i32_iu8 v1, v18, v2, v1 neg_lo:[1,1,0]
	v_lshrrev_b32_e32 v72, 16, v24
	v_and_b32_e32 v73, 0xffffff00, v24
	v_lshlrev_b16 v24, 8, v24
	v_sub_nc_i16 v56, v69, v56 clamp
	v_sub_nc_i16 v23, v23, v44 clamp
	v_and_b32_e32 v44, 0xffffff00, v70
	v_lshlrev_b16 v64, 8, v70
	v_perm_b32 v21, v21, v54, 0xc0c0105
	v_sub_nc_i16 v31, v41, v57 clamp
	v_sub_nc_i16 v28, v63, v28 clamp
	v_perm_b32 v18, v37, v36, 0xc0c0105
	v_lshl_or_b32 v20, v26, 16, v20
	v_dot4_i32_iu8 v1, v19, v3, v1 neg_lo:[1,1,0]
	v_sub_nc_i16 v58, v71, v58 clamp
	v_sub_nc_i16 v24, v24, v45 clamp
	v_and_b32_e32 v45, 0xffffff00, v72
	v_lshlrev_b16 v65, 8, v72
	v_perm_b32 v22, v22, v56, 0xc0c0105
	v_sub_nc_i16 v17, v44, v42 clamp
	v_sub_nc_i16 v2, v64, v43 clamp
	v_perm_b32 v19, v28, v31, 0xc0c0105
	v_lshl_or_b32 v18, v18, 16, v21
	s_wait_loadcnt 0x1
	v_dot4_i32_iu8 v1, v20, v13, v1 neg_lo:[1,1,0]
	v_sub_nc_i16 v60, v73, v60 clamp
	v_perm_b32 v23, v23, v58, 0xc0c0105
	v_sub_nc_i16 v3, v45, v61 clamp
	v_sub_nc_i16 v13, v65, v29 clamp
	v_perm_b32 v2, v2, v17, 0xc0c0105
	v_lshl_or_b32 v17, v19, 16, v22
	v_dot4_i32_iu8 v1, v18, v14, v1 neg_lo:[1,1,0]
	v_perm_b32 v14, v24, v60, 0xc0c0105
	v_perm_b32 v3, v13, v3, 0xc0c0105
	v_lshl_or_b32 v2, v2, 16, v23
	s_delay_alu instid0(VALU_DEP_4) | instskip(NEXT) | instid1(VALU_DEP_3)
	v_dot4_i32_iu8 v1, v17, v15, v1 neg_lo:[1,1,0]
	v_lshl_or_b32 v3, v3, 16, v14
	s_delay_alu instid0(VALU_DEP_2) | instskip(SKIP_2) | instid1(VALU_DEP_2)
	v_dot4_i32_iu8 v1, v2, v16, v1 neg_lo:[1,1,0]
	v_or_b32_e32 v2, 1, v7
	s_wait_loadcnt 0x0
	v_dot4_i32_iu8 v1, v3, v6, v1 neg_lo:[1,1,0]
	s_delay_alu instid0(VALU_DEP_1) | instskip(NEXT) | instid1(VALU_DEP_1)
	v_mul_lo_u32 v1, v1, v2
	v_ashrrev_i32_e32 v2, 31, v1
	s_delay_alu instid0(VALU_DEP_1) | instskip(NEXT) | instid1(VALU_DEP_1)
	v_lshrrev_b32_e32 v2, 29, v2
	v_add_nc_u32_e32 v1, v1, v2
	v_cvt_f32_f16_e32 v2, v25
	s_delay_alu instid0(VALU_DEP_2) | instskip(NEXT) | instid1(VALU_DEP_2)
	v_ashrrev_i32_e32 v1, 3, v1
	v_mul_f32_e32 v0, v2, v0
	s_delay_alu instid0(VALU_DEP_2) | instskip(NEXT) | instid1(VALU_DEP_1)
	v_cvt_f32_i32_e32 v1, v1
	v_fmac_f32_e32 v10, v0, v1
	s_wait_alu 0xfffe
	s_and_not1_b32 exec_lo, exec_lo, s3
	s_cbranch_execnz .LBB158_7
; %bb.8:
	s_or_b32 exec_lo, exec_lo, s3
.LBB158_9:
	s_delay_alu instid0(SALU_CYCLE_1)
	s_or_b32 exec_lo, exec_lo, s17
	; wave barrier
	global_inv scope:SCOPE_SE
	s_mov_b32 s2, exec_lo
	v_cmpx_eq_u32_e32 0, v9
	s_cbranch_execz .LBB158_12
; %bb.10:
	v_mbcnt_lo_u32_b32 v0, -1, 0
	s_delay_alu instid0(VALU_DEP_1) | instskip(SKIP_2) | instid1(VALU_DEP_3)
	v_xor_b32_e32 v1, 16, v0
	v_xor_b32_e32 v2, 8, v0
	;; [unrolled: 1-line block ×3, first 2 shown]
	v_cmp_gt_i32_e32 vcc_lo, 32, v1
	s_wait_alu 0xfffd
	v_cndmask_b32_e32 v1, v0, v1, vcc_lo
	v_cmp_gt_i32_e32 vcc_lo, 32, v2
	s_wait_alu 0xfffd
	v_cndmask_b32_e32 v2, v0, v2, vcc_lo
	v_cmp_gt_i32_e32 vcc_lo, 32, v3
	s_delay_alu instid0(VALU_DEP_2)
	v_lshlrev_b32_e32 v2, 2, v2
	v_lshlrev_b32_e32 v1, 2, v1
	s_wait_alu 0xfffd
	v_cndmask_b32_e32 v3, v0, v3, vcc_lo
	ds_bpermute_b32 v1, v1, v10
	v_lshlrev_b32_e32 v3, 2, v3
	s_wait_dscnt 0x0
	v_add_f32_e32 v1, v10, v1
	ds_bpermute_b32 v2, v2, v1
	s_wait_dscnt 0x0
	v_add_f32_e32 v1, v1, v2
	ds_bpermute_b32 v2, v3, v1
	v_xor_b32_e32 v3, 2, v0
	s_delay_alu instid0(VALU_DEP_1) | instskip(SKIP_2) | instid1(VALU_DEP_1)
	v_cmp_gt_i32_e32 vcc_lo, 32, v3
	s_wait_alu 0xfffd
	v_cndmask_b32_e32 v3, v0, v3, vcc_lo
	v_lshlrev_b32_e32 v3, 2, v3
	s_wait_dscnt 0x0
	v_add_f32_e32 v1, v1, v2
	ds_bpermute_b32 v2, v3, v1
	v_xor_b32_e32 v3, 1, v0
	s_delay_alu instid0(VALU_DEP_1) | instskip(SKIP_4) | instid1(VALU_DEP_2)
	v_cmp_gt_i32_e32 vcc_lo, 32, v3
	s_wait_alu 0xfffd
	v_cndmask_b32_e32 v0, v0, v3, vcc_lo
	v_cmp_eq_u32_e32 vcc_lo, 0, v8
	s_wait_dscnt 0x0
	v_dual_add_f32 v0, v1, v2 :: v_dual_lshlrev_b32 v3, 2, v0
	ds_bpermute_b32 v1, v3, v0
	s_and_b32 exec_lo, exec_lo, vcc_lo
	s_cbranch_execz .LBB158_12
; %bb.11:
	s_load_b64 s[0:1], s[0:1], 0x38
	s_wait_kmcnt 0x0
	s_mul_i32 s2, s6, s15
	s_mul_i32 s3, s14, s16
	s_wait_alu 0xfffe
	s_add_co_i32 s2, s2, ttmp9
	s_wait_dscnt 0x0
	v_dual_add_f32 v0, v0, v1 :: v_dual_mov_b32 v1, 0
	s_wait_alu 0xfffe
	s_add_co_i32 s2, s2, s3
	s_mov_b32 s3, 0
	s_wait_alu 0xfffe
	s_lshl_b64 s[2:3], s[2:3], 2
	s_wait_alu 0xfffe
	s_add_nc_u64 s[0:1], s[0:1], s[2:3]
	global_store_b32 v1, v0, s[0:1]
.LBB158_12:
	s_endpgm
.LBB158_13:
                                        ; implicit-def: $sgpr19
	s_clause 0x1
	s_load_b128 s[4:7], s[0:1], 0x68
	s_load_b32 s20, s[0:1], 0x50
	s_branch .LBB158_2
	.section	.rodata,"a",@progbits
	.p2align	6, 0x0
	.amdhsa_kernel _ZL13mul_mat_vec_qIL9ggml_type16ELi1ELb0ELb1EEvPKvS2_PKi31ggml_cuda_mm_fusion_args_devicePfj15HIP_vector_typeIjLj3EEjjjS8_jjjS8_jjjj
		.amdhsa_group_segment_fixed_size 0
		.amdhsa_private_segment_fixed_size 0
		.amdhsa_kernarg_size 144
		.amdhsa_user_sgpr_count 2
		.amdhsa_user_sgpr_dispatch_ptr 0
		.amdhsa_user_sgpr_queue_ptr 0
		.amdhsa_user_sgpr_kernarg_segment_ptr 1
		.amdhsa_user_sgpr_dispatch_id 0
		.amdhsa_user_sgpr_private_segment_size 0
		.amdhsa_wavefront_size32 1
		.amdhsa_uses_dynamic_stack 0
		.amdhsa_enable_private_segment 0
		.amdhsa_system_sgpr_workgroup_id_x 1
		.amdhsa_system_sgpr_workgroup_id_y 1
		.amdhsa_system_sgpr_workgroup_id_z 1
		.amdhsa_system_sgpr_workgroup_info 0
		.amdhsa_system_vgpr_workitem_id 1
		.amdhsa_next_free_vgpr 74
		.amdhsa_next_free_sgpr 22
		.amdhsa_reserve_vcc 1
		.amdhsa_float_round_mode_32 0
		.amdhsa_float_round_mode_16_64 0
		.amdhsa_float_denorm_mode_32 3
		.amdhsa_float_denorm_mode_16_64 3
		.amdhsa_fp16_overflow 0
		.amdhsa_workgroup_processor_mode 1
		.amdhsa_memory_ordered 1
		.amdhsa_forward_progress 1
		.amdhsa_inst_pref_size 27
		.amdhsa_round_robin_scheduling 0
		.amdhsa_exception_fp_ieee_invalid_op 0
		.amdhsa_exception_fp_denorm_src 0
		.amdhsa_exception_fp_ieee_div_zero 0
		.amdhsa_exception_fp_ieee_overflow 0
		.amdhsa_exception_fp_ieee_underflow 0
		.amdhsa_exception_fp_ieee_inexact 0
		.amdhsa_exception_int_div_zero 0
	.end_amdhsa_kernel
	.section	.text._ZL13mul_mat_vec_qIL9ggml_type16ELi1ELb0ELb1EEvPKvS2_PKi31ggml_cuda_mm_fusion_args_devicePfj15HIP_vector_typeIjLj3EEjjjS8_jjjS8_jjjj,"axG",@progbits,_ZL13mul_mat_vec_qIL9ggml_type16ELi1ELb0ELb1EEvPKvS2_PKi31ggml_cuda_mm_fusion_args_devicePfj15HIP_vector_typeIjLj3EEjjjS8_jjjS8_jjjj,comdat
.Lfunc_end158:
	.size	_ZL13mul_mat_vec_qIL9ggml_type16ELi1ELb0ELb1EEvPKvS2_PKi31ggml_cuda_mm_fusion_args_devicePfj15HIP_vector_typeIjLj3EEjjjS8_jjjS8_jjjj, .Lfunc_end158-_ZL13mul_mat_vec_qIL9ggml_type16ELi1ELb0ELb1EEvPKvS2_PKi31ggml_cuda_mm_fusion_args_devicePfj15HIP_vector_typeIjLj3EEjjjS8_jjjS8_jjjj
                                        ; -- End function
	.set _ZL13mul_mat_vec_qIL9ggml_type16ELi1ELb0ELb1EEvPKvS2_PKi31ggml_cuda_mm_fusion_args_devicePfj15HIP_vector_typeIjLj3EEjjjS8_jjjS8_jjjj.num_vgpr, 74
	.set _ZL13mul_mat_vec_qIL9ggml_type16ELi1ELb0ELb1EEvPKvS2_PKi31ggml_cuda_mm_fusion_args_devicePfj15HIP_vector_typeIjLj3EEjjjS8_jjjS8_jjjj.num_agpr, 0
	.set _ZL13mul_mat_vec_qIL9ggml_type16ELi1ELb0ELb1EEvPKvS2_PKi31ggml_cuda_mm_fusion_args_devicePfj15HIP_vector_typeIjLj3EEjjjS8_jjjS8_jjjj.numbered_sgpr, 22
	.set _ZL13mul_mat_vec_qIL9ggml_type16ELi1ELb0ELb1EEvPKvS2_PKi31ggml_cuda_mm_fusion_args_devicePfj15HIP_vector_typeIjLj3EEjjjS8_jjjS8_jjjj.num_named_barrier, 0
	.set _ZL13mul_mat_vec_qIL9ggml_type16ELi1ELb0ELb1EEvPKvS2_PKi31ggml_cuda_mm_fusion_args_devicePfj15HIP_vector_typeIjLj3EEjjjS8_jjjS8_jjjj.private_seg_size, 0
	.set _ZL13mul_mat_vec_qIL9ggml_type16ELi1ELb0ELb1EEvPKvS2_PKi31ggml_cuda_mm_fusion_args_devicePfj15HIP_vector_typeIjLj3EEjjjS8_jjjS8_jjjj.uses_vcc, 1
	.set _ZL13mul_mat_vec_qIL9ggml_type16ELi1ELb0ELb1EEvPKvS2_PKi31ggml_cuda_mm_fusion_args_devicePfj15HIP_vector_typeIjLj3EEjjjS8_jjjS8_jjjj.uses_flat_scratch, 0
	.set _ZL13mul_mat_vec_qIL9ggml_type16ELi1ELb0ELb1EEvPKvS2_PKi31ggml_cuda_mm_fusion_args_devicePfj15HIP_vector_typeIjLj3EEjjjS8_jjjS8_jjjj.has_dyn_sized_stack, 0
	.set _ZL13mul_mat_vec_qIL9ggml_type16ELi1ELb0ELb1EEvPKvS2_PKi31ggml_cuda_mm_fusion_args_devicePfj15HIP_vector_typeIjLj3EEjjjS8_jjjS8_jjjj.has_recursion, 0
	.set _ZL13mul_mat_vec_qIL9ggml_type16ELi1ELb0ELb1EEvPKvS2_PKi31ggml_cuda_mm_fusion_args_devicePfj15HIP_vector_typeIjLj3EEjjjS8_jjjS8_jjjj.has_indirect_call, 0
	.section	.AMDGPU.csdata,"",@progbits
; Kernel info:
; codeLenInByte = 3420
; TotalNumSgprs: 24
; NumVgprs: 74
; ScratchSize: 0
; MemoryBound: 0
; FloatMode: 240
; IeeeMode: 1
; LDSByteSize: 0 bytes/workgroup (compile time only)
; SGPRBlocks: 0
; VGPRBlocks: 9
; NumSGPRsForWavesPerEU: 24
; NumVGPRsForWavesPerEU: 74
; Occupancy: 16
; WaveLimiterHint : 0
; COMPUTE_PGM_RSRC2:SCRATCH_EN: 0
; COMPUTE_PGM_RSRC2:USER_SGPR: 2
; COMPUTE_PGM_RSRC2:TRAP_HANDLER: 0
; COMPUTE_PGM_RSRC2:TGID_X_EN: 1
; COMPUTE_PGM_RSRC2:TGID_Y_EN: 1
; COMPUTE_PGM_RSRC2:TGID_Z_EN: 1
; COMPUTE_PGM_RSRC2:TIDIG_COMP_CNT: 1
	.section	.text._ZL13mul_mat_vec_qIL9ggml_type16ELi1ELb1ELb0EEvPKvS2_PKi31ggml_cuda_mm_fusion_args_devicePfj15HIP_vector_typeIjLj3EEjjjS8_jjjS8_jjjj,"axG",@progbits,_ZL13mul_mat_vec_qIL9ggml_type16ELi1ELb1ELb0EEvPKvS2_PKi31ggml_cuda_mm_fusion_args_devicePfj15HIP_vector_typeIjLj3EEjjjS8_jjjS8_jjjj,comdat
	.globl	_ZL13mul_mat_vec_qIL9ggml_type16ELi1ELb1ELb0EEvPKvS2_PKi31ggml_cuda_mm_fusion_args_devicePfj15HIP_vector_typeIjLj3EEjjjS8_jjjS8_jjjj ; -- Begin function _ZL13mul_mat_vec_qIL9ggml_type16ELi1ELb1ELb0EEvPKvS2_PKi31ggml_cuda_mm_fusion_args_devicePfj15HIP_vector_typeIjLj3EEjjjS8_jjjS8_jjjj
	.p2align	8
	.type	_ZL13mul_mat_vec_qIL9ggml_type16ELi1ELb1ELb0EEvPKvS2_PKi31ggml_cuda_mm_fusion_args_devicePfj15HIP_vector_typeIjLj3EEjjjS8_jjjS8_jjjj,@function
_ZL13mul_mat_vec_qIL9ggml_type16ELi1ELb1ELb0EEvPKvS2_PKi31ggml_cuda_mm_fusion_args_devicePfj15HIP_vector_typeIjLj3EEjjjS8_jjjS8_jjjj: ; @_ZL13mul_mat_vec_qIL9ggml_type16ELi1ELb1ELb0EEvPKvS2_PKi31ggml_cuda_mm_fusion_args_devicePfj15HIP_vector_typeIjLj3EEjjjS8_jjjS8_jjjj
; %bb.0:
	s_clause 0x3
	s_load_b256 s[8:15], s[0:1], 0x0
	s_load_b128 s[16:19], s[0:1], 0x20
	s_load_b128 s[20:23], s[0:1], 0x40
	;; [unrolled: 1-line block ×3, first 2 shown]
	s_and_b32 s27, ttmp7, 0xffff
	s_wait_kmcnt 0x0
	s_cmp_lg_u64 s[12:13], 0
	s_cselect_b32 s2, -1, 0
	s_cmp_eq_u64 s[12:13], 0
	s_cbranch_scc1 .LBB159_24
; %bb.1:
	s_lshl_b32 s3, s27, 2
	s_load_b32 s28, s[12:13], s3 offset:0x0
	s_clause 0x1
	s_load_b32 s30, s[0:1], 0x50
	s_load_b32 s29, s[0:1], 0x78
	s_cbranch_execnz .LBB159_3
.LBB159_2:
	s_load_b64 s[12:13], s[0:1], 0x5c
	s_wait_kmcnt 0x0
	s_mul_hi_u32 s3, s12, s27
	s_delay_alu instid0(SALU_CYCLE_1) | instskip(NEXT) | instid1(SALU_CYCLE_1)
	s_add_co_i32 s3, s27, s3
	s_lshr_b32 s28, s3, s13
.LBB159_3:
	s_and_not1_b32 vcc_lo, exec_lo, s2
	s_mov_b32 s3, s27
	s_mov_b32 s31, s27
	s_cbranch_vccnz .LBB159_5
; %bb.4:
	s_mul_hi_u32 s2, s21, s27
	s_wait_kmcnt 0x0
	s_mov_b32 s3, s28
	s_add_co_i32 s2, s27, s2
	s_delay_alu instid0(SALU_CYCLE_1) | instskip(NEXT) | instid1(SALU_CYCLE_1)
	s_lshr_b32 s2, s2, s22
	s_mul_i32 s2, s2, s23
	s_delay_alu instid0(SALU_CYCLE_1)
	s_sub_co_i32 s31, s27, s2
.LBB159_5:
	s_load_b96 s[24:26], s[0:1], 0x80
	v_bfe_u32 v25, v0, 10, 10
	v_dual_mov_b32 v23, 0 :: v_dual_and_b32 v22, 0x3ff, v0
	s_lshr_b32 s21, ttmp7, 16
	s_cmp_lg_u64 s[14:15], 0
	v_mov_b32_e32 v24, 0
	s_delay_alu instid0(VALU_DEP_2) | instskip(SKIP_3) | instid1(VALU_DEP_1)
	v_or_b32_e32 v0, v22, v25
	s_cselect_b32 s2, -1, 0
	s_mov_b32 s23, 0
	s_mul_i32 s12, s3, s6
	v_cmp_eq_u32_e32 vcc_lo, 0, v0
	s_and_b32 s13, s2, vcc_lo
	s_delay_alu instid0(SALU_CYCLE_1)
	s_and_saveexec_b32 s3, s13
	s_cbranch_execz .LBB159_7
; %bb.6:
	s_wait_kmcnt 0x0
	s_mul_i32 s22, s26, s21
	s_mov_b32 s13, s23
	s_lshl_b64 s[22:23], s[22:23], 2
	s_mov_b32 s34, ttmp9
	s_lshl_b64 s[36:37], s[12:13], 2
	s_add_nc_u64 s[14:15], s[14:15], s[22:23]
	s_ashr_i32 s35, ttmp9, 31
	v_lshlrev_b32_e32 v0, 2, v22
	s_add_nc_u64 s[14:15], s[14:15], s[36:37]
	s_lshl_b64 s[22:23], s[34:35], 2
	s_delay_alu instid0(SALU_CYCLE_1)
	s_add_nc_u64 s[14:15], s[14:15], s[22:23]
	global_load_b32 v24, v0, s[14:15]
.LBB159_7:
	s_or_b32 exec_lo, exec_lo, s3
	s_cmp_lg_u64 s[16:17], 0
	s_cselect_b32 s14, -1, 0
	s_cmp_lg_u64 s[18:19], 0
	s_cselect_b32 s3, -1, 0
	s_delay_alu instid0(SALU_CYCLE_1) | instskip(NEXT) | instid1(SALU_CYCLE_1)
	s_and_b32 s13, s3, s14
	s_and_b32 s13, s13, vcc_lo
	s_delay_alu instid0(SALU_CYCLE_1)
	s_and_saveexec_b32 s15, s13
	s_cbranch_execz .LBB159_9
; %bb.8:
	s_wait_kmcnt 0x0
	s_mul_i32 s34, s26, s21
	s_mov_b32 s35, 0
	s_mov_b32 s22, ttmp9
	s_lshl_b64 s[36:37], s[34:35], 2
	s_mov_b32 s13, s35
	s_add_nc_u64 s[18:19], s[18:19], s[36:37]
	s_lshl_b64 s[12:13], s[12:13], 2
	s_ashr_i32 s23, ttmp9, 31
	v_lshlrev_b32_e32 v0, 2, v22
	s_add_nc_u64 s[12:13], s[18:19], s[12:13]
	s_lshl_b64 s[18:19], s[22:23], 2
	s_delay_alu instid0(SALU_CYCLE_1)
	s_add_nc_u64 s[12:13], s[12:13], s[18:19]
	global_load_b32 v23, v0, s[12:13]
.LBB159_9:
	s_or_b32 exec_lo, exec_lo, s15
	v_lshl_add_u32 v0, v25, 5, v22
	v_dual_mov_b32 v28, 0 :: v_dual_mov_b32 v27, 0
	v_cndmask_b32_e64 v26, 0, 1, s14
	s_lshr_b32 s15, s20, 8
	s_delay_alu instid0(VALU_DEP_3) | instskip(SKIP_2) | instid1(VALU_DEP_1)
	v_lshrrev_b32_e32 v29, 3, v0
	s_mov_b32 s18, exec_lo
	s_wait_alu 0xfffe
	v_cmpx_gt_u32_e64 s15, v29
	s_cbranch_execz .LBB159_15
; %bb.10:
	v_lshrrev_b32_e32 v0, 3, v0
	s_mul_i32 s12, s31, s5
	s_mov_b32 s13, 0
	s_wait_kmcnt 0x0
	s_mul_i32 s5, s25, s21
	s_mul_u64 s[22:23], s[12:13], 36
	v_dual_mov_b32 v27, 0 :: v_dual_and_b32 v2, 7, v22
	v_mad_co_u64_u32 v[0:1], null, 0x120, v0, s[22:23]
	v_dual_mov_b32 v28, 0 :: v_dual_lshlrev_b32 v3, 1, v22
	s_mul_i32 s30, s30, ttmp9
	s_delay_alu instid0(VALU_DEP_2)
	v_mad_co_u64_u32 v[0:1], null, s5, 36, v[0:1]
	s_mul_hi_u32 s5, s7, s21
	s_mul_i32 s7, s28, s4
	s_wait_alu 0xfffe
	s_add_co_i32 s5, s21, s5
	s_wait_alu 0xfffe
	s_lshr_b32 s4, s5, s29
	v_mad_co_u64_u32 v[0:1], null, v2, 36, v[0:1]
	v_and_b32_e32 v2, 14, v3
	s_wait_alu 0xfffe
	s_mul_i32 s4, s4, s24
	s_wait_alu 0xfffe
	s_add_co_i32 s4, s4, s30
	v_lshlrev_b32_e32 v2, 1, v2
	s_delay_alu instid0(VALU_DEP_3) | instskip(NEXT) | instid1(VALU_DEP_1)
	v_add_co_u32 v0, vcc_lo, s10, v0
	v_add_co_ci_u32_e64 v1, null, s11, v1, vcc_lo
	s_delay_alu instid0(VALU_DEP_3) | instskip(NEXT) | instid1(VALU_DEP_3)
	v_lshlrev_b32_e32 v30, 1, v2
	v_add_co_u32 v8, vcc_lo, v0, 32
	s_wait_alu 0xfffd
	s_delay_alu instid0(VALU_DEP_3)
	v_add_co_ci_u32_e64 v9, null, 0, v1, vcc_lo
	s_wait_alu 0xfffe
	s_add_co_i32 s7, s7, s4
	s_branch .LBB159_12
.LBB159_11:                             ;   in Loop: Header=BB159_12 Depth=1
	v_and_b32_e32 v20, 0xff, v11
	v_bfe_u32 v21, v11, 7, 8
	v_add_nc_u32_e32 v29, 4, v29
	v_add_co_u32 v8, s4, 0x480, v8
	s_delay_alu instid0(VALU_DEP_4) | instskip(NEXT) | instid1(VALU_DEP_4)
	v_bcnt_u32_b32 v32, v20, 0
	v_bcnt_u32_b32 v33, v21, 0
	s_wait_alu 0xf1ff
	v_add_co_ci_u32_e64 v9, null, 0, v9, s4
	s_delay_alu instid0(VALU_DEP_3) | instskip(NEXT) | instid1(VALU_DEP_3)
	v_and_b32_e32 v32, 1, v32
	v_and_b32_e32 v33, 1, v33
	s_delay_alu instid0(VALU_DEP_2) | instskip(NEXT) | instid1(VALU_DEP_2)
	v_lshlrev_b32_e32 v32, 7, v32
	v_lshlrev_b32_e32 v33, 7, v33
	s_delay_alu instid0(VALU_DEP_2) | instskip(NEXT) | instid1(VALU_DEP_2)
	v_xor_b32_e32 v20, v32, v20
	v_xor_b32_e32 v21, v33, v21
	s_delay_alu instid0(VALU_DEP_2) | instskip(NEXT) | instid1(VALU_DEP_2)
	v_mul_lo_u32 v20, 0x1010101, v20
	v_mul_lo_u32 v21, 0x1010101, v21
	s_delay_alu instid0(VALU_DEP_2)
	v_and_b32_e32 v32, 0x8040201, v20
	v_and_b32_e32 v35, 0x80402010, v20
	v_lshrrev_b32_e32 v33, 18, v20
	v_bfe_i32 v34, v20, 0, 1
	v_lshrrev_b32_e32 v20, 22, v20
	v_lshrrev_b16 v39, 8, v32
	v_lshrrev_b32_e32 v32, 24, v32
	v_lshrrev_b16 v41, 8, v35
	v_lshrrev_b32_e32 v42, 24, v35
	v_and_b32_e32 v36, 0x8040201, v21
	v_cmp_ne_u16_e32 vcc_lo, 0, v39
	v_bfe_i32 v33, v33, 0, 1
	v_lshrrev_b16 v35, 4, v35
	v_and_b32_e32 v40, 0xff, v34
	v_bfe_i32 v20, v20, 0, 1
	s_wait_alu 0xfffd
	v_cndmask_b32_e64 v39, 0, -1, vcc_lo
	v_cmp_ne_u16_e32 vcc_lo, 0, v32
	v_lshrrev_b16 v43, 8, v36
	v_and_b32_e32 v45, 0xff, v33
	v_bfe_i32 v35, v35, 0, 1
	v_lshlrev_b16 v39, 8, v39
	s_wait_alu 0xfffd
	v_cndmask_b32_e64 v32, 0, -1, vcc_lo
	v_cmp_ne_u16_e32 vcc_lo, 0, v41
	v_lshrrev_b32_e32 v36, 24, v36
	v_and_b32_e32 v46, 0xff, v20
	v_and_b32_e32 v47, 0xff, v35
	v_lshlrev_b16 v32, 8, v32
	s_wait_alu 0xfffd
	v_cndmask_b32_e64 v41, 0, -1, vcc_lo
	v_cmp_ne_u16_e32 vcc_lo, 0, v42
	v_or_b32_e32 v40, v40, v39
	v_lshrrev_b32_e32 v37, 18, v21
	v_or_b32_e32 v45, v45, v32
	v_lshlrev_b16 v41, 8, v41
	s_wait_alu 0xfffd
	v_cndmask_b32_e64 v42, 0, -1, vcc_lo
	v_cmp_ne_u16_e32 vcc_lo, 0, v43
	v_and_b32_e32 v40, 0xffff, v40
	v_lshlrev_b32_e32 v45, 16, v45
	v_or_b32_e32 v47, v47, v41
	v_lshlrev_b16 v42, 8, v42
	s_wait_alu 0xfffd
	v_cndmask_b32_e64 v43, 0, -1, vcc_lo
	v_cmp_ne_u16_e32 vcc_lo, 0, v36
	v_bfe_i32 v38, v21, 0, 1
	v_bfe_i32 v37, v37, 0, 1
	v_or_b32_e32 v46, v46, v42
	v_and_b32_e32 v47, 0xffff, v47
	s_wait_alu 0xfffd
	v_cndmask_b32_e64 v36, 0, -1, vcc_lo
	v_or_b32_e32 v40, v40, v45
	v_and_b32_e32 v44, 0xff, v38
	v_lshlrev_b32_e32 v46, 16, v46
	v_and_b32_e32 v45, 0xff, v37
	v_lshlrev_b16 v43, 8, v43
	v_lshlrev_b16 v36, 8, v36
	s_wait_loadcnt 0x3
	v_xor_b32_e32 v18, v18, v40
	v_or_b32_e32 v46, v47, v46
	v_lshlrev_b16 v34, 8, v34
	v_or_b32_e32 v40, v44, v43
	v_or_b32_e32 v44, v45, v36
	v_lshrrev_b32_e32 v45, 16, v18
	v_xor_b32_e32 v19, v19, v46
	v_lshlrev_b16 v33, 8, v33
	v_and_b32_e32 v46, 0xffffff00, v18
	v_lshlrev_b16 v18, 8, v18
	v_and_b32_e32 v49, 0xffffff00, v45
	v_lshrrev_b32_e32 v47, 16, v19
	v_and_b32_e32 v48, 0xffffff00, v19
	v_lshlrev_b16 v45, 8, v45
	v_lshlrev_b16 v35, 8, v35
	;; [unrolled: 1-line block ×3, first 2 shown]
	v_sub_nc_i16 v39, v46, v39 clamp
	v_sub_nc_i16 v18, v18, v34 clamp
	;; [unrolled: 1-line block ×5, first 2 shown]
	v_and_b32_e32 v41, 0xffffff00, v47
	v_lshlrev_b16 v45, 8, v47
	v_lshlrev_b16 v20, 8, v20
	v_perm_b32 v18, v18, v39, 0xc0c0105
	v_perm_b32 v32, v33, v32, 0xc0c0105
	v_sub_nc_i16 v19, v19, v35 clamp
	v_sub_nc_i16 v35, v41, v42 clamp
	;; [unrolled: 1-line block ×3, first 2 shown]
	v_and_b32_e32 v33, 0xffff, v40
	v_lshlrev_b32_e32 v39, 16, v44
	v_lshl_or_b32 v18, v32, 16, v18
	v_perm_b32 v19, v19, v34, 0xc0c0105
	v_perm_b32 v20, v20, v35, 0xc0c0105
	v_bfe_u32 v32, v11, 14, 8
	v_or_b32_e32 v33, v33, v39
	v_dot4_i32_iu8 v5, v18, v5, 0 neg_lo:[1,1,0]
	v_and_b32_e32 v35, 0x80402010, v21
	v_lshl_or_b32 v18, v20, 16, v19
	v_bcnt_u32_b32 v19, v32, 0
	s_wait_loadcnt 0x2
	v_xor_b32_e32 v16, v16, v33
	v_lshlrev_b16 v34, 8, v38
	v_lshrrev_b16 v38, 8, v35
	v_lshrrev_b32_e32 v21, 22, v21
	v_and_b32_e32 v19, 1, v19
	v_lshlrev_b16 v33, 8, v16
	v_and_b32_e32 v20, 0xffffff00, v16
	v_cmp_ne_u16_e32 vcc_lo, 0, v38
	v_lshrrev_b32_e32 v16, 16, v16
	v_lshlrev_b32_e32 v19, 7, v19
	v_sub_nc_i16 v33, v33, v34 clamp
	v_lshrrev_b16 v34, 4, v35
	v_lshrrev_b32_e32 v35, 24, v35
	v_and_b32_e32 v39, 0xffffff00, v16
	v_xor_b32_e32 v19, v19, v32
	s_wait_alu 0xfffd
	v_cndmask_b32_e64 v32, 0, -1, vcc_lo
	v_bfe_i32 v34, v34, 0, 1
	v_lshlrev_b16 v16, 8, v16
	v_cmp_ne_u16_e32 vcc_lo, 0, v35
	v_mul_lo_u32 v19, 0x1010101, v19
	v_lshlrev_b16 v32, 8, v32
	v_and_b32_e32 v38, 0xff, v34
	v_lshlrev_b16 v37, 8, v37
	v_bfe_i32 v21, v21, 0, 1
	s_wait_alu 0xfffd
	v_cndmask_b32_e64 v35, 0, -1, vcc_lo
	v_sub_nc_i16 v36, v39, v36 clamp
	v_or_b32_e32 v38, v38, v32
	v_and_b32_e32 v41, 0x8040201, v19
	v_sub_nc_i16 v16, v16, v37 clamp
	v_and_b32_e32 v40, 0xff, v21
	v_lshlrev_b16 v35, 8, v35
	v_and_b32_e32 v37, 0xffff, v38
	v_lshrrev_b16 v38, 8, v41
	v_lshrrev_b32_e32 v41, 24, v41
	v_bfe_i32 v42, v19, 0, 1
	v_or_b32_e32 v39, v40, v35
	v_lshrrev_b32_e32 v40, 18, v19
	v_cmp_ne_u16_e32 vcc_lo, 0, v38
	v_sub_nc_i16 v20, v20, v43 clamp
	v_and_b32_e32 v43, 0xff, v42
	v_lshlrev_b32_e32 v39, 16, v39
	v_bfe_i32 v40, v40, 0, 1
	s_wait_alu 0xfffd
	v_cndmask_b32_e64 v38, 0, -1, vcc_lo
	v_cmp_ne_u16_e32 vcc_lo, 0, v41
	v_perm_b32 v20, v33, v20, 0xc0c0105
	v_or_b32_e32 v37, v37, v39
	v_and_b32_e32 v44, 0xff, v40
	v_lshlrev_b16 v38, 8, v38
	s_wait_alu 0xfffd
	v_cndmask_b32_e64 v41, 0, -1, vcc_lo
	v_perm_b32 v16, v16, v36, 0xc0c0105
	v_xor_b32_e32 v17, v17, v37
	v_dot4_i32_iu8 v5, v18, v6, v5 neg_lo:[1,1,0]
	v_or_b32_e32 v33, v43, v38
	v_lshlrev_b16 v41, 8, v41
	v_lshl_or_b32 v6, v16, 16, v20
	v_lshrrev_b32_e32 v20, 16, v17
	v_lshlrev_b16 v34, 8, v34
	v_and_b32_e32 v16, 0xffff, v33
	v_or_b32_e32 v36, v44, v41
	v_and_b32_e32 v33, 0xffffff00, v17
	v_lshlrev_b16 v17, 8, v17
	v_lshlrev_b16 v21, 8, v21
	v_dot4_i32_iu8 v5, v6, v7, v5 neg_lo:[1,1,0]
	v_lshlrev_b32_e32 v18, 16, v36
	v_and_b32_e32 v7, 0x80402010, v19
	v_sub_nc_i16 v32, v33, v32 clamp
	v_lshrrev_b32_e32 v19, 22, v19
	v_lshlrev_b16 v36, 8, v42
	v_or_b32_e32 v16, v16, v18
	v_and_b32_e32 v18, 0xffffff00, v20
	v_lshlrev_b16 v20, 8, v20
	v_bfe_i32 v19, v19, 0, 1
	s_wait_loadcnt 0x1
	v_xor_b32_e32 v14, v14, v16
	v_sub_nc_i16 v16, v17, v34 clamp
	v_sub_nc_i16 v17, v18, v35 clamp
	;; [unrolled: 1-line block ×3, first 2 shown]
	v_lshrrev_b16 v21, 8, v7
	v_lshrrev_b16 v20, 4, v7
	v_lshrrev_b32_e32 v7, 24, v7
	v_perm_b32 v16, v16, v32, 0xc0c0105
	v_bfe_u32 v32, v11, 21, 8
	v_cmp_ne_u16_e32 vcc_lo, 0, v21
	v_bfe_i32 v20, v20, 0, 1
	v_and_b32_e32 v34, 0xff, v19
	v_and_b32_e32 v6, 0xffffff00, v14
	v_bcnt_u32_b32 v35, v32, 0
	s_wait_alu 0xfffd
	v_cndmask_b32_e64 v21, 0, -1, vcc_lo
	v_cmp_ne_u16_e32 vcc_lo, 0, v7
	v_and_b32_e32 v33, 0xff, v20
	v_perm_b32 v17, v18, v17, 0xc0c0105
	v_and_b32_e32 v35, 1, v35
	v_lshlrev_b16 v21, 8, v21
	s_wait_alu 0xfffd
	v_cndmask_b32_e64 v7, 0, -1, vcc_lo
	v_lshrrev_b32_e32 v18, 16, v14
	v_sub_nc_i16 v6, v6, v38 clamp
	v_lshlrev_b32_e32 v35, 7, v35
	v_or_b32_e32 v33, v33, v21
	v_lshlrev_b16 v7, 8, v7
	v_lshlrev_b16 v14, 8, v14
	v_and_b32_e32 v37, 0xffffff00, v18
	v_lshlrev_b16 v18, 8, v18
	v_lshlrev_b16 v38, 8, v40
	v_or_b32_e32 v34, v34, v7
	v_and_b32_e32 v33, 0xffff, v33
	v_xor_b32_e32 v32, v35, v32
	v_sub_nc_i16 v14, v14, v36 clamp
	v_sub_nc_i16 v36, v37, v41 clamp
	v_lshlrev_b32_e32 v34, 16, v34
	v_sub_nc_i16 v18, v18, v38 clamp
	v_lshl_or_b32 v16, v17, 16, v16
	v_mul_lo_u32 v17, 0x1010101, v32
	v_perm_b32 v6, v14, v6, 0xc0c0105
	v_or_b32_e32 v33, v33, v34
	v_perm_b32 v14, v18, v36, 0xc0c0105
	v_dot4_i32_iu8 v0, v16, v0, v5 neg_lo:[1,1,0]
	v_lshlrev_b16 v16, 8, v20
	v_lshlrev_b16 v19, 8, v19
	v_xor_b32_e32 v15, v15, v33
	v_lshl_or_b32 v5, v14, 16, v6
	v_and_b32_e32 v14, 0x8040201, v17
	v_lshrrev_b32_e32 v18, 18, v17
	v_and_b32_e32 v32, 0x80402010, v17
	v_and_b32_e32 v6, 0xffffff00, v15
	v_dot4_i32_iu8 v0, v5, v1, v0 neg_lo:[1,1,0]
	v_lshlrev_b16 v5, 8, v15
	v_bfe_i32 v20, v17, 0, 1
	v_bfe_i32 v18, v18, 0, 1
	v_sub_nc_i16 v1, v6, v21 clamp
	v_lshrrev_b16 v6, 8, v14
	v_lshrrev_b32_e32 v14, 24, v14
	v_lshrrev_b16 v34, 8, v32
	v_and_b32_e32 v21, 0xff, v20
	v_sub_nc_i16 v5, v5, v16 clamp
	v_cmp_ne_u16_e32 vcc_lo, 0, v6
	v_and_b32_e32 v16, 0xff, v18
	v_lshrrev_b16 v33, 4, v32
	v_lshrrev_b32_e32 v32, 24, v32
	v_perm_b32 v1, v5, v1, 0xc0c0105
	s_wait_alu 0xfffd
	v_cndmask_b32_e64 v6, 0, -1, vcc_lo
	v_cmp_ne_u16_e32 vcc_lo, 0, v14
	v_lshrrev_b32_e32 v17, 22, v17
	v_bfe_i32 v33, v33, 0, 1
	v_lshrrev_b32_e32 v15, 16, v15
	v_lshlrev_b16 v6, 8, v6
	s_wait_alu 0xfffd
	v_cndmask_b32_e64 v14, 0, -1, vcc_lo
	v_cmp_ne_u16_e32 vcc_lo, 0, v34
	v_bfe_i32 v17, v17, 0, 1
	v_lshlrev_b16 v20, 8, v20
	v_or_b32_e32 v21, v21, v6
	v_lshlrev_b16 v14, 8, v14
	s_wait_alu 0xfffd
	v_cndmask_b32_e64 v34, 0, -1, vcc_lo
	v_cmp_ne_u16_e32 vcc_lo, 0, v32
	v_and_b32_e32 v35, 0xff, v17
	v_and_b32_e32 v21, 0xffff, v21
	v_or_b32_e32 v5, v16, v14
	v_lshlrev_b16 v34, 8, v34
	s_wait_alu 0xfffd
	v_cndmask_b32_e64 v32, 0, -1, vcc_lo
	v_and_b32_e32 v16, 0xffffff00, v15
	v_lshlrev_b16 v15, 8, v15
	v_lshlrev_b32_e32 v5, 16, v5
	v_lshlrev_b16 v17, 8, v17
	v_lshlrev_b16 v32, 8, v32
	v_sub_nc_i16 v7, v16, v7 clamp
	v_sub_nc_i16 v15, v15, v19 clamp
	v_or_b32_e32 v5, v21, v5
	v_and_b32_e32 v21, 0xff, v33
	v_cmp_le_u32_e32 vcc_lo, s15, v29
	s_delay_alu instid0(VALU_DEP_4)
	v_perm_b32 v7, v15, v7, 0xc0c0105
	s_wait_loadcnt 0x0
	v_xor_b32_e32 v5, v12, v5
	v_or_b32_e32 v12, v21, v34
	v_or_b32_e32 v21, v35, v32
	s_or_b32 s13, vcc_lo, s13
	v_lshl_or_b32 v1, v7, 16, v1
	v_and_b32_e32 v16, 0xffffff00, v5
	v_and_b32_e32 v12, 0xffff, v12
	v_lshlrev_b32_e32 v19, 16, v21
	v_lshlrev_b16 v21, 8, v5
	v_lshrrev_b32_e32 v5, 16, v5
	v_sub_nc_i16 v6, v16, v6 clamp
	v_dot4_i32_iu8 v0, v1, v2, v0 neg_lo:[1,1,0]
	v_or_b32_e32 v12, v12, v19
	v_sub_nc_i16 v15, v21, v20 clamp
	v_and_b32_e32 v16, 0xffffff00, v5
	v_lshlrev_b16 v5, 8, v5
	s_delay_alu instid0(VALU_DEP_4) | instskip(SKIP_1) | instid1(VALU_DEP_4)
	v_xor_b32_e32 v12, v13, v12
	v_lshlrev_b16 v13, 8, v18
	v_sub_nc_i16 v7, v16, v14 clamp
	v_perm_b32 v6, v15, v6, 0xc0c0105
	v_lshlrev_b16 v15, 8, v33
	v_lshrrev_b32_e32 v14, 16, v12
	v_sub_nc_i16 v5, v5, v13 clamp
	v_and_b32_e32 v13, 0xffffff00, v12
	v_lshlrev_b16 v12, 8, v12
	s_delay_alu instid0(VALU_DEP_4)
	v_and_b32_e32 v16, 0xffffff00, v14
	v_lshlrev_b16 v14, 8, v14
	v_perm_b32 v5, v5, v7, 0xc0c0105
	v_sub_nc_i16 v7, v13, v34 clamp
	v_sub_nc_i16 v12, v12, v15 clamp
	;; [unrolled: 1-line block ×4, first 2 shown]
	v_lshl_or_b32 v1, v5, 16, v6
	s_delay_alu instid0(VALU_DEP_4) | instskip(NEXT) | instid1(VALU_DEP_3)
	v_perm_b32 v2, v12, v7, 0xc0c0105
	v_perm_b32 v5, v14, v13, 0xc0c0105
	s_delay_alu instid0(VALU_DEP_3) | instskip(NEXT) | instid1(VALU_DEP_2)
	v_dot4_i32_iu8 v0, v1, v3, v0 neg_lo:[1,1,0]
	v_lshl_or_b32 v1, v5, 16, v2
	v_lshrrev_b32_e32 v2, 27, v11
	s_delay_alu instid0(VALU_DEP_2) | instskip(NEXT) | instid1(VALU_DEP_2)
	v_dot4_i32_iu8 v0, v1, v10, v0 neg_lo:[1,1,0]
	v_or_b32_e32 v1, 1, v2
	s_delay_alu instid0(VALU_DEP_1) | instskip(NEXT) | instid1(VALU_DEP_1)
	v_mul_lo_u32 v0, v0, v1
	v_ashrrev_i32_e32 v1, 31, v0
	s_delay_alu instid0(VALU_DEP_1) | instskip(NEXT) | instid1(VALU_DEP_1)
	v_lshrrev_b32_e32 v1, 29, v1
	v_add_nc_u32_e32 v0, v0, v1
	v_cvt_f32_f16_e32 v1, v31
	s_delay_alu instid0(VALU_DEP_2) | instskip(NEXT) | instid1(VALU_DEP_2)
	v_ashrrev_i32_e32 v0, 3, v0
	v_mul_f32_e32 v1, v1, v4
	s_delay_alu instid0(VALU_DEP_2) | instskip(NEXT) | instid1(VALU_DEP_1)
	v_cvt_f32_i32_e32 v0, v0
	v_fmac_f32_e32 v28, v1, v0
	s_and_not1_b32 exec_lo, exec_lo, s13
	s_cbranch_execz .LBB159_14
.LBB159_12:                             ; =>This Inner Loop Header: Depth=1
	v_add_nc_u32_e32 v20, s7, v29
	s_getpc_b64 s[4:5]
	s_wait_alu 0xfffe
	s_sext_i32_i16 s5, s5
	s_add_co_u32 s4, s4, _ZL11iq2xxs_grid@rel32@lo+12
	s_wait_alu 0xfffe
	s_add_co_ci_u32 s5, s5, _ZL11iq2xxs_grid@rel32@hi+24
	v_mad_co_i64_i32 v[0:1], null, 0x42, v20, s[8:9]
	s_delay_alu instid0(VALU_DEP_1) | instskip(SKIP_1) | instid1(VALU_DEP_2)
	v_add_co_u32 v2, vcc_lo, v0, v30
	s_wait_alu 0xfffd
	v_add_co_ci_u32_e64 v3, null, 0, v1, vcc_lo
	s_and_not1_b32 vcc_lo, exec_lo, s14
	s_clause 0x1
	global_load_u16 v31, v[0:1], off
	global_load_b64 v[10:11], v[2:3], off offset:2
	s_clause 0x1
	global_load_b128 v[4:7], v[8:9], off offset:-32
	global_load_b128 v[0:3], v[8:9], off offset:-16
	s_wait_loadcnt 0x1
	v_cvt_f32_f16_e32 v4, v4
	v_and_b32_e32 v12, 0xff, v10
	v_lshrrev_b32_e32 v13, 5, v10
	v_lshrrev_b32_e32 v14, 13, v10
	;; [unrolled: 1-line block ×3, first 2 shown]
	s_delay_alu instid0(VALU_DEP_4) | instskip(NEXT) | instid1(VALU_DEP_4)
	v_lshlrev_b32_e32 v12, 3, v12
	v_and_b32_e32 v13, 0x7f8, v13
	s_delay_alu instid0(VALU_DEP_4) | instskip(NEXT) | instid1(VALU_DEP_4)
	v_and_b32_e32 v14, 0x7f8, v14
	v_and_b32_e32 v21, 0x7f8, v10
	global_load_b32 v10, v[8:9], off
	s_clause 0x3
	global_load_b64 v[18:19], v12, s[4:5]
	global_load_b64 v[16:17], v13, s[4:5]
	;; [unrolled: 1-line block ×4, first 2 shown]
	s_wait_alu 0xfffe
	s_cbranch_vccnz .LBB159_11
; %bb.13:                               ;   in Loop: Header=BB159_12 Depth=1
	v_mad_co_i64_i32 v[32:33], null, 0x42, v20, s[16:17]
	s_delay_alu instid0(VALU_DEP_1) | instskip(SKIP_1) | instid1(VALU_DEP_2)
	v_add_co_u32 v20, vcc_lo, v32, v30
	s_wait_alu 0xfffd
	v_add_co_ci_u32_e64 v21, null, 0, v33, vcc_lo
	s_clause 0x1
	global_load_b64 v[20:21], v[20:21], off offset:2
	global_load_u16 v40, v[32:33], off
	s_wait_loadcnt 0x1
	v_and_b32_e32 v32, 0xff, v20
	v_lshrrev_b32_e32 v33, 5, v20
	v_lshrrev_b32_e32 v34, 13, v20
	;; [unrolled: 1-line block ×3, first 2 shown]
	v_bfe_u32 v43, v21, 14, 8
	v_lshlrev_b32_e32 v32, 3, v32
	v_and_b32_e32 v35, 0x7f8, v33
	v_and_b32_e32 v36, 0x7f8, v34
	;; [unrolled: 1-line block ×3, first 2 shown]
	v_bfe_u32 v44, v21, 21, 8
	s_clause 0x3
	global_load_b64 v[32:33], v32, s[4:5]
	global_load_b64 v[34:35], v35, s[4:5]
	;; [unrolled: 1-line block ×4, first 2 shown]
	v_and_b32_e32 v20, 0xff, v21
	v_bcnt_u32_b32 v46, v43, 0
	v_bcnt_u32_b32 v47, v44, 0
	v_bfe_u32 v41, v21, 7, 8
	v_lshrrev_b32_e32 v21, 27, v21
	v_bcnt_u32_b32 v42, v20, 0
	v_and_b32_e32 v46, 1, v46
	v_and_b32_e32 v47, 1, v47
	v_bcnt_u32_b32 v45, v41, 0
	v_or_b32_e32 v21, 1, v21
	v_and_b32_e32 v42, 1, v42
	s_delay_alu instid0(VALU_DEP_3) | instskip(NEXT) | instid1(VALU_DEP_2)
	v_and_b32_e32 v45, 1, v45
	v_lshlrev_b32_e32 v42, 7, v42
	s_delay_alu instid0(VALU_DEP_2) | instskip(NEXT) | instid1(VALU_DEP_2)
	v_lshlrev_b32_e32 v45, 7, v45
	v_xor_b32_e32 v20, v42, v20
	v_lshlrev_b32_e32 v42, 7, v46
	v_lshlrev_b32_e32 v46, 7, v47
	s_delay_alu instid0(VALU_DEP_4) | instskip(NEXT) | instid1(VALU_DEP_4)
	v_xor_b32_e32 v41, v45, v41
	v_mul_lo_u32 v20, 0x1010101, v20
	s_delay_alu instid0(VALU_DEP_4) | instskip(NEXT) | instid1(VALU_DEP_4)
	v_xor_b32_e32 v42, v42, v43
	v_xor_b32_e32 v43, v46, v44
	s_delay_alu instid0(VALU_DEP_4) | instskip(NEXT) | instid1(VALU_DEP_3)
	v_mul_lo_u32 v41, 0x1010101, v41
	v_mul_lo_u32 v42, 0x1010101, v42
	s_delay_alu instid0(VALU_DEP_3)
	v_mul_lo_u32 v43, 0x1010101, v43
	v_and_b32_e32 v44, 0x8040201, v20
	v_and_b32_e32 v47, 0x80402010, v20
	v_lshrrev_b32_e32 v45, 18, v20
	v_and_b32_e32 v48, 0x8040201, v41
	v_and_b32_e32 v51, 0x80402010, v41
	v_lshrrev_b16 v60, 8, v44
	v_lshrrev_b32_e32 v44, 24, v44
	v_lshrrev_b16 v62, 8, v47
	v_lshrrev_b32_e32 v63, 24, v47
	v_lshrrev_b16 v64, 8, v48
	v_cmp_ne_u16_e32 vcc_lo, 0, v60
	v_lshrrev_b32_e32 v48, 24, v48
	v_lshrrev_b16 v66, 8, v51
	v_and_b32_e32 v52, 0x8040201, v42
	v_lshrrev_b32_e32 v67, 24, v51
	s_wait_alu 0xfffd
	v_cndmask_b32_e64 v60, 0, -1, vcc_lo
	v_cmp_ne_u16_e32 vcc_lo, 0, v44
	v_and_b32_e32 v55, 0x80402010, v42
	v_lshrrev_b16 v68, 8, v52
	v_lshrrev_b32_e32 v52, 24, v52
	v_and_b32_e32 v56, 0x8040201, v43
	s_wait_alu 0xfffd
	v_cndmask_b32_e64 v44, 0, -1, vcc_lo
	v_cmp_ne_u16_e32 vcc_lo, 0, v62
	v_lshrrev_b16 v70, 8, v55
	v_lshrrev_b32_e32 v71, 24, v55
	v_lshrrev_b16 v72, 8, v56
	v_bfe_i32 v46, v20, 0, 1
	s_wait_alu 0xfffd
	v_cndmask_b32_e64 v62, 0, -1, vcc_lo
	v_cmp_ne_u16_e32 vcc_lo, 0, v63
	v_lshrrev_b32_e32 v20, 22, v20
	v_lshrrev_b32_e32 v49, 18, v41
	v_and_b32_e32 v59, 0x80402010, v43
	v_bfe_i32 v45, v45, 0, 1
	s_wait_alu 0xfffd
	v_cndmask_b32_e64 v63, 0, -1, vcc_lo
	v_cmp_ne_u16_e32 vcc_lo, 0, v64
	v_lshrrev_b16 v47, 4, v47
	v_lshrrev_b32_e32 v56, 24, v56
	v_bfe_i32 v50, v41, 0, 1
	v_lshrrev_b32_e32 v53, 18, v42
	s_wait_alu 0xfffd
	v_cndmask_b32_e64 v64, 0, -1, vcc_lo
	v_cmp_ne_u16_e32 vcc_lo, 0, v48
	v_lshrrev_b32_e32 v57, 18, v43
	v_and_b32_e32 v61, 0xff, v46
	v_bfe_i32 v20, v20, 0, 1
	v_bfe_i32 v49, v49, 0, 1
	s_wait_alu 0xfffd
	v_cndmask_b32_e64 v48, 0, -1, vcc_lo
	v_cmp_ne_u16_e32 vcc_lo, 0, v66
	v_lshrrev_b16 v74, 8, v59
	v_and_b32_e32 v76, 0xff, v45
	v_bfe_i32 v47, v47, 0, 1
	v_lshlrev_b16 v60, 8, v60
	s_wait_alu 0xfffd
	v_cndmask_b32_e64 v66, 0, -1, vcc_lo
	v_cmp_ne_u16_e32 vcc_lo, 0, v67
	v_lshlrev_b16 v44, 8, v44
	v_lshrrev_b32_e32 v41, 22, v41
	v_bfe_i32 v54, v42, 0, 1
	v_bfe_i32 v58, v43, 0, 1
	s_wait_alu 0xfffd
	v_cndmask_b32_e64 v67, 0, -1, vcc_lo
	v_cmp_ne_u16_e32 vcc_lo, 0, v68
	v_and_b32_e32 v65, 0xff, v50
	v_lshrrev_b16 v51, 4, v51
	v_bfe_i32 v53, v53, 0, 1
	v_bfe_i32 v57, v57, 0, 1
	s_wait_alu 0xfffd
	v_cndmask_b32_e64 v68, 0, -1, vcc_lo
	v_cmp_ne_u16_e32 vcc_lo, 0, v52
	v_lshrrev_b32_e32 v75, 24, v59
	v_and_b32_e32 v77, 0xff, v20
	v_and_b32_e32 v78, 0xff, v49
	;; [unrolled: 1-line block ×3, first 2 shown]
	s_wait_alu 0xfffd
	v_cndmask_b32_e64 v52, 0, -1, vcc_lo
	v_cmp_ne_u16_e32 vcc_lo, 0, v70
	v_lshlrev_b16 v62, 8, v62
	v_lshlrev_b16 v63, 8, v63
	;; [unrolled: 1-line block ×4, first 2 shown]
	s_wait_alu 0xfffd
	v_cndmask_b32_e64 v70, 0, -1, vcc_lo
	v_cmp_ne_u16_e32 vcc_lo, 0, v71
	v_or_b32_e32 v61, v61, v60
	v_or_b32_e32 v76, v76, v44
	v_lshrrev_b32_e32 v42, 22, v42
	v_lshrrev_b32_e32 v43, 22, v43
	s_wait_alu 0xfffd
	v_cndmask_b32_e64 v71, 0, -1, vcc_lo
	v_cmp_ne_u16_e32 vcc_lo, 0, v72
	v_bfe_i32 v41, v41, 0, 1
	v_and_b32_e32 v69, 0xff, v54
	v_lshrrev_b16 v55, 4, v55
	v_and_b32_e32 v73, 0xff, v58
	s_wait_alu 0xfffd
	v_cndmask_b32_e64 v72, 0, -1, vcc_lo
	v_cmp_ne_u16_e32 vcc_lo, 0, v56
	v_lshrrev_b16 v59, 4, v59
	v_bfe_i32 v51, v51, 0, 1
	v_and_b32_e32 v80, 0xff, v53
	v_and_b32_e32 v82, 0xff, v57
	s_wait_alu 0xfffd
	v_cndmask_b32_e64 v56, 0, -1, vcc_lo
	v_cmp_ne_u16_e32 vcc_lo, 0, v74
	v_lshlrev_b16 v68, 8, v68
	v_lshlrev_b16 v52, 8, v52
	v_lshlrev_b16 v72, 8, v72
	v_lshlrev_b16 v56, 8, v56
	s_wait_alu 0xfffd
	v_cndmask_b32_e64 v74, 0, -1, vcc_lo
	v_cmp_ne_u16_e32 vcc_lo, 0, v75
	v_or_b32_e32 v84, v84, v62
	v_or_b32_e32 v77, v77, v63
	v_or_b32_e32 v65, v65, v64
	v_or_b32_e32 v78, v78, v48
	v_and_b32_e32 v61, 0xffff, v61
	v_lshlrev_b32_e32 v76, 16, v76
	v_bfe_i32 v42, v42, 0, 1
	v_bfe_i32 v43, v43, 0, 1
	v_and_b32_e32 v79, 0xff, v41
	v_bfe_i32 v55, v55, 0, 1
	v_bfe_i32 v59, v59, 0, 1
	s_wait_alu 0xfffd
	v_cndmask_b32_e64 v75, 0, -1, vcc_lo
	v_and_b32_e32 v85, 0xff, v51
	v_lshlrev_b16 v66, 8, v66
	v_lshlrev_b16 v67, 8, v67
	v_or_b32_e32 v69, v69, v68
	v_or_b32_e32 v80, v80, v52
	;; [unrolled: 1-line block ×4, first 2 shown]
	v_and_b32_e32 v84, 0xffff, v84
	v_lshlrev_b32_e32 v77, 16, v77
	v_and_b32_e32 v65, 0xffff, v65
	v_lshlrev_b32_e32 v78, 16, v78
	v_or_b32_e32 v61, v61, v76
	v_and_b32_e32 v81, 0xff, v42
	v_and_b32_e32 v83, 0xff, v43
	;; [unrolled: 1-line block ×3, first 2 shown]
	v_lshlrev_b16 v70, 8, v70
	v_lshlrev_b16 v71, 8, v71
	v_and_b32_e32 v87, 0xff, v59
	v_lshlrev_b16 v74, 8, v74
	v_lshlrev_b16 v75, 8, v75
	v_or_b32_e32 v85, v85, v66
	v_or_b32_e32 v79, v79, v67
	v_and_b32_e32 v69, 0xffff, v69
	v_lshlrev_b32_e32 v80, 16, v80
	v_and_b32_e32 v73, 0xffff, v73
	v_lshlrev_b32_e32 v82, 16, v82
	v_or_b32_e32 v76, v84, v77
	v_or_b32_e32 v65, v65, v78
	v_lshlrev_b16 v46, 8, v46
	v_or_b32_e32 v86, v86, v70
	v_or_b32_e32 v81, v81, v71
	;; [unrolled: 1-line block ×4, first 2 shown]
	v_and_b32_e32 v85, 0xffff, v85
	v_lshlrev_b32_e32 v79, 16, v79
	v_or_b32_e32 v69, v69, v80
	v_or_b32_e32 v73, v73, v82
	v_lshlrev_b16 v45, 8, v45
	v_lshlrev_b16 v47, 8, v47
	v_and_b32_e32 v86, 0xffff, v86
	v_lshlrev_b32_e32 v81, 16, v81
	v_and_b32_e32 v87, 0xffff, v87
	v_lshlrev_b32_e32 v83, 16, v83
	v_or_b32_e32 v77, v85, v79
	v_lshlrev_b16 v50, 8, v50
	v_lshlrev_b16 v20, 8, v20
	v_or_b32_e32 v78, v86, v81
	v_or_b32_e32 v79, v87, v83
	v_lshlrev_b16 v49, 8, v49
	v_lshlrev_b16 v51, 8, v51
	;; [unrolled: 1-line block ×11, first 2 shown]
	s_wait_loadcnt 0x2
	v_xor_b32_e32 v34, v34, v65
	v_xor_b32_e32 v32, v32, v61
	;; [unrolled: 1-line block ×3, first 2 shown]
	s_wait_loadcnt 0x1
	v_xor_b32_e32 v36, v36, v69
	s_wait_loadcnt 0x0
	v_xor_b32_e32 v38, v38, v73
	v_xor_b32_e32 v35, v35, v77
	v_lshrrev_b32_e32 v61, 16, v32
	v_and_b32_e32 v65, 0xffffff00, v32
	v_lshlrev_b16 v32, 8, v32
	v_lshrrev_b32_e32 v69, 16, v33
	v_and_b32_e32 v73, 0xffffff00, v33
	v_lshlrev_b16 v33, 8, v33
	v_lshrrev_b32_e32 v76, 16, v34
	v_sub_nc_i16 v32, v32, v46 clamp
	v_and_b32_e32 v46, 0xffffff00, v61
	v_lshlrev_b16 v61, 8, v61
	v_and_b32_e32 v77, 0xffffff00, v34
	v_lshlrev_b16 v34, 8, v34
	v_sub_nc_i16 v60, v65, v60 clamp
	v_sub_nc_i16 v33, v33, v47 clamp
	v_and_b32_e32 v47, 0xffffff00, v69
	v_lshlrev_b16 v65, 8, v69
	v_sub_nc_i16 v44, v46, v44 clamp
	v_sub_nc_i16 v45, v61, v45 clamp
	v_xor_b32_e32 v37, v37, v78
	v_xor_b32_e32 v39, v39, v79
	v_lshrrev_b32_e32 v78, 16, v35
	v_and_b32_e32 v79, 0xffffff00, v35
	v_lshlrev_b16 v35, 8, v35
	v_sub_nc_i16 v62, v73, v62 clamp
	v_sub_nc_i16 v34, v34, v50 clamp
	v_and_b32_e32 v50, 0xffffff00, v76
	v_lshlrev_b16 v69, 8, v76
	v_perm_b32 v32, v32, v60, 0xc0c0105
	v_sub_nc_i16 v46, v47, v63 clamp
	v_sub_nc_i16 v20, v65, v20 clamp
	v_perm_b32 v44, v45, v44, 0xc0c0105
	v_lshrrev_b32_e32 v80, 16, v36
	v_and_b32_e32 v81, 0xffffff00, v36
	v_lshlrev_b16 v36, 8, v36
	v_sub_nc_i16 v64, v77, v64 clamp
	v_sub_nc_i16 v35, v35, v51 clamp
	v_and_b32_e32 v51, 0xffffff00, v78
	v_lshlrev_b16 v73, 8, v78
	v_perm_b32 v33, v33, v62, 0xc0c0105
	v_sub_nc_i16 v47, v50, v48 clamp
	v_sub_nc_i16 v48, v69, v49 clamp
	v_perm_b32 v20, v20, v46, 0xc0c0105
	v_lshl_or_b32 v32, v44, 16, v32
	v_lshrrev_b32_e32 v82, 16, v37
	v_and_b32_e32 v83, 0xffffff00, v37
	v_lshlrev_b16 v37, 8, v37
	v_sub_nc_i16 v66, v79, v66 clamp
	v_sub_nc_i16 v36, v36, v54 clamp
	v_and_b32_e32 v54, 0xffffff00, v80
	v_lshlrev_b16 v76, 8, v80
	v_perm_b32 v34, v34, v64, 0xc0c0105
	v_sub_nc_i16 v45, v51, v67 clamp
	v_sub_nc_i16 v41, v73, v41 clamp
	v_perm_b32 v47, v48, v47, 0xc0c0105
	v_lshl_or_b32 v20, v20, 16, v33
	v_dot4_i32_iu8 v32, v32, v5, 0 neg_lo:[1,1,0]
	v_lshrrev_b32_e32 v84, 16, v38
	v_and_b32_e32 v85, 0xffffff00, v38
	v_lshlrev_b16 v38, 8, v38
	v_sub_nc_i16 v68, v81, v68 clamp
	v_sub_nc_i16 v70, v83, v70 clamp
	;; [unrolled: 1-line block ×3, first 2 shown]
	v_and_b32_e32 v55, 0xffffff00, v82
	v_lshlrev_b16 v77, 8, v82
	v_perm_b32 v35, v35, v66, 0xc0c0105
	v_sub_nc_i16 v44, v54, v52 clamp
	v_sub_nc_i16 v46, v76, v53 clamp
	v_perm_b32 v41, v41, v45, 0xc0c0105
	v_lshl_or_b32 v34, v47, 16, v34
	v_dot4_i32_iu8 v20, v20, v6, v32 neg_lo:[1,1,0]
	v_lshrrev_b32_e32 v86, 16, v39
	v_and_b32_e32 v87, 0xffffff00, v39
	v_lshlrev_b16 v39, 8, v39
	v_sub_nc_i16 v38, v38, v58 clamp
	v_and_b32_e32 v58, 0xffffff00, v84
	v_lshlrev_b16 v78, 8, v84
	v_perm_b32 v36, v36, v68, 0xc0c0105
	v_perm_b32 v33, v37, v70, 0xc0c0105
	v_sub_nc_i16 v37, v55, v71 clamp
	v_sub_nc_i16 v32, v77, v42 clamp
	v_perm_b32 v42, v46, v44, 0xc0c0105
	v_lshl_or_b32 v35, v41, 16, v35
	v_dot4_i32_iu8 v20, v34, v7, v20 neg_lo:[1,1,0]
	v_sub_nc_i16 v72, v85, v72 clamp
	v_sub_nc_i16 v39, v39, v59 clamp
	v_and_b32_e32 v59, 0xffffff00, v86
	v_lshlrev_b16 v79, 8, v86
	v_sub_nc_i16 v34, v58, v56 clamp
	v_sub_nc_i16 v41, v78, v57 clamp
	v_perm_b32 v32, v32, v37, 0xc0c0105
	v_lshl_or_b32 v36, v42, 16, v36
	v_dot4_i32_iu8 v20, v35, v0, v20 neg_lo:[1,1,0]
	v_sub_nc_i16 v74, v87, v74 clamp
	v_perm_b32 v38, v38, v72, 0xc0c0105
	v_sub_nc_i16 v35, v59, v75 clamp
	v_sub_nc_i16 v37, v79, v43 clamp
	v_perm_b32 v34, v41, v34, 0xc0c0105
	v_lshl_or_b32 v32, v32, 16, v33
	v_dot4_i32_iu8 v20, v36, v1, v20 neg_lo:[1,1,0]
	v_perm_b32 v33, v39, v74, 0xc0c0105
	v_perm_b32 v35, v37, v35, 0xc0c0105
	v_lshl_or_b32 v34, v34, 16, v38
	s_delay_alu instid0(VALU_DEP_4) | instskip(NEXT) | instid1(VALU_DEP_3)
	v_dot4_i32_iu8 v20, v32, v2, v20 neg_lo:[1,1,0]
	v_lshl_or_b32 v32, v35, 16, v33
	s_delay_alu instid0(VALU_DEP_2) | instskip(NEXT) | instid1(VALU_DEP_1)
	v_dot4_i32_iu8 v20, v34, v3, v20 neg_lo:[1,1,0]
	v_dot4_i32_iu8 v20, v32, v10, v20 neg_lo:[1,1,0]
	s_delay_alu instid0(VALU_DEP_1) | instskip(NEXT) | instid1(VALU_DEP_1)
	v_mul_lo_u32 v20, v20, v21
	v_ashrrev_i32_e32 v21, 31, v20
	s_delay_alu instid0(VALU_DEP_1) | instskip(NEXT) | instid1(VALU_DEP_1)
	v_lshrrev_b32_e32 v21, 29, v21
	v_add_nc_u32_e32 v20, v20, v21
	v_cvt_f32_f16_e32 v21, v40
	s_delay_alu instid0(VALU_DEP_2) | instskip(NEXT) | instid1(VALU_DEP_2)
	v_ashrrev_i32_e32 v20, 3, v20
	v_mul_f32_e32 v21, v4, v21
	s_delay_alu instid0(VALU_DEP_2) | instskip(NEXT) | instid1(VALU_DEP_1)
	v_cvt_f32_i32_e32 v20, v20
	v_fmac_f32_e32 v27, v21, v20
	s_branch .LBB159_11
.LBB159_14:
	s_or_b32 exec_lo, exec_lo, s13
.LBB159_15:
	s_delay_alu instid0(SALU_CYCLE_1)
	s_or_b32 exec_lo, exec_lo, s18
	s_load_b32 s4, s[0:1], 0x30
	s_wait_loadcnt 0x0
	; wave barrier
	global_inv scope:SCOPE_SE
	s_mov_b32 s5, exec_lo
	v_cmpx_eq_u32_e32 0, v25
	s_cbranch_execz .LBB159_43
; %bb.16:
	v_mbcnt_lo_u32_b32 v1, -1, 0
	s_delay_alu instid0(VALU_DEP_1) | instskip(SKIP_2) | instid1(VALU_DEP_3)
	v_xor_b32_e32 v0, 16, v1
	v_xor_b32_e32 v3, 8, v1
	v_xor_b32_e32 v4, 4, v1
	v_cmp_gt_i32_e32 vcc_lo, 32, v0
	s_wait_alu 0xfffd
	v_cndmask_b32_e32 v0, v1, v0, vcc_lo
	v_cmp_gt_i32_e32 vcc_lo, 32, v3
	s_wait_alu 0xfffd
	v_cndmask_b32_e32 v3, v1, v3, vcc_lo
	v_cmp_gt_i32_e32 vcc_lo, 32, v4
	s_delay_alu instid0(VALU_DEP_2)
	v_lshlrev_b32_e32 v3, 2, v3
	v_lshlrev_b32_e32 v0, 2, v0
	s_wait_alu 0xfffd
	v_cndmask_b32_e32 v4, v1, v4, vcc_lo
	ds_bpermute_b32 v2, v0, v28
	s_wait_dscnt 0x0
	v_add_f32_e32 v2, v28, v2
	ds_bpermute_b32 v5, v3, v2
	s_wait_dscnt 0x0
	v_add_f32_e32 v2, v2, v5
	v_xor_b32_e32 v5, 2, v1
	s_delay_alu instid0(VALU_DEP_1) | instskip(SKIP_2) | instid1(VALU_DEP_1)
	v_cmp_gt_i32_e32 vcc_lo, 32, v5
	s_wait_alu 0xfffd
	v_cndmask_b32_e32 v5, v1, v5, vcc_lo
	v_lshlrev_b32_e32 v5, 2, v5
	v_lshlrev_b32_e32 v4, 2, v4
	ds_bpermute_b32 v6, v4, v2
	s_wait_dscnt 0x0
	v_add_f32_e32 v2, v2, v6
	v_xor_b32_e32 v6, 1, v1
	ds_bpermute_b32 v7, v5, v2
	v_cmp_gt_i32_e32 vcc_lo, 32, v6
	s_wait_alu 0xfffd
	v_cndmask_b32_e32 v1, v1, v6, vcc_lo
	v_cmp_ne_u32_e32 vcc_lo, 1, v26
	s_delay_alu instid0(VALU_DEP_2)
	v_lshlrev_b32_e32 v6, 2, v1
	s_wait_dscnt 0x0
	v_add_f32_e32 v1, v2, v7
	ds_bpermute_b32 v2, v6, v1
	s_cbranch_vccnz .LBB159_18
; %bb.17:
	ds_bpermute_b32 v0, v0, v27
	s_wait_dscnt 0x0
	v_add_f32_e32 v0, v27, v0
	ds_bpermute_b32 v3, v3, v0
	s_wait_dscnt 0x0
	v_add_f32_e32 v0, v0, v3
	;; [unrolled: 3-line block ×5, first 2 shown]
.LBB159_18:
	v_cmp_eq_u32_e32 vcc_lo, 0, v22
	s_and_b32 exec_lo, exec_lo, vcc_lo
	s_cbranch_execz .LBB159_43
; %bb.19:
	s_wait_dscnt 0x0
	v_add_f32_e32 v0, v1, v2
	v_cmp_ne_u32_e32 vcc_lo, 1, v26
	s_delay_alu instid0(VALU_DEP_2) | instskip(NEXT) | instid1(VALU_DEP_1)
	v_add_f32_e32 v1, v24, v0
	v_cndmask_b32_e64 v0, v0, v1, s2
	s_cbranch_vccnz .LBB159_42
; %bb.20:
	v_add_f32_e32 v1, v23, v27
	s_wait_kmcnt 0x0
	s_cmp_lt_i32 s4, 2
	s_mov_b32 s2, 0
	s_delay_alu instid0(VALU_DEP_1)
	v_cndmask_b32_e64 v1, v27, v1, s3
	s_cbranch_scc1 .LBB159_25
; %bb.21:
	s_cmp_gt_i32 s4, 2
	s_cbranch_scc0 .LBB159_26
; %bb.22:
	s_cmp_eq_u32 s4, 3
	s_cbranch_scc0 .LBB159_27
; %bb.23:
	v_max_num_f32_e32 v2, v1, v1
	s_mov_b32 s3, 0xc0e00000
	s_delay_alu instid0(VALU_DEP_1) | instskip(NEXT) | instid1(VALU_DEP_1)
	v_min_num_f32_e32 v2, 0x40e00000, v2
	v_mul_f32_e32 v3, 0xbfd9db23, v2
	s_delay_alu instid0(VALU_DEP_1) | instskip(NEXT) | instid1(VALU_DEP_1)
	v_mul_f32_e32 v4, 0x3fb8aa3b, v3
	v_fma_f32 v5, 0x3fb8aa3b, v3, -v4
	v_rndne_f32_e32 v6, v4
	s_delay_alu instid0(VALU_DEP_1) | instskip(NEXT) | instid1(VALU_DEP_1)
	v_dual_fmamk_f32 v5, v3, 0x32a5705f, v5 :: v_dual_sub_f32 v4, v4, v6
	v_add_f32_e32 v4, v4, v5
	v_cvt_i32_f32_e32 v5, v6
	v_cmp_ngt_f32_e32 vcc_lo, 0xc2ce8ed0, v3
	s_delay_alu instid0(VALU_DEP_3) | instskip(NEXT) | instid1(TRANS32_DEP_1)
	v_exp_f32_e32 v4, v4
	v_ldexp_f32 v4, v4, v5
	s_wait_alu 0xfffd
	s_delay_alu instid0(VALU_DEP_1) | instskip(SKIP_2) | instid1(VALU_DEP_2)
	v_cndmask_b32_e32 v4, 0, v4, vcc_lo
	v_cmp_nlt_f32_e32 vcc_lo, 0x42b17218, v3
	s_wait_alu 0xfffd
	v_cndmask_b32_e32 v3, 0x7f800000, v4, vcc_lo
	s_delay_alu instid0(VALU_DEP_1) | instskip(NEXT) | instid1(VALU_DEP_1)
	v_add_f32_e32 v3, 1.0, v3
	v_div_scale_f32 v4, null, v3, v3, v2
	v_div_scale_f32 v7, vcc_lo, v2, v3, v2
	s_delay_alu instid0(VALU_DEP_2) | instskip(NEXT) | instid1(TRANS32_DEP_1)
	v_rcp_f32_e32 v5, v4
	v_fma_f32 v6, -v4, v5, 1.0
	s_delay_alu instid0(VALU_DEP_1) | instskip(NEXT) | instid1(VALU_DEP_1)
	v_fmac_f32_e32 v5, v6, v5
	v_mul_f32_e32 v6, v7, v5
	s_delay_alu instid0(VALU_DEP_1) | instskip(NEXT) | instid1(VALU_DEP_1)
	v_fma_f32 v8, -v4, v6, v7
	v_fmac_f32_e32 v6, v8, v5
	s_delay_alu instid0(VALU_DEP_1) | instskip(SKIP_1) | instid1(VALU_DEP_1)
	v_fma_f32 v4, -v4, v6, v7
	s_wait_alu 0xfffd
	v_div_fmas_f32 v4, v4, v5, v6
	s_delay_alu instid0(VALU_DEP_1) | instskip(SKIP_2) | instid1(VALU_DEP_1)
	v_div_fixup_f32 v2, v4, v3, v2
	v_max_num_f32_e32 v7, v0, v0
	s_wait_alu 0xfffe
	v_minmax_num_f32 v5, v7, 0x40e00000, s3
	s_mov_b32 s3, 0
	s_delay_alu instid0(VALU_DEP_1) | instskip(NEXT) | instid1(VALU_DEP_1)
	v_add_f32_e32 v3, 1.0, v5
	v_mul_f32_e32 v2, v3, v2
	s_branch .LBB159_28
.LBB159_24:
                                        ; implicit-def: $sgpr28
	s_clause 0x1
	s_load_b32 s30, s[0:1], 0x50
	s_load_b32 s29, s[0:1], 0x78
	s_branch .LBB159_2
.LBB159_25:
	s_mov_b32 s3, 0
                                        ; implicit-def: $vgpr2
	s_cbranch_execnz .LBB159_32
	s_branch .LBB159_33
.LBB159_26:
	s_mov_b32 s5, -1
	s_mov_b32 s3, 0
                                        ; implicit-def: $vgpr2
	s_branch .LBB159_29
.LBB159_27:
	s_mov_b32 s3, -1
                                        ; implicit-def: $vgpr2
.LBB159_28:
	s_mov_b32 s5, 0
.LBB159_29:
	s_wait_alu 0xfffe
	s_and_b32 vcc_lo, exec_lo, s5
	s_wait_alu 0xfffe
	s_cbranch_vccz .LBB159_31
; %bb.30:
	v_mul_f32_e32 v2, 0xbfb8aa3b, v1
	v_cmp_nlt_f32_e32 vcc_lo, 0x42ce8ed0, v1
	s_delay_alu instid0(VALU_DEP_2) | instskip(SKIP_1) | instid1(VALU_DEP_2)
	v_rndne_f32_e32 v3, v2
	v_fma_f32 v4, 0xbfb8aa3b, v1, -v2
	v_sub_f32_e32 v2, v2, v3
	s_delay_alu instid0(VALU_DEP_2) | instskip(SKIP_1) | instid1(VALU_DEP_2)
	v_fmamk_f32 v4, v1, 0xb2a5705f, v4
	v_cvt_i32_f32_e32 v3, v3
	v_add_f32_e32 v2, v2, v4
	s_delay_alu instid0(VALU_DEP_1) | instskip(NEXT) | instid1(TRANS32_DEP_1)
	v_exp_f32_e32 v2, v2
	v_ldexp_f32 v2, v2, v3
	s_wait_alu 0xfffd
	s_delay_alu instid0(VALU_DEP_1) | instskip(SKIP_2) | instid1(VALU_DEP_2)
	v_cndmask_b32_e32 v2, 0, v2, vcc_lo
	v_cmp_ngt_f32_e32 vcc_lo, 0xc2b17218, v1
	s_wait_alu 0xfffd
	v_cndmask_b32_e32 v2, 0x7f800000, v2, vcc_lo
	s_delay_alu instid0(VALU_DEP_1) | instskip(NEXT) | instid1(VALU_DEP_1)
	v_add_f32_e32 v2, 1.0, v2
	v_div_scale_f32 v3, null, v2, v2, v1
	s_delay_alu instid0(VALU_DEP_1) | instskip(NEXT) | instid1(TRANS32_DEP_1)
	v_rcp_f32_e32 v4, v3
	v_fma_f32 v5, -v3, v4, 1.0
	s_delay_alu instid0(VALU_DEP_1) | instskip(SKIP_1) | instid1(VALU_DEP_1)
	v_fmac_f32_e32 v4, v5, v4
	v_div_scale_f32 v5, vcc_lo, v1, v2, v1
	v_mul_f32_e32 v6, v5, v4
	s_delay_alu instid0(VALU_DEP_1) | instskip(NEXT) | instid1(VALU_DEP_1)
	v_fma_f32 v7, -v3, v6, v5
	v_fmac_f32_e32 v6, v7, v4
	s_delay_alu instid0(VALU_DEP_1) | instskip(SKIP_1) | instid1(VALU_DEP_1)
	v_fma_f32 v3, -v3, v6, v5
	s_wait_alu 0xfffd
	v_div_fmas_f32 v3, v3, v4, v6
	s_delay_alu instid0(VALU_DEP_1) | instskip(NEXT) | instid1(VALU_DEP_1)
	v_div_fixup_f32 v2, v3, v2, v1
	v_mul_f32_e32 v2, v0, v2
.LBB159_31:
	s_branch .LBB159_33
.LBB159_32:
	s_cmp_lg_u32 s4, 1
	s_mov_b32 s2, -1
	s_cselect_b32 s3, -1, 0
.LBB159_33:
	s_wait_alu 0xfffe
	s_and_not1_b32 vcc_lo, exec_lo, s3
	s_wait_alu 0xfffe
	s_cbranch_vccz .LBB159_35
; %bb.34:
	s_and_not1_b32 vcc_lo, exec_lo, s2
	s_wait_alu 0xfffe
	s_cbranch_vccz .LBB159_36
	s_branch .LBB159_41
.LBB159_35:
	v_mul_f32_e32 v2, v1, v0
	s_cbranch_execnz .LBB159_41
.LBB159_36:
	v_mul_f32_e32 v2, 0x3d372713, v1
	v_mul_f32_e32 v3, 0x3f4c422a, v1
	s_delay_alu instid0(VALU_DEP_2) | instskip(NEXT) | instid1(VALU_DEP_1)
	v_fma_f32 v2, v1, v2, 1.0
	v_mul_f32_e32 v2, v3, v2
                                        ; implicit-def: $vgpr3
	s_delay_alu instid0(VALU_DEP_1)
	v_cmp_ngt_f32_e64 s2, 0x3f200000, |v2|
	s_and_saveexec_b32 s3, s2
	s_wait_alu 0xfffe
	s_xor_b32 s2, exec_lo, s3
	s_cbranch_execz .LBB159_38
; %bb.37:
	v_add_f32_e64 v3, |v2|, |v2|
	s_delay_alu instid0(VALU_DEP_1) | instskip(SKIP_1) | instid1(VALU_DEP_2)
	v_mul_f32_e32 v4, 0x3fb8aa3b, v3
	v_cmp_ngt_f32_e32 vcc_lo, 0xc2ce8ed0, v3
	v_rndne_f32_e32 v5, v4
	v_fma_f32 v6, 0x3fb8aa3b, v3, -v4
	s_delay_alu instid0(VALU_DEP_2) | instskip(NEXT) | instid1(VALU_DEP_2)
	v_sub_f32_e32 v4, v4, v5
	v_fmamk_f32 v6, v3, 0x32a5705f, v6
	v_cvt_i32_f32_e32 v5, v5
	s_delay_alu instid0(VALU_DEP_2) | instskip(NEXT) | instid1(VALU_DEP_1)
	v_add_f32_e32 v4, v4, v6
	v_exp_f32_e32 v4, v4
	s_delay_alu instid0(TRANS32_DEP_1) | instskip(SKIP_1) | instid1(VALU_DEP_1)
	v_ldexp_f32 v4, v4, v5
	s_wait_alu 0xfffd
	v_cndmask_b32_e32 v4, 0, v4, vcc_lo
	v_cmp_nlt_f32_e32 vcc_lo, 0x42b17218, v3
	s_wait_alu 0xfffd
	s_delay_alu instid0(VALU_DEP_2) | instskip(NEXT) | instid1(VALU_DEP_1)
	v_cndmask_b32_e32 v3, 0x7f800000, v4, vcc_lo
	v_add_f32_e32 v3, 1.0, v3
	s_delay_alu instid0(VALU_DEP_1) | instskip(NEXT) | instid1(TRANS32_DEP_1)
	v_rcp_f32_e32 v3, v3
	v_fma_f32 v3, v3, -2.0, 1.0
.LBB159_38:
	s_wait_alu 0xfffe
	s_and_not1_saveexec_b32 s2, s2
	s_cbranch_execz .LBB159_40
; %bb.39:
	v_mul_f32_e32 v3, v2, v2
	s_mov_b32 s3, 0xbbbac73d
	s_wait_alu 0xfffe
	s_delay_alu instid0(VALU_DEP_1) | instskip(NEXT) | instid1(VALU_DEP_1)
	v_fmaak_f32 v4, s3, v3, 0x3ca908c9
	v_fmaak_f32 v4, v3, v4, 0xbd5c1c4e
	s_delay_alu instid0(VALU_DEP_1) | instskip(NEXT) | instid1(VALU_DEP_1)
	v_fmaak_f32 v4, v3, v4, 0x3e088382
	v_fmaak_f32 v4, v3, v4, 0xbeaaaa99
	s_delay_alu instid0(VALU_DEP_1) | instskip(NEXT) | instid1(VALU_DEP_1)
	v_mul_f32_e64 v4, |v2|, v4
	v_fma_f32 v3, v3, v4, |v2|
.LBB159_40:
	s_wait_alu 0xfffe
	s_or_b32 exec_lo, exec_lo, s2
	s_delay_alu instid0(VALU_DEP_1) | instskip(NEXT) | instid1(VALU_DEP_1)
	v_bfi_b32 v2, 0x7fffffff, v3, v2
	v_dual_mul_f32 v1, 0.5, v1 :: v_dual_add_f32 v2, 1.0, v2
	s_delay_alu instid0(VALU_DEP_1) | instskip(NEXT) | instid1(VALU_DEP_1)
	v_mul_f32_e32 v1, v1, v2
	v_mul_f32_e32 v2, v0, v1
.LBB159_41:
	s_delay_alu instid0(VALU_DEP_1)
	v_mov_b32_e32 v0, v2
.LBB159_42:
	s_load_b64 s[0:1], s[0:1], 0x38
	s_mul_i32 s2, s6, s27
	s_wait_kmcnt 0x0
	s_mul_i32 s3, s26, s21
	s_wait_alu 0xfffe
	s_add_co_i32 s2, s2, ttmp9
	v_lshlrev_b32_e32 v1, 2, v22
	s_wait_alu 0xfffe
	s_add_co_i32 s2, s2, s3
	s_mov_b32 s3, 0
	s_wait_alu 0xfffe
	s_lshl_b64 s[2:3], s[2:3], 2
	s_wait_alu 0xfffe
	s_add_nc_u64 s[0:1], s[0:1], s[2:3]
	global_store_b32 v1, v0, s[0:1]
.LBB159_43:
	s_endpgm
	.section	.rodata,"a",@progbits
	.p2align	6, 0x0
	.amdhsa_kernel _ZL13mul_mat_vec_qIL9ggml_type16ELi1ELb1ELb0EEvPKvS2_PKi31ggml_cuda_mm_fusion_args_devicePfj15HIP_vector_typeIjLj3EEjjjS8_jjjS8_jjjj
		.amdhsa_group_segment_fixed_size 0
		.amdhsa_private_segment_fixed_size 0
		.amdhsa_kernarg_size 144
		.amdhsa_user_sgpr_count 2
		.amdhsa_user_sgpr_dispatch_ptr 0
		.amdhsa_user_sgpr_queue_ptr 0
		.amdhsa_user_sgpr_kernarg_segment_ptr 1
		.amdhsa_user_sgpr_dispatch_id 0
		.amdhsa_user_sgpr_private_segment_size 0
		.amdhsa_wavefront_size32 1
		.amdhsa_uses_dynamic_stack 0
		.amdhsa_enable_private_segment 0
		.amdhsa_system_sgpr_workgroup_id_x 1
		.amdhsa_system_sgpr_workgroup_id_y 1
		.amdhsa_system_sgpr_workgroup_id_z 1
		.amdhsa_system_sgpr_workgroup_info 0
		.amdhsa_system_vgpr_workitem_id 1
		.amdhsa_next_free_vgpr 88
		.amdhsa_next_free_sgpr 38
		.amdhsa_reserve_vcc 1
		.amdhsa_float_round_mode_32 0
		.amdhsa_float_round_mode_16_64 0
		.amdhsa_float_denorm_mode_32 3
		.amdhsa_float_denorm_mode_16_64 3
		.amdhsa_fp16_overflow 0
		.amdhsa_workgroup_processor_mode 1
		.amdhsa_memory_ordered 1
		.amdhsa_forward_progress 1
		.amdhsa_inst_pref_size 58
		.amdhsa_round_robin_scheduling 0
		.amdhsa_exception_fp_ieee_invalid_op 0
		.amdhsa_exception_fp_denorm_src 0
		.amdhsa_exception_fp_ieee_div_zero 0
		.amdhsa_exception_fp_ieee_overflow 0
		.amdhsa_exception_fp_ieee_underflow 0
		.amdhsa_exception_fp_ieee_inexact 0
		.amdhsa_exception_int_div_zero 0
	.end_amdhsa_kernel
	.section	.text._ZL13mul_mat_vec_qIL9ggml_type16ELi1ELb1ELb0EEvPKvS2_PKi31ggml_cuda_mm_fusion_args_devicePfj15HIP_vector_typeIjLj3EEjjjS8_jjjS8_jjjj,"axG",@progbits,_ZL13mul_mat_vec_qIL9ggml_type16ELi1ELb1ELb0EEvPKvS2_PKi31ggml_cuda_mm_fusion_args_devicePfj15HIP_vector_typeIjLj3EEjjjS8_jjjS8_jjjj,comdat
.Lfunc_end159:
	.size	_ZL13mul_mat_vec_qIL9ggml_type16ELi1ELb1ELb0EEvPKvS2_PKi31ggml_cuda_mm_fusion_args_devicePfj15HIP_vector_typeIjLj3EEjjjS8_jjjS8_jjjj, .Lfunc_end159-_ZL13mul_mat_vec_qIL9ggml_type16ELi1ELb1ELb0EEvPKvS2_PKi31ggml_cuda_mm_fusion_args_devicePfj15HIP_vector_typeIjLj3EEjjjS8_jjjS8_jjjj
                                        ; -- End function
	.set _ZL13mul_mat_vec_qIL9ggml_type16ELi1ELb1ELb0EEvPKvS2_PKi31ggml_cuda_mm_fusion_args_devicePfj15HIP_vector_typeIjLj3EEjjjS8_jjjS8_jjjj.num_vgpr, 88
	.set _ZL13mul_mat_vec_qIL9ggml_type16ELi1ELb1ELb0EEvPKvS2_PKi31ggml_cuda_mm_fusion_args_devicePfj15HIP_vector_typeIjLj3EEjjjS8_jjjS8_jjjj.num_agpr, 0
	.set _ZL13mul_mat_vec_qIL9ggml_type16ELi1ELb1ELb0EEvPKvS2_PKi31ggml_cuda_mm_fusion_args_devicePfj15HIP_vector_typeIjLj3EEjjjS8_jjjS8_jjjj.numbered_sgpr, 38
	.set _ZL13mul_mat_vec_qIL9ggml_type16ELi1ELb1ELb0EEvPKvS2_PKi31ggml_cuda_mm_fusion_args_devicePfj15HIP_vector_typeIjLj3EEjjjS8_jjjS8_jjjj.num_named_barrier, 0
	.set _ZL13mul_mat_vec_qIL9ggml_type16ELi1ELb1ELb0EEvPKvS2_PKi31ggml_cuda_mm_fusion_args_devicePfj15HIP_vector_typeIjLj3EEjjjS8_jjjS8_jjjj.private_seg_size, 0
	.set _ZL13mul_mat_vec_qIL9ggml_type16ELi1ELb1ELb0EEvPKvS2_PKi31ggml_cuda_mm_fusion_args_devicePfj15HIP_vector_typeIjLj3EEjjjS8_jjjS8_jjjj.uses_vcc, 1
	.set _ZL13mul_mat_vec_qIL9ggml_type16ELi1ELb1ELb0EEvPKvS2_PKi31ggml_cuda_mm_fusion_args_devicePfj15HIP_vector_typeIjLj3EEjjjS8_jjjS8_jjjj.uses_flat_scratch, 0
	.set _ZL13mul_mat_vec_qIL9ggml_type16ELi1ELb1ELb0EEvPKvS2_PKi31ggml_cuda_mm_fusion_args_devicePfj15HIP_vector_typeIjLj3EEjjjS8_jjjS8_jjjj.has_dyn_sized_stack, 0
	.set _ZL13mul_mat_vec_qIL9ggml_type16ELi1ELb1ELb0EEvPKvS2_PKi31ggml_cuda_mm_fusion_args_devicePfj15HIP_vector_typeIjLj3EEjjjS8_jjjS8_jjjj.has_recursion, 0
	.set _ZL13mul_mat_vec_qIL9ggml_type16ELi1ELb1ELb0EEvPKvS2_PKi31ggml_cuda_mm_fusion_args_devicePfj15HIP_vector_typeIjLj3EEjjjS8_jjjS8_jjjj.has_indirect_call, 0
	.section	.AMDGPU.csdata,"",@progbits
; Kernel info:
; codeLenInByte = 7356
; TotalNumSgprs: 40
; NumVgprs: 88
; ScratchSize: 0
; MemoryBound: 0
; FloatMode: 240
; IeeeMode: 1
; LDSByteSize: 0 bytes/workgroup (compile time only)
; SGPRBlocks: 0
; VGPRBlocks: 10
; NumSGPRsForWavesPerEU: 40
; NumVGPRsForWavesPerEU: 88
; Occupancy: 16
; WaveLimiterHint : 0
; COMPUTE_PGM_RSRC2:SCRATCH_EN: 0
; COMPUTE_PGM_RSRC2:USER_SGPR: 2
; COMPUTE_PGM_RSRC2:TRAP_HANDLER: 0
; COMPUTE_PGM_RSRC2:TGID_X_EN: 1
; COMPUTE_PGM_RSRC2:TGID_Y_EN: 1
; COMPUTE_PGM_RSRC2:TGID_Z_EN: 1
; COMPUTE_PGM_RSRC2:TIDIG_COMP_CNT: 1
	.section	.text._ZL13mul_mat_vec_qIL9ggml_type16ELi1ELb0ELb0EEvPKvS2_PKi31ggml_cuda_mm_fusion_args_devicePfj15HIP_vector_typeIjLj3EEjjjS8_jjjS8_jjjj,"axG",@progbits,_ZL13mul_mat_vec_qIL9ggml_type16ELi1ELb0ELb0EEvPKvS2_PKi31ggml_cuda_mm_fusion_args_devicePfj15HIP_vector_typeIjLj3EEjjjS8_jjjS8_jjjj,comdat
	.globl	_ZL13mul_mat_vec_qIL9ggml_type16ELi1ELb0ELb0EEvPKvS2_PKi31ggml_cuda_mm_fusion_args_devicePfj15HIP_vector_typeIjLj3EEjjjS8_jjjS8_jjjj ; -- Begin function _ZL13mul_mat_vec_qIL9ggml_type16ELi1ELb0ELb0EEvPKvS2_PKi31ggml_cuda_mm_fusion_args_devicePfj15HIP_vector_typeIjLj3EEjjjS8_jjjS8_jjjj
	.p2align	8
	.type	_ZL13mul_mat_vec_qIL9ggml_type16ELi1ELb0ELb0EEvPKvS2_PKi31ggml_cuda_mm_fusion_args_devicePfj15HIP_vector_typeIjLj3EEjjjS8_jjjS8_jjjj,@function
_ZL13mul_mat_vec_qIL9ggml_type16ELi1ELb0ELb0EEvPKvS2_PKi31ggml_cuda_mm_fusion_args_devicePfj15HIP_vector_typeIjLj3EEjjjS8_jjjS8_jjjj: ; @_ZL13mul_mat_vec_qIL9ggml_type16ELi1ELb0ELb0EEvPKvS2_PKi31ggml_cuda_mm_fusion_args_devicePfj15HIP_vector_typeIjLj3EEjjjS8_jjjS8_jjjj
; %bb.0:
	s_clause 0x1
	s_load_b64 s[2:3], s[0:1], 0x10
	s_load_b128 s[8:11], s[0:1], 0x40
	s_and_b32 s15, ttmp7, 0xffff
	s_wait_kmcnt 0x0
	s_cmp_lg_u64 s[2:3], 0
	s_cselect_b32 s12, -1, 0
	s_cmp_eq_u64 s[2:3], 0
	s_cbranch_scc1 .LBB160_13
; %bb.1:
	s_lshl_b32 s4, s15, 2
	s_load_b32 s19, s[2:3], s4 offset:0x0
	s_clause 0x1
	s_load_b128 s[4:7], s[0:1], 0x68
	s_load_b32 s20, s[0:1], 0x50
	s_cbranch_execnz .LBB160_3
.LBB160_2:
	s_load_b64 s[2:3], s[0:1], 0x5c
	s_wait_kmcnt 0x0
	s_mul_hi_u32 s2, s2, s15
	s_delay_alu instid0(SALU_CYCLE_1) | instskip(NEXT) | instid1(SALU_CYCLE_1)
	s_add_co_i32 s2, s15, s2
	s_lshr_b32 s19, s2, s3
.LBB160_3:
	s_load_b32 s21, s[0:1], 0x78
	s_and_not1_b32 vcc_lo, exec_lo, s12
	s_mov_b32 s2, s15
	s_cbranch_vccnz .LBB160_5
; %bb.4:
	s_mul_hi_u32 s2, s9, s15
	s_delay_alu instid0(SALU_CYCLE_1) | instskip(NEXT) | instid1(SALU_CYCLE_1)
	s_add_co_i32 s2, s15, s2
	s_lshr_b32 s2, s2, s10
	s_delay_alu instid0(SALU_CYCLE_1) | instskip(NEXT) | instid1(SALU_CYCLE_1)
	s_mul_i32 s2, s2, s11
	s_sub_co_i32 s2, s15, s2
.LBB160_5:
	s_load_b96 s[12:14], s[0:1], 0x80
	v_bfe_u32 v9, v0, 10, 10
	v_and_b32_e32 v8, 0x3ff, v0
	v_mov_b32_e32 v10, 0
	s_lshr_b32 s18, s8, 8
	s_lshr_b32 s16, ttmp7, 16
	s_mov_b32 s17, exec_lo
	v_lshl_or_b32 v0, v9, 5, v8
	s_delay_alu instid0(VALU_DEP_1) | instskip(NEXT) | instid1(VALU_DEP_1)
	v_lshrrev_b32_e32 v11, 3, v0
	v_cmpx_gt_u32_e64 s18, v11
	s_cbranch_execz .LBB160_9
; %bb.6:
	v_lshrrev_b32_e32 v0, 3, v0
	s_wait_kmcnt 0x0
	s_mul_i32 s2, s2, s5
	s_mov_b32 s3, 0
	v_and_b32_e32 v2, 7, v8
	s_mul_u64 s[8:9], s[2:3], 36
	s_mul_i32 s2, s13, s16
	v_mad_co_u64_u32 v[0:1], null, 0x120, v0, s[8:9]
	s_load_b128 s[8:11], s[0:1], 0x0
	v_dual_mov_b32 v10, 0 :: v_dual_lshlrev_b32 v3, 1, v8
	s_mul_i32 s20, s20, ttmp9
	v_mad_co_u64_u32 v[0:1], null, s2, 36, v[0:1]
	s_mul_hi_u32 s2, s7, s16
	s_mul_i32 s7, s19, s4
	s_wait_alu 0xfffe
	s_add_co_i32 s2, s16, s2
	s_wait_alu 0xfffe
	s_lshr_b32 s2, s2, s21
	v_mad_co_u64_u32 v[0:1], null, v2, 36, v[0:1]
	v_and_b32_e32 v2, 14, v3
	s_wait_alu 0xfffe
	s_mul_i32 s2, s2, s12
	s_wait_alu 0xfffe
	s_add_co_i32 s2, s2, s20
	v_lshlrev_b32_e32 v2, 1, v2
	s_wait_kmcnt 0x0
	v_add_co_u32 v0, vcc_lo, s10, v0
	s_delay_alu instid0(VALU_DEP_1) | instskip(NEXT) | instid1(VALU_DEP_3)
	v_add_co_ci_u32_e64 v1, null, s11, v1, vcc_lo
	v_lshlrev_b32_e32 v12, 1, v2
	s_delay_alu instid0(VALU_DEP_3) | instskip(SKIP_1) | instid1(VALU_DEP_3)
	v_add_co_u32 v4, vcc_lo, v0, 32
	s_wait_alu 0xfffd
	v_add_co_ci_u32_e64 v5, null, 0, v1, vcc_lo
	s_wait_alu 0xfffe
	s_add_co_i32 s7, s7, s2
.LBB160_7:                              ; =>This Inner Loop Header: Depth=1
	s_delay_alu instid0(SALU_CYCLE_1)
	v_add_nc_u32_e32 v0, s7, v11
	s_getpc_b64 s[4:5]
	s_sext_i32_i16 s5, s5
	s_add_co_u32 s4, s4, _ZL11iq2xxs_grid@rel32@lo+8
	s_add_co_ci_u32 s5, s5, _ZL11iq2xxs_grid@rel32@hi+16
	v_add_nc_u32_e32 v11, 4, v11
	v_mad_co_i64_i32 v[13:14], null, 0x42, v0, s[8:9]
	s_delay_alu instid0(VALU_DEP_2)
	v_cmp_le_u32_e64 s2, s18, v11
	s_or_b32 s3, s2, s3
	v_add_co_u32 v0, vcc_lo, v13, v12
	s_wait_alu 0xfffd
	v_add_co_ci_u32_e64 v1, null, 0, v14, vcc_lo
	global_load_b64 v[6:7], v[0:1], off offset:2
	global_load_b128 v[0:3], v[4:5], off offset:-32
	global_load_u16 v25, v[13:14], off
	s_wait_loadcnt 0x1
	v_cvt_f32_f16_e32 v0, v0
	v_and_b32_e32 v13, 0xff, v6
	v_lshrrev_b32_e32 v14, 5, v6
	v_lshrrev_b32_e32 v15, 13, v6
	;; [unrolled: 1-line block ×3, first 2 shown]
	v_and_b32_e32 v26, 0xff, v7
	v_lshlrev_b32_e32 v13, 3, v13
	v_and_b32_e32 v14, 0x7f8, v14
	v_and_b32_e32 v15, 0x7f8, v15
	;; [unrolled: 1-line block ×3, first 2 shown]
	s_clause 0x3
	global_load_b64 v[17:18], v13, s[4:5]
	global_load_b64 v[19:20], v14, s[4:5]
	;; [unrolled: 1-line block ×4, first 2 shown]
	s_clause 0x1
	global_load_b128 v[13:16], v[4:5], off offset:-16
	global_load_b32 v6, v[4:5], off
	v_bcnt_u32_b32 v30, v26, 0
	v_bfe_u32 v27, v7, 7, 8
	v_bfe_u32 v29, v7, 21, 8
	;; [unrolled: 1-line block ×3, first 2 shown]
	v_lshrrev_b32_e32 v7, 27, v7
	v_and_b32_e32 v30, 1, v30
	v_bcnt_u32_b32 v31, v27, 0
	v_bcnt_u32_b32 v33, v29, 0
	;; [unrolled: 1-line block ×3, first 2 shown]
	s_delay_alu instid0(VALU_DEP_4) | instskip(NEXT) | instid1(VALU_DEP_4)
	v_lshlrev_b32_e32 v30, 7, v30
	v_and_b32_e32 v31, 1, v31
	s_delay_alu instid0(VALU_DEP_4) | instskip(NEXT) | instid1(VALU_DEP_4)
	v_and_b32_e32 v33, 1, v33
	v_and_b32_e32 v32, 1, v32
	s_delay_alu instid0(VALU_DEP_4) | instskip(NEXT) | instid1(VALU_DEP_4)
	v_xor_b32_e32 v26, v30, v26
	v_lshlrev_b32_e32 v31, 7, v31
	s_delay_alu instid0(VALU_DEP_4) | instskip(NEXT) | instid1(VALU_DEP_4)
	v_lshlrev_b32_e32 v33, 7, v33
	v_lshlrev_b32_e32 v32, 7, v32
	s_delay_alu instid0(VALU_DEP_4) | instskip(NEXT) | instid1(VALU_DEP_4)
	v_mul_lo_u32 v26, 0x1010101, v26
	v_xor_b32_e32 v27, v31, v27
	s_delay_alu instid0(VALU_DEP_4) | instskip(NEXT) | instid1(VALU_DEP_4)
	v_xor_b32_e32 v29, v33, v29
	v_xor_b32_e32 v28, v32, v28
	s_delay_alu instid0(VALU_DEP_3) | instskip(NEXT) | instid1(VALU_DEP_3)
	v_mul_lo_u32 v27, 0x1010101, v27
	v_mul_lo_u32 v29, 0x1010101, v29
	v_and_b32_e32 v30, 0x8040201, v26
	v_and_b32_e32 v33, 0x80402010, v26
	v_mul_lo_u32 v28, 0x1010101, v28
	v_lshrrev_b32_e32 v31, 18, v26
	v_bfe_i32 v32, v26, 0, 1
	v_lshrrev_b16 v46, 8, v30
	v_lshrrev_b32_e32 v30, 24, v30
	v_lshrrev_b16 v48, 8, v33
	v_and_b32_e32 v34, 0x8040201, v27
	v_lshrrev_b32_e32 v49, 24, v33
	v_cmp_ne_u16_e32 vcc_lo, 0, v46
	v_and_b32_e32 v37, 0x80402010, v27
	v_and_b32_e32 v38, 0x8040201, v28
	v_lshrrev_b16 v50, 8, v34
	v_lshrrev_b32_e32 v34, 24, v34
	s_wait_alu 0xfffd
	v_cndmask_b32_e64 v46, 0, -1, vcc_lo
	v_cmp_ne_u16_e32 vcc_lo, 0, v30
	v_lshrrev_b16 v52, 8, v37
	v_lshrrev_b32_e32 v53, 24, v37
	v_lshrrev_b16 v54, 8, v38
	v_and_b32_e32 v41, 0x80402010, v28
	s_wait_alu 0xfffd
	v_cndmask_b32_e64 v30, 0, -1, vcc_lo
	v_cmp_ne_u16_e32 vcc_lo, 0, v48
	v_lshrrev_b32_e32 v38, 24, v38
	v_and_b32_e32 v42, 0x8040201, v29
	v_lshrrev_b16 v56, 8, v41
	v_lshrrev_b32_e32 v57, 24, v41
	s_wait_alu 0xfffd
	v_cndmask_b32_e64 v48, 0, -1, vcc_lo
	v_cmp_ne_u16_e32 vcc_lo, 0, v49
	v_lshrrev_b16 v58, 8, v42
	v_lshrrev_b32_e32 v26, 22, v26
	v_lshrrev_b32_e32 v35, 18, v27
	v_and_b32_e32 v45, 0x80402010, v29
	s_wait_alu 0xfffd
	v_cndmask_b32_e64 v49, 0, -1, vcc_lo
	v_cmp_ne_u16_e32 vcc_lo, 0, v50
	v_bfe_i32 v31, v31, 0, 1
	v_lshrrev_b16 v33, 4, v33
	v_lshrrev_b32_e32 v42, 24, v42
	v_bfe_i32 v36, v27, 0, 1
	s_wait_alu 0xfffd
	v_cndmask_b32_e64 v50, 0, -1, vcc_lo
	v_cmp_ne_u16_e32 vcc_lo, 0, v34
	v_lshrrev_b32_e32 v39, 18, v28
	v_lshrrev_b32_e32 v43, 18, v29
	v_and_b32_e32 v47, 0xff, v32
	v_bfe_i32 v26, v26, 0, 1
	s_wait_alu 0xfffd
	v_cndmask_b32_e64 v34, 0, -1, vcc_lo
	v_cmp_ne_u16_e32 vcc_lo, 0, v52
	v_bfe_i32 v35, v35, 0, 1
	v_lshrrev_b16 v60, 8, v45
	v_and_b32_e32 v62, 0xff, v31
	v_bfe_i32 v33, v33, 0, 1
	s_wait_alu 0xfffd
	v_cndmask_b32_e64 v52, 0, -1, vcc_lo
	v_cmp_ne_u16_e32 vcc_lo, 0, v53
	v_lshlrev_b16 v46, 8, v46
	v_lshlrev_b16 v30, 8, v30
	v_lshrrev_b32_e32 v27, 22, v27
	v_bfe_i32 v40, v28, 0, 1
	s_wait_alu 0xfffd
	v_cndmask_b32_e64 v53, 0, -1, vcc_lo
	v_cmp_ne_u16_e32 vcc_lo, 0, v54
	v_bfe_i32 v44, v29, 0, 1
	v_and_b32_e32 v51, 0xff, v36
	v_lshrrev_b16 v37, 4, v37
	v_bfe_i32 v39, v39, 0, 1
	s_wait_alu 0xfffd
	v_cndmask_b32_e64 v54, 0, -1, vcc_lo
	v_cmp_ne_u16_e32 vcc_lo, 0, v38
	v_bfe_i32 v43, v43, 0, 1
	v_lshrrev_b32_e32 v61, 24, v45
	v_and_b32_e32 v63, 0xff, v26
	v_and_b32_e32 v64, 0xff, v35
	s_wait_alu 0xfffd
	v_cndmask_b32_e64 v38, 0, -1, vcc_lo
	v_cmp_ne_u16_e32 vcc_lo, 0, v56
	v_and_b32_e32 v70, 0xff, v33
	v_lshlrev_b16 v48, 8, v48
	v_lshlrev_b16 v49, 8, v49
	;; [unrolled: 1-line block ×3, first 2 shown]
	s_wait_alu 0xfffd
	v_cndmask_b32_e64 v56, 0, -1, vcc_lo
	v_cmp_ne_u16_e32 vcc_lo, 0, v57
	v_lshlrev_b16 v34, 8, v34
	v_or_b32_e32 v47, v47, v46
	v_or_b32_e32 v62, v62, v30
	v_lshrrev_b32_e32 v28, 22, v28
	s_wait_alu 0xfffd
	v_cndmask_b32_e64 v57, 0, -1, vcc_lo
	v_cmp_ne_u16_e32 vcc_lo, 0, v58
	v_lshrrev_b32_e32 v29, 22, v29
	v_bfe_i32 v27, v27, 0, 1
	v_and_b32_e32 v55, 0xff, v40
	v_lshrrev_b16 v41, 4, v41
	s_wait_alu 0xfffd
	v_cndmask_b32_e64 v58, 0, -1, vcc_lo
	v_cmp_ne_u16_e32 vcc_lo, 0, v42
	v_and_b32_e32 v59, 0xff, v44
	v_lshrrev_b16 v45, 4, v45
	v_bfe_i32 v37, v37, 0, 1
	v_and_b32_e32 v66, 0xff, v39
	s_wait_alu 0xfffd
	v_cndmask_b32_e64 v42, 0, -1, vcc_lo
	v_cmp_ne_u16_e32 vcc_lo, 0, v60
	v_and_b32_e32 v68, 0xff, v43
	v_lshlrev_b16 v54, 8, v54
	v_lshlrev_b16 v38, 8, v38
	;; [unrolled: 1-line block ×3, first 2 shown]
	s_wait_alu 0xfffd
	v_cndmask_b32_e64 v60, 0, -1, vcc_lo
	v_cmp_ne_u16_e32 vcc_lo, 0, v61
	v_lshlrev_b16 v42, 8, v42
	v_or_b32_e32 v70, v70, v48
	v_or_b32_e32 v63, v63, v49
	;; [unrolled: 1-line block ×4, first 2 shown]
	v_and_b32_e32 v47, 0xffff, v47
	v_lshlrev_b32_e32 v62, 16, v62
	v_bfe_i32 v28, v28, 0, 1
	v_bfe_i32 v29, v29, 0, 1
	v_and_b32_e32 v65, 0xff, v27
	v_bfe_i32 v41, v41, 0, 1
	v_bfe_i32 v45, v45, 0, 1
	s_wait_alu 0xfffd
	v_cndmask_b32_e64 v61, 0, -1, vcc_lo
	v_and_b32_e32 v71, 0xff, v37
	v_lshlrev_b16 v52, 8, v52
	v_lshlrev_b16 v53, 8, v53
	v_or_b32_e32 v55, v55, v54
	v_or_b32_e32 v66, v66, v38
	;; [unrolled: 1-line block ×4, first 2 shown]
	v_and_b32_e32 v70, 0xffff, v70
	v_lshlrev_b32_e32 v63, 16, v63
	v_and_b32_e32 v51, 0xffff, v51
	v_lshlrev_b32_e32 v64, 16, v64
	v_or_b32_e32 v47, v47, v62
	v_and_b32_e32 v67, 0xff, v28
	v_and_b32_e32 v69, 0xff, v29
	;; [unrolled: 1-line block ×3, first 2 shown]
	v_lshlrev_b16 v56, 8, v56
	v_lshlrev_b16 v57, 8, v57
	v_and_b32_e32 v73, 0xff, v45
	v_lshlrev_b16 v60, 8, v60
	v_lshlrev_b16 v61, 8, v61
	v_or_b32_e32 v71, v71, v52
	v_or_b32_e32 v65, v65, v53
	v_and_b32_e32 v55, 0xffff, v55
	v_lshlrev_b32_e32 v66, 16, v66
	v_and_b32_e32 v59, 0xffff, v59
	v_lshlrev_b32_e32 v68, 16, v68
	v_or_b32_e32 v62, v70, v63
	v_or_b32_e32 v51, v51, v64
	v_lshlrev_b16 v32, 8, v32
	v_or_b32_e32 v72, v72, v56
	v_or_b32_e32 v67, v67, v57
	;; [unrolled: 1-line block ×4, first 2 shown]
	v_and_b32_e32 v71, 0xffff, v71
	v_lshlrev_b32_e32 v65, 16, v65
	v_or_b32_e32 v55, v55, v66
	v_or_b32_e32 v59, v59, v68
	v_lshlrev_b16 v31, 8, v31
	v_lshlrev_b16 v33, 8, v33
	v_and_b32_e32 v72, 0xffff, v72
	v_lshlrev_b32_e32 v67, 16, v67
	v_and_b32_e32 v73, 0xffff, v73
	v_lshlrev_b32_e32 v69, 16, v69
	v_or_b32_e32 v63, v71, v65
	v_lshlrev_b16 v36, 8, v36
	v_lshlrev_b16 v26, 8, v26
	v_or_b32_e32 v64, v72, v67
	v_or_b32_e32 v65, v73, v69
	v_lshlrev_b16 v35, 8, v35
	v_lshlrev_b16 v37, 8, v37
	;; [unrolled: 1-line block ×11, first 2 shown]
	v_add_co_u32 v4, vcc_lo, 0x480, v4
	s_wait_alu 0xfffd
	v_add_co_ci_u32_e64 v5, null, 0, v5, vcc_lo
	s_wait_loadcnt 0x5
	v_xor_b32_e32 v17, v17, v47
	v_xor_b32_e32 v18, v18, v62
	s_wait_loadcnt 0x4
	v_xor_b32_e32 v19, v19, v51
	s_wait_loadcnt 0x3
	;; [unrolled: 2-line block ×3, first 2 shown]
	v_xor_b32_e32 v23, v23, v59
	v_lshrrev_b32_e32 v47, 16, v17
	v_and_b32_e32 v51, 0xffffff00, v17
	v_lshlrev_b16 v17, 8, v17
	v_lshrrev_b32_e32 v55, 16, v18
	v_and_b32_e32 v59, 0xffffff00, v18
	v_lshlrev_b16 v18, 8, v18
	v_xor_b32_e32 v20, v20, v63
	v_sub_nc_i16 v17, v17, v32 clamp
	v_and_b32_e32 v32, 0xffffff00, v47
	v_lshlrev_b16 v47, 8, v47
	v_lshrrev_b32_e32 v62, 16, v19
	v_and_b32_e32 v63, 0xffffff00, v19
	v_lshlrev_b16 v19, 8, v19
	v_sub_nc_i16 v46, v51, v46 clamp
	v_sub_nc_i16 v18, v18, v33 clamp
	v_and_b32_e32 v33, 0xffffff00, v55
	v_lshlrev_b16 v51, 8, v55
	v_sub_nc_i16 v30, v32, v30 clamp
	v_sub_nc_i16 v31, v47, v31 clamp
	v_xor_b32_e32 v22, v22, v64
	v_xor_b32_e32 v24, v24, v65
	v_lshrrev_b32_e32 v64, 16, v20
	v_and_b32_e32 v65, 0xffffff00, v20
	v_lshlrev_b16 v20, 8, v20
	v_sub_nc_i16 v48, v59, v48 clamp
	v_sub_nc_i16 v19, v19, v36 clamp
	v_and_b32_e32 v36, 0xffffff00, v62
	v_lshlrev_b16 v55, 8, v62
	v_perm_b32 v17, v17, v46, 0xc0c0105
	v_sub_nc_i16 v32, v33, v49 clamp
	v_sub_nc_i16 v26, v51, v26 clamp
	v_perm_b32 v30, v31, v30, 0xc0c0105
	v_lshrrev_b32_e32 v66, 16, v21
	v_and_b32_e32 v67, 0xffffff00, v21
	v_lshlrev_b16 v21, 8, v21
	v_sub_nc_i16 v50, v63, v50 clamp
	v_sub_nc_i16 v20, v20, v37 clamp
	v_and_b32_e32 v37, 0xffffff00, v64
	v_lshlrev_b16 v59, 8, v64
	v_perm_b32 v18, v18, v48, 0xc0c0105
	v_sub_nc_i16 v33, v36, v34 clamp
	v_sub_nc_i16 v34, v55, v35 clamp
	v_perm_b32 v26, v26, v32, 0xc0c0105
	v_lshl_or_b32 v17, v30, 16, v17
	v_lshrrev_b32_e32 v68, 16, v22
	v_and_b32_e32 v69, 0xffffff00, v22
	v_lshlrev_b16 v22, 8, v22
	v_sub_nc_i16 v52, v65, v52 clamp
	v_sub_nc_i16 v21, v21, v40 clamp
	v_and_b32_e32 v40, 0xffffff00, v66
	v_lshlrev_b16 v62, 8, v66
	v_perm_b32 v19, v19, v50, 0xc0c0105
	v_sub_nc_i16 v35, v37, v53 clamp
	v_sub_nc_i16 v27, v59, v27 clamp
	v_perm_b32 v30, v34, v33, 0xc0c0105
	v_lshl_or_b32 v18, v26, 16, v18
	v_dot4_i32_iu8 v1, v17, v1, 0 neg_lo:[1,1,0]
	v_lshrrev_b32_e32 v70, 16, v23
	v_and_b32_e32 v71, 0xffffff00, v23
	v_lshlrev_b16 v23, 8, v23
	v_sub_nc_i16 v54, v67, v54 clamp
	v_sub_nc_i16 v22, v22, v41 clamp
	v_and_b32_e32 v41, 0xffffff00, v68
	v_lshlrev_b16 v63, 8, v68
	v_perm_b32 v20, v20, v52, 0xc0c0105
	v_sub_nc_i16 v36, v40, v38 clamp
	v_sub_nc_i16 v37, v62, v39 clamp
	v_perm_b32 v26, v27, v35, 0xc0c0105
	v_lshl_or_b32 v19, v30, 16, v19
	v_dot4_i32_iu8 v1, v18, v2, v1 neg_lo:[1,1,0]
	v_lshrrev_b32_e32 v72, 16, v24
	v_and_b32_e32 v73, 0xffffff00, v24
	v_lshlrev_b16 v24, 8, v24
	v_sub_nc_i16 v56, v69, v56 clamp
	v_sub_nc_i16 v23, v23, v44 clamp
	v_and_b32_e32 v44, 0xffffff00, v70
	v_lshlrev_b16 v64, 8, v70
	v_perm_b32 v21, v21, v54, 0xc0c0105
	v_sub_nc_i16 v31, v41, v57 clamp
	v_sub_nc_i16 v28, v63, v28 clamp
	v_perm_b32 v18, v37, v36, 0xc0c0105
	v_lshl_or_b32 v20, v26, 16, v20
	v_dot4_i32_iu8 v1, v19, v3, v1 neg_lo:[1,1,0]
	v_sub_nc_i16 v58, v71, v58 clamp
	v_sub_nc_i16 v24, v24, v45 clamp
	v_and_b32_e32 v45, 0xffffff00, v72
	v_lshlrev_b16 v65, 8, v72
	v_perm_b32 v22, v22, v56, 0xc0c0105
	v_sub_nc_i16 v17, v44, v42 clamp
	v_sub_nc_i16 v2, v64, v43 clamp
	v_perm_b32 v19, v28, v31, 0xc0c0105
	v_lshl_or_b32 v18, v18, 16, v21
	s_wait_loadcnt 0x1
	v_dot4_i32_iu8 v1, v20, v13, v1 neg_lo:[1,1,0]
	v_sub_nc_i16 v60, v73, v60 clamp
	v_perm_b32 v23, v23, v58, 0xc0c0105
	v_sub_nc_i16 v3, v45, v61 clamp
	v_sub_nc_i16 v13, v65, v29 clamp
	v_perm_b32 v2, v2, v17, 0xc0c0105
	v_lshl_or_b32 v17, v19, 16, v22
	v_dot4_i32_iu8 v1, v18, v14, v1 neg_lo:[1,1,0]
	v_perm_b32 v14, v24, v60, 0xc0c0105
	v_perm_b32 v3, v13, v3, 0xc0c0105
	v_lshl_or_b32 v2, v2, 16, v23
	s_delay_alu instid0(VALU_DEP_4) | instskip(NEXT) | instid1(VALU_DEP_3)
	v_dot4_i32_iu8 v1, v17, v15, v1 neg_lo:[1,1,0]
	v_lshl_or_b32 v3, v3, 16, v14
	s_delay_alu instid0(VALU_DEP_2) | instskip(SKIP_2) | instid1(VALU_DEP_2)
	v_dot4_i32_iu8 v1, v2, v16, v1 neg_lo:[1,1,0]
	v_or_b32_e32 v2, 1, v7
	s_wait_loadcnt 0x0
	v_dot4_i32_iu8 v1, v3, v6, v1 neg_lo:[1,1,0]
	s_delay_alu instid0(VALU_DEP_1) | instskip(NEXT) | instid1(VALU_DEP_1)
	v_mul_lo_u32 v1, v1, v2
	v_ashrrev_i32_e32 v2, 31, v1
	s_delay_alu instid0(VALU_DEP_1) | instskip(NEXT) | instid1(VALU_DEP_1)
	v_lshrrev_b32_e32 v2, 29, v2
	v_add_nc_u32_e32 v1, v1, v2
	v_cvt_f32_f16_e32 v2, v25
	s_delay_alu instid0(VALU_DEP_2) | instskip(NEXT) | instid1(VALU_DEP_2)
	v_ashrrev_i32_e32 v1, 3, v1
	v_mul_f32_e32 v0, v2, v0
	s_delay_alu instid0(VALU_DEP_2) | instskip(NEXT) | instid1(VALU_DEP_1)
	v_cvt_f32_i32_e32 v1, v1
	v_fmac_f32_e32 v10, v0, v1
	s_wait_alu 0xfffe
	s_and_not1_b32 exec_lo, exec_lo, s3
	s_cbranch_execnz .LBB160_7
; %bb.8:
	s_or_b32 exec_lo, exec_lo, s3
.LBB160_9:
	s_delay_alu instid0(SALU_CYCLE_1)
	s_or_b32 exec_lo, exec_lo, s17
	; wave barrier
	global_inv scope:SCOPE_SE
	s_mov_b32 s2, exec_lo
	v_cmpx_eq_u32_e32 0, v9
	s_cbranch_execz .LBB160_12
; %bb.10:
	v_mbcnt_lo_u32_b32 v0, -1, 0
	s_delay_alu instid0(VALU_DEP_1) | instskip(SKIP_2) | instid1(VALU_DEP_3)
	v_xor_b32_e32 v1, 16, v0
	v_xor_b32_e32 v2, 8, v0
	;; [unrolled: 1-line block ×3, first 2 shown]
	v_cmp_gt_i32_e32 vcc_lo, 32, v1
	s_wait_alu 0xfffd
	v_cndmask_b32_e32 v1, v0, v1, vcc_lo
	v_cmp_gt_i32_e32 vcc_lo, 32, v2
	s_wait_alu 0xfffd
	v_cndmask_b32_e32 v2, v0, v2, vcc_lo
	v_cmp_gt_i32_e32 vcc_lo, 32, v3
	s_delay_alu instid0(VALU_DEP_2)
	v_lshlrev_b32_e32 v2, 2, v2
	v_lshlrev_b32_e32 v1, 2, v1
	s_wait_alu 0xfffd
	v_cndmask_b32_e32 v3, v0, v3, vcc_lo
	ds_bpermute_b32 v1, v1, v10
	v_lshlrev_b32_e32 v3, 2, v3
	s_wait_dscnt 0x0
	v_add_f32_e32 v1, v10, v1
	ds_bpermute_b32 v2, v2, v1
	s_wait_dscnt 0x0
	v_add_f32_e32 v1, v1, v2
	ds_bpermute_b32 v2, v3, v1
	v_xor_b32_e32 v3, 2, v0
	s_delay_alu instid0(VALU_DEP_1) | instskip(SKIP_2) | instid1(VALU_DEP_1)
	v_cmp_gt_i32_e32 vcc_lo, 32, v3
	s_wait_alu 0xfffd
	v_cndmask_b32_e32 v3, v0, v3, vcc_lo
	v_lshlrev_b32_e32 v3, 2, v3
	s_wait_dscnt 0x0
	v_add_f32_e32 v1, v1, v2
	ds_bpermute_b32 v2, v3, v1
	v_xor_b32_e32 v3, 1, v0
	s_delay_alu instid0(VALU_DEP_1) | instskip(SKIP_4) | instid1(VALU_DEP_2)
	v_cmp_gt_i32_e32 vcc_lo, 32, v3
	s_wait_alu 0xfffd
	v_cndmask_b32_e32 v0, v0, v3, vcc_lo
	v_cmp_eq_u32_e32 vcc_lo, 0, v8
	s_wait_dscnt 0x0
	v_dual_add_f32 v0, v1, v2 :: v_dual_lshlrev_b32 v3, 2, v0
	ds_bpermute_b32 v1, v3, v0
	s_and_b32 exec_lo, exec_lo, vcc_lo
	s_cbranch_execz .LBB160_12
; %bb.11:
	s_load_b64 s[0:1], s[0:1], 0x38
	s_wait_kmcnt 0x0
	s_mul_i32 s2, s6, s15
	s_mul_i32 s3, s14, s16
	s_wait_alu 0xfffe
	s_add_co_i32 s2, s2, ttmp9
	s_wait_dscnt 0x0
	v_dual_add_f32 v0, v0, v1 :: v_dual_mov_b32 v1, 0
	s_wait_alu 0xfffe
	s_add_co_i32 s2, s2, s3
	s_mov_b32 s3, 0
	s_wait_alu 0xfffe
	s_lshl_b64 s[2:3], s[2:3], 2
	s_wait_alu 0xfffe
	s_add_nc_u64 s[0:1], s[0:1], s[2:3]
	global_store_b32 v1, v0, s[0:1]
.LBB160_12:
	s_endpgm
.LBB160_13:
                                        ; implicit-def: $sgpr19
	s_clause 0x1
	s_load_b128 s[4:7], s[0:1], 0x68
	s_load_b32 s20, s[0:1], 0x50
	s_branch .LBB160_2
	.section	.rodata,"a",@progbits
	.p2align	6, 0x0
	.amdhsa_kernel _ZL13mul_mat_vec_qIL9ggml_type16ELi1ELb0ELb0EEvPKvS2_PKi31ggml_cuda_mm_fusion_args_devicePfj15HIP_vector_typeIjLj3EEjjjS8_jjjS8_jjjj
		.amdhsa_group_segment_fixed_size 0
		.amdhsa_private_segment_fixed_size 0
		.amdhsa_kernarg_size 144
		.amdhsa_user_sgpr_count 2
		.amdhsa_user_sgpr_dispatch_ptr 0
		.amdhsa_user_sgpr_queue_ptr 0
		.amdhsa_user_sgpr_kernarg_segment_ptr 1
		.amdhsa_user_sgpr_dispatch_id 0
		.amdhsa_user_sgpr_private_segment_size 0
		.amdhsa_wavefront_size32 1
		.amdhsa_uses_dynamic_stack 0
		.amdhsa_enable_private_segment 0
		.amdhsa_system_sgpr_workgroup_id_x 1
		.amdhsa_system_sgpr_workgroup_id_y 1
		.amdhsa_system_sgpr_workgroup_id_z 1
		.amdhsa_system_sgpr_workgroup_info 0
		.amdhsa_system_vgpr_workitem_id 1
		.amdhsa_next_free_vgpr 74
		.amdhsa_next_free_sgpr 22
		.amdhsa_reserve_vcc 1
		.amdhsa_float_round_mode_32 0
		.amdhsa_float_round_mode_16_64 0
		.amdhsa_float_denorm_mode_32 3
		.amdhsa_float_denorm_mode_16_64 3
		.amdhsa_fp16_overflow 0
		.amdhsa_workgroup_processor_mode 1
		.amdhsa_memory_ordered 1
		.amdhsa_forward_progress 1
		.amdhsa_inst_pref_size 27
		.amdhsa_round_robin_scheduling 0
		.amdhsa_exception_fp_ieee_invalid_op 0
		.amdhsa_exception_fp_denorm_src 0
		.amdhsa_exception_fp_ieee_div_zero 0
		.amdhsa_exception_fp_ieee_overflow 0
		.amdhsa_exception_fp_ieee_underflow 0
		.amdhsa_exception_fp_ieee_inexact 0
		.amdhsa_exception_int_div_zero 0
	.end_amdhsa_kernel
	.section	.text._ZL13mul_mat_vec_qIL9ggml_type16ELi1ELb0ELb0EEvPKvS2_PKi31ggml_cuda_mm_fusion_args_devicePfj15HIP_vector_typeIjLj3EEjjjS8_jjjS8_jjjj,"axG",@progbits,_ZL13mul_mat_vec_qIL9ggml_type16ELi1ELb0ELb0EEvPKvS2_PKi31ggml_cuda_mm_fusion_args_devicePfj15HIP_vector_typeIjLj3EEjjjS8_jjjS8_jjjj,comdat
.Lfunc_end160:
	.size	_ZL13mul_mat_vec_qIL9ggml_type16ELi1ELb0ELb0EEvPKvS2_PKi31ggml_cuda_mm_fusion_args_devicePfj15HIP_vector_typeIjLj3EEjjjS8_jjjS8_jjjj, .Lfunc_end160-_ZL13mul_mat_vec_qIL9ggml_type16ELi1ELb0ELb0EEvPKvS2_PKi31ggml_cuda_mm_fusion_args_devicePfj15HIP_vector_typeIjLj3EEjjjS8_jjjS8_jjjj
                                        ; -- End function
	.set _ZL13mul_mat_vec_qIL9ggml_type16ELi1ELb0ELb0EEvPKvS2_PKi31ggml_cuda_mm_fusion_args_devicePfj15HIP_vector_typeIjLj3EEjjjS8_jjjS8_jjjj.num_vgpr, 74
	.set _ZL13mul_mat_vec_qIL9ggml_type16ELi1ELb0ELb0EEvPKvS2_PKi31ggml_cuda_mm_fusion_args_devicePfj15HIP_vector_typeIjLj3EEjjjS8_jjjS8_jjjj.num_agpr, 0
	.set _ZL13mul_mat_vec_qIL9ggml_type16ELi1ELb0ELb0EEvPKvS2_PKi31ggml_cuda_mm_fusion_args_devicePfj15HIP_vector_typeIjLj3EEjjjS8_jjjS8_jjjj.numbered_sgpr, 22
	.set _ZL13mul_mat_vec_qIL9ggml_type16ELi1ELb0ELb0EEvPKvS2_PKi31ggml_cuda_mm_fusion_args_devicePfj15HIP_vector_typeIjLj3EEjjjS8_jjjS8_jjjj.num_named_barrier, 0
	.set _ZL13mul_mat_vec_qIL9ggml_type16ELi1ELb0ELb0EEvPKvS2_PKi31ggml_cuda_mm_fusion_args_devicePfj15HIP_vector_typeIjLj3EEjjjS8_jjjS8_jjjj.private_seg_size, 0
	.set _ZL13mul_mat_vec_qIL9ggml_type16ELi1ELb0ELb0EEvPKvS2_PKi31ggml_cuda_mm_fusion_args_devicePfj15HIP_vector_typeIjLj3EEjjjS8_jjjS8_jjjj.uses_vcc, 1
	.set _ZL13mul_mat_vec_qIL9ggml_type16ELi1ELb0ELb0EEvPKvS2_PKi31ggml_cuda_mm_fusion_args_devicePfj15HIP_vector_typeIjLj3EEjjjS8_jjjS8_jjjj.uses_flat_scratch, 0
	.set _ZL13mul_mat_vec_qIL9ggml_type16ELi1ELb0ELb0EEvPKvS2_PKi31ggml_cuda_mm_fusion_args_devicePfj15HIP_vector_typeIjLj3EEjjjS8_jjjS8_jjjj.has_dyn_sized_stack, 0
	.set _ZL13mul_mat_vec_qIL9ggml_type16ELi1ELb0ELb0EEvPKvS2_PKi31ggml_cuda_mm_fusion_args_devicePfj15HIP_vector_typeIjLj3EEjjjS8_jjjS8_jjjj.has_recursion, 0
	.set _ZL13mul_mat_vec_qIL9ggml_type16ELi1ELb0ELb0EEvPKvS2_PKi31ggml_cuda_mm_fusion_args_devicePfj15HIP_vector_typeIjLj3EEjjjS8_jjjS8_jjjj.has_indirect_call, 0
	.section	.AMDGPU.csdata,"",@progbits
; Kernel info:
; codeLenInByte = 3420
; TotalNumSgprs: 24
; NumVgprs: 74
; ScratchSize: 0
; MemoryBound: 0
; FloatMode: 240
; IeeeMode: 1
; LDSByteSize: 0 bytes/workgroup (compile time only)
; SGPRBlocks: 0
; VGPRBlocks: 9
; NumSGPRsForWavesPerEU: 24
; NumVGPRsForWavesPerEU: 74
; Occupancy: 16
; WaveLimiterHint : 0
; COMPUTE_PGM_RSRC2:SCRATCH_EN: 0
; COMPUTE_PGM_RSRC2:USER_SGPR: 2
; COMPUTE_PGM_RSRC2:TRAP_HANDLER: 0
; COMPUTE_PGM_RSRC2:TGID_X_EN: 1
; COMPUTE_PGM_RSRC2:TGID_Y_EN: 1
; COMPUTE_PGM_RSRC2:TGID_Z_EN: 1
; COMPUTE_PGM_RSRC2:TIDIG_COMP_CNT: 1
	.section	.text._ZL13mul_mat_vec_qIL9ggml_type16ELi2ELb0ELb0EEvPKvS2_PKi31ggml_cuda_mm_fusion_args_devicePfj15HIP_vector_typeIjLj3EEjjjS8_jjjS8_jjjj,"axG",@progbits,_ZL13mul_mat_vec_qIL9ggml_type16ELi2ELb0ELb0EEvPKvS2_PKi31ggml_cuda_mm_fusion_args_devicePfj15HIP_vector_typeIjLj3EEjjjS8_jjjS8_jjjj,comdat
	.globl	_ZL13mul_mat_vec_qIL9ggml_type16ELi2ELb0ELb0EEvPKvS2_PKi31ggml_cuda_mm_fusion_args_devicePfj15HIP_vector_typeIjLj3EEjjjS8_jjjS8_jjjj ; -- Begin function _ZL13mul_mat_vec_qIL9ggml_type16ELi2ELb0ELb0EEvPKvS2_PKi31ggml_cuda_mm_fusion_args_devicePfj15HIP_vector_typeIjLj3EEjjjS8_jjjS8_jjjj
	.p2align	8
	.type	_ZL13mul_mat_vec_qIL9ggml_type16ELi2ELb0ELb0EEvPKvS2_PKi31ggml_cuda_mm_fusion_args_devicePfj15HIP_vector_typeIjLj3EEjjjS8_jjjS8_jjjj,@function
_ZL13mul_mat_vec_qIL9ggml_type16ELi2ELb0ELb0EEvPKvS2_PKi31ggml_cuda_mm_fusion_args_devicePfj15HIP_vector_typeIjLj3EEjjjS8_jjjS8_jjjj: ; @_ZL13mul_mat_vec_qIL9ggml_type16ELi2ELb0ELb0EEvPKvS2_PKi31ggml_cuda_mm_fusion_args_devicePfj15HIP_vector_typeIjLj3EEjjjS8_jjjS8_jjjj
; %bb.0:
	s_clause 0x5
	s_load_b96 s[16:18], s[0:1], 0x80
	s_load_b32 s2, s[0:1], 0x40
	s_load_b128 s[4:7], s[0:1], 0x50
	s_load_b32 s24, s[0:1], 0x60
	s_load_b128 s[8:11], s[0:1], 0x68
	s_load_b32 s23, s[0:1], 0x78
	v_bfe_u32 v8, v0, 10, 10
	v_dual_mov_b32 v7, 0 :: v_dual_and_b32 v6, 0x3ff, v0
	v_mov_b32_e32 v10, 0
	s_and_b32 s19, ttmp7, 0xffff
	s_lshr_b32 s20, ttmp7, 16
	s_delay_alu instid0(VALU_DEP_2) | instskip(SKIP_1) | instid1(VALU_DEP_1)
	v_lshl_or_b32 v0, v8, 5, v6
	s_mov_b32 s22, exec_lo
	v_lshrrev_b32_e32 v9, 3, v0
	s_wait_kmcnt 0x0
	s_lshr_b32 s21, s2, 8
	s_delay_alu instid0(VALU_DEP_1) | instid1(SALU_CYCLE_1)
	v_cmpx_gt_u32_e64 s21, v9
	s_cbranch_execz .LBB161_4
; %bb.1:
	v_lshl_add_u32 v0, v8, 5, v6
	s_mov_b32 s3, 0
	s_mul_i32 s12, s9, s19
	s_mov_b32 s13, s3
	s_mul_i32 s2, s17, s20
	v_lshrrev_b32_e32 v0, 3, v0
	s_mul_u64 s[26:27], s[12:13], 36
	s_load_b128 s[12:15], s[0:1], 0x0
	v_dual_mov_b32 v10, 0 :: v_dual_and_b32 v3, 7, v6
	s_delay_alu instid0(VALU_DEP_2) | instskip(SKIP_4) | instid1(VALU_DEP_1)
	v_mad_co_u64_u32 v[0:1], null, 0x120, v0, s[26:27]
	v_dual_mov_b32 v7, 0 :: v_dual_lshlrev_b32 v2, 1, v6
	s_mul_i32 s9, s4, ttmp9
	s_mul_hi_u32 s4, s7, s19
	s_mul_hi_u32 s7, s11, s20
	v_and_b32_e32 v2, 14, v2
	s_delay_alu instid0(VALU_DEP_3)
	v_mad_co_u64_u32 v[0:1], null, s2, 36, v[0:1]
	v_lshl_add_u32 v11, v9, 3, s5
	s_add_co_i32 s11, s19, s4
	s_mul_u64 s[4:5], s[2:3], 36
	v_lshlrev_b32_e32 v4, 1, v2
	s_add_co_i32 s7, s20, s7
	s_lshr_b32 s2, s11, s24
	s_delay_alu instid0(VALU_DEP_3)
	v_mad_co_u64_u32 v[0:1], null, v3, 36, v[0:1]
	s_wait_kmcnt 0x0
	s_wait_alu 0xfffe
	s_add_nc_u64 s[4:5], s[14:15], s[4:5]
	s_lshr_b32 s7, s7, s23
	s_wait_alu 0xfffe
	s_add_nc_u64 s[4:5], s[4:5], s[26:27]
	s_mul_i32 s2, s2, s8
	v_lshlrev_b32_e32 v12, 1, v4
	s_mul_i32 s7, s7, s16
	v_add_co_u32 v2, vcc_lo, s14, v0
	s_delay_alu instid0(VALU_DEP_1) | instskip(SKIP_2) | instid1(VALU_DEP_3)
	v_add_co_ci_u32_e64 v5, null, s15, v1, vcc_lo
	s_wait_alu 0xfffe
	v_mad_co_u64_u32 v[0:1], null, v3, 36, s[4:5]
	v_add_co_u32 v2, vcc_lo, v2, 32
	s_wait_alu 0xfffd
	v_add_co_ci_u32_e64 v3, null, 0, v5, vcc_lo
	s_add_co_i32 s2, s2, s9
	s_wait_alu 0xfffe
	s_add_co_i32 s4, s7, s2
.LBB161_2:                              ; =>This Inner Loop Header: Depth=1
	s_wait_alu 0xfffe
	v_add_nc_u32_e32 v4, s4, v9
	v_mad_co_u64_u32 v[29:30], null, v11, 36, v[0:1]
	s_getpc_b64 s[8:9]
	s_sext_i32_i16 s9, s9
	s_add_co_u32 s8, s8, _ZL11iq2xxs_grid@rel32@lo+8
	s_add_co_ci_u32 s9, s9, _ZL11iq2xxs_grid@rel32@hi+16
	v_add_nc_u32_e32 v9, 4, v9
	v_mad_co_i64_i32 v[21:22], null, 0x42, v4, s[12:13]
	v_add_nc_u32_e32 v11, 32, v11
	s_delay_alu instid0(VALU_DEP_3) | instskip(NEXT) | instid1(VALU_DEP_3)
	v_cmp_le_u32_e64 s2, s21, v9
	v_add_co_u32 v4, vcc_lo, v21, v12
	s_wait_alu 0xfffd
	s_delay_alu instid0(VALU_DEP_4)
	v_add_co_ci_u32_e64 v5, null, 0, v22, vcc_lo
	s_or_b32 s3, s2, s3
	global_load_b64 v[4:5], v[4:5], off offset:2
	global_load_b128 v[13:16], v[2:3], off offset:-32
	global_load_b128 v[17:20], v[29:30], off
	global_load_u16 v39, v[21:22], off
	s_wait_loadcnt 0x2
	v_cvt_f32_f16_e32 v13, v13
	v_and_b32_e32 v21, 0xff, v4
	v_lshrrev_b32_e32 v22, 5, v4
	v_lshrrev_b32_e32 v23, 13, v4
	;; [unrolled: 1-line block ×3, first 2 shown]
	v_bfe_u32 v40, v5, 7, 8
	v_lshlrev_b32_e32 v21, 3, v21
	v_and_b32_e32 v22, 0x7f8, v22
	v_and_b32_e32 v23, 0x7f8, v23
	;; [unrolled: 1-line block ×3, first 2 shown]
	v_bfe_u32 v42, v5, 21, 8
	s_clause 0x3
	global_load_b64 v[31:32], v21, s[8:9]
	global_load_b64 v[33:34], v22, s[8:9]
	;; [unrolled: 1-line block ×4, first 2 shown]
	s_clause 0x1
	global_load_b32 v4, v[2:3], off
	global_load_b128 v[21:24], v[2:3], off offset:-16
	s_clause 0x1
	global_load_b128 v[25:28], v[29:30], off offset:16
	global_load_b32 v29, v[29:30], off offset:32
	v_and_b32_e32 v30, 0xff, v5
	v_bcnt_u32_b32 v44, v40, 0
	v_bfe_u32 v41, v5, 14, 8
	v_bcnt_u32_b32 v46, v42, 0
	v_lshrrev_b32_e32 v5, 27, v5
	v_bcnt_u32_b32 v43, v30, 0
	v_and_b32_e32 v44, 1, v44
	v_bcnt_u32_b32 v45, v41, 0
	v_and_b32_e32 v46, 1, v46
	v_or_b32_e32 v5, 1, v5
	v_and_b32_e32 v43, 1, v43
	v_lshlrev_b32_e32 v44, 7, v44
	v_and_b32_e32 v45, 1, v45
	v_lshlrev_b32_e32 v46, 7, v46
	s_delay_alu instid0(VALU_DEP_4) | instskip(NEXT) | instid1(VALU_DEP_4)
	v_lshlrev_b32_e32 v43, 7, v43
	v_xor_b32_e32 v40, v44, v40
	s_delay_alu instid0(VALU_DEP_4) | instskip(NEXT) | instid1(VALU_DEP_4)
	v_lshlrev_b32_e32 v45, 7, v45
	v_xor_b32_e32 v42, v46, v42
	s_delay_alu instid0(VALU_DEP_4) | instskip(NEXT) | instid1(VALU_DEP_4)
	v_xor_b32_e32 v30, v43, v30
	v_mul_lo_u32 v40, 0x1010101, v40
	s_delay_alu instid0(VALU_DEP_4) | instskip(NEXT) | instid1(VALU_DEP_4)
	v_xor_b32_e32 v41, v45, v41
	v_mul_lo_u32 v42, 0x1010101, v42
	s_delay_alu instid0(VALU_DEP_4) | instskip(NEXT) | instid1(VALU_DEP_3)
	v_mul_lo_u32 v30, 0x1010101, v30
	v_mul_lo_u32 v41, 0x1010101, v41
	v_and_b32_e32 v47, 0x8040201, v40
	v_and_b32_e32 v50, 0x80402010, v40
	;; [unrolled: 1-line block ×3, first 2 shown]
	v_lshrrev_b32_e32 v48, 18, v40
	v_and_b32_e32 v43, 0x8040201, v30
	v_and_b32_e32 v46, 0x80402010, v30
	v_lshrrev_b16 v63, 8, v47
	v_lshrrev_b32_e32 v47, 24, v47
	v_lshrrev_b16 v65, 8, v50
	v_lshrrev_b16 v59, 8, v43
	v_lshrrev_b32_e32 v43, 24, v43
	v_lshrrev_b16 v61, 8, v46
	v_lshrrev_b32_e32 v62, 24, v46
	v_and_b32_e32 v51, 0x8040201, v41
	v_cmp_ne_u16_e32 vcc_lo, 0, v59
	v_lshrrev_b32_e32 v66, 24, v50
	v_and_b32_e32 v54, 0x80402010, v41
	v_lshrrev_b32_e32 v44, 18, v30
	v_lshrrev_b16 v67, 8, v51
	s_wait_alu 0xfffd
	v_cndmask_b32_e64 v59, 0, -1, vcc_lo
	v_cmp_ne_u16_e32 vcc_lo, 0, v43
	v_lshrrev_b32_e32 v51, 24, v51
	v_lshrrev_b16 v69, 8, v54
	v_lshrrev_b32_e32 v70, 24, v54
	v_lshrrev_b16 v71, 8, v55
	s_wait_alu 0xfffd
	v_cndmask_b32_e64 v43, 0, -1, vcc_lo
	v_cmp_ne_u16_e32 vcc_lo, 0, v61
	v_bfe_i32 v45, v30, 0, 1
	v_lshrrev_b32_e32 v30, 22, v30
	v_and_b32_e32 v58, 0x80402010, v42
	v_bfe_i32 v44, v44, 0, 1
	s_wait_alu 0xfffd
	v_cndmask_b32_e64 v61, 0, -1, vcc_lo
	v_cmp_ne_u16_e32 vcc_lo, 0, v62
	v_lshrrev_b16 v46, 4, v46
	v_lshrrev_b32_e32 v55, 24, v55
	v_bfe_i32 v49, v40, 0, 1
	v_lshrrev_b32_e32 v52, 18, v41
	s_wait_alu 0xfffd
	v_cndmask_b32_e64 v62, 0, -1, vcc_lo
	v_cmp_ne_u16_e32 vcc_lo, 0, v63
	v_lshrrev_b32_e32 v56, 18, v42
	v_and_b32_e32 v60, 0xff, v45
	v_bfe_i32 v30, v30, 0, 1
	v_bfe_i32 v48, v48, 0, 1
	s_wait_alu 0xfffd
	v_cndmask_b32_e64 v63, 0, -1, vcc_lo
	v_cmp_ne_u16_e32 vcc_lo, 0, v47
	v_lshrrev_b16 v73, 8, v58
	v_and_b32_e32 v75, 0xff, v44
	v_bfe_i32 v46, v46, 0, 1
	v_lshlrev_b16 v59, 8, v59
	s_wait_alu 0xfffd
	v_cndmask_b32_e64 v47, 0, -1, vcc_lo
	v_cmp_ne_u16_e32 vcc_lo, 0, v65
	v_lshlrev_b16 v43, 8, v43
	v_lshrrev_b32_e32 v40, 22, v40
	v_bfe_i32 v53, v41, 0, 1
	v_bfe_i32 v57, v42, 0, 1
	s_wait_alu 0xfffd
	v_cndmask_b32_e64 v65, 0, -1, vcc_lo
	v_cmp_ne_u16_e32 vcc_lo, 0, v66
	v_and_b32_e32 v64, 0xff, v49
	v_lshrrev_b16 v50, 4, v50
	v_bfe_i32 v52, v52, 0, 1
	v_bfe_i32 v56, v56, 0, 1
	s_wait_alu 0xfffd
	v_cndmask_b32_e64 v66, 0, -1, vcc_lo
	v_cmp_ne_u16_e32 vcc_lo, 0, v67
	v_lshrrev_b32_e32 v74, 24, v58
	v_and_b32_e32 v76, 0xff, v30
	v_and_b32_e32 v77, 0xff, v48
	;; [unrolled: 1-line block ×3, first 2 shown]
	s_wait_alu 0xfffd
	v_cndmask_b32_e64 v67, 0, -1, vcc_lo
	v_cmp_ne_u16_e32 vcc_lo, 0, v51
	v_lshlrev_b16 v61, 8, v61
	v_lshlrev_b16 v62, 8, v62
	;; [unrolled: 1-line block ×4, first 2 shown]
	s_wait_alu 0xfffd
	v_cndmask_b32_e64 v51, 0, -1, vcc_lo
	v_cmp_ne_u16_e32 vcc_lo, 0, v69
	v_or_b32_e32 v60, v60, v59
	v_or_b32_e32 v75, v75, v43
	v_lshrrev_b32_e32 v41, 22, v41
	v_lshrrev_b32_e32 v42, 22, v42
	s_wait_alu 0xfffd
	v_cndmask_b32_e64 v69, 0, -1, vcc_lo
	v_cmp_ne_u16_e32 vcc_lo, 0, v70
	v_bfe_i32 v40, v40, 0, 1
	v_and_b32_e32 v68, 0xff, v53
	v_lshrrev_b16 v54, 4, v54
	v_and_b32_e32 v72, 0xff, v57
	s_wait_alu 0xfffd
	v_cndmask_b32_e64 v70, 0, -1, vcc_lo
	v_cmp_ne_u16_e32 vcc_lo, 0, v71
	v_lshrrev_b16 v58, 4, v58
	v_bfe_i32 v50, v50, 0, 1
	v_and_b32_e32 v79, 0xff, v52
	v_and_b32_e32 v81, 0xff, v56
	s_wait_alu 0xfffd
	v_cndmask_b32_e64 v71, 0, -1, vcc_lo
	v_cmp_ne_u16_e32 vcc_lo, 0, v55
	v_lshlrev_b16 v67, 8, v67
	v_lshlrev_b16 v51, 8, v51
	v_or_b32_e32 v83, v83, v61
	v_lshlrev_b16 v71, 8, v71
	s_wait_alu 0xfffd
	v_cndmask_b32_e64 v55, 0, -1, vcc_lo
	v_cmp_ne_u16_e32 vcc_lo, 0, v73
	v_or_b32_e32 v76, v76, v62
	v_or_b32_e32 v64, v64, v63
	;; [unrolled: 1-line block ×3, first 2 shown]
	v_lshlrev_b16 v55, 8, v55
	s_wait_alu 0xfffd
	v_cndmask_b32_e64 v73, 0, -1, vcc_lo
	v_cmp_ne_u16_e32 vcc_lo, 0, v74
	v_and_b32_e32 v60, 0xffff, v60
	v_lshlrev_b32_e32 v75, 16, v75
	v_bfe_i32 v41, v41, 0, 1
	v_bfe_i32 v42, v42, 0, 1
	v_and_b32_e32 v78, 0xff, v40
	v_bfe_i32 v54, v54, 0, 1
	v_bfe_i32 v58, v58, 0, 1
	s_wait_alu 0xfffd
	v_cndmask_b32_e64 v74, 0, -1, vcc_lo
	v_and_b32_e32 v84, 0xff, v50
	v_lshlrev_b16 v65, 8, v65
	v_lshlrev_b16 v66, 8, v66
	v_or_b32_e32 v68, v68, v67
	v_or_b32_e32 v79, v79, v51
	;; [unrolled: 1-line block ×4, first 2 shown]
	v_and_b32_e32 v83, 0xffff, v83
	v_lshlrev_b32_e32 v76, 16, v76
	v_and_b32_e32 v64, 0xffff, v64
	v_lshlrev_b32_e32 v77, 16, v77
	v_or_b32_e32 v60, v60, v75
	v_and_b32_e32 v80, 0xff, v41
	v_and_b32_e32 v82, 0xff, v42
	;; [unrolled: 1-line block ×3, first 2 shown]
	v_lshlrev_b16 v69, 8, v69
	v_lshlrev_b16 v70, 8, v70
	v_and_b32_e32 v86, 0xff, v58
	v_lshlrev_b16 v73, 8, v73
	v_lshlrev_b16 v74, 8, v74
	v_or_b32_e32 v84, v84, v65
	v_or_b32_e32 v78, v78, v66
	v_and_b32_e32 v68, 0xffff, v68
	v_lshlrev_b32_e32 v79, 16, v79
	v_and_b32_e32 v72, 0xffff, v72
	v_lshlrev_b32_e32 v81, 16, v81
	v_or_b32_e32 v75, v83, v76
	v_or_b32_e32 v64, v64, v77
	v_lshlrev_b16 v45, 8, v45
	v_or_b32_e32 v85, v85, v69
	v_or_b32_e32 v80, v80, v70
	;; [unrolled: 1-line block ×4, first 2 shown]
	v_and_b32_e32 v84, 0xffff, v84
	v_lshlrev_b32_e32 v78, 16, v78
	v_or_b32_e32 v68, v68, v79
	v_or_b32_e32 v72, v72, v81
	v_lshlrev_b16 v44, 8, v44
	v_lshlrev_b16 v46, 8, v46
	v_and_b32_e32 v85, 0xffff, v85
	v_lshlrev_b32_e32 v80, 16, v80
	v_and_b32_e32 v86, 0xffff, v86
	v_lshlrev_b32_e32 v82, 16, v82
	v_or_b32_e32 v76, v84, v78
	v_lshlrev_b16 v49, 8, v49
	v_lshlrev_b16 v30, 8, v30
	v_or_b32_e32 v77, v85, v80
	v_or_b32_e32 v78, v86, v82
	v_lshlrev_b16 v48, 8, v48
	v_lshlrev_b16 v50, 8, v50
	;; [unrolled: 1-line block ×11, first 2 shown]
	v_add_co_u32 v2, vcc_lo, 0x480, v2
	s_wait_alu 0xfffd
	v_add_co_ci_u32_e64 v3, null, 0, v3, vcc_lo
	s_wait_loadcnt 0x7
	v_xor_b32_e32 v31, v31, v60
	v_xor_b32_e32 v32, v32, v75
	s_wait_loadcnt 0x6
	v_xor_b32_e32 v33, v33, v64
	s_wait_loadcnt 0x5
	;; [unrolled: 2-line block ×3, first 2 shown]
	v_xor_b32_e32 v37, v37, v72
	v_lshrrev_b32_e32 v60, 16, v31
	v_and_b32_e32 v64, 0xffffff00, v31
	v_lshlrev_b16 v31, 8, v31
	v_lshrrev_b32_e32 v68, 16, v32
	v_and_b32_e32 v72, 0xffffff00, v32
	v_lshlrev_b16 v32, 8, v32
	v_xor_b32_e32 v34, v34, v76
	v_sub_nc_i16 v31, v31, v45 clamp
	v_and_b32_e32 v45, 0xffffff00, v60
	v_lshlrev_b16 v60, 8, v60
	v_lshrrev_b32_e32 v75, 16, v33
	v_and_b32_e32 v76, 0xffffff00, v33
	v_lshlrev_b16 v33, 8, v33
	v_sub_nc_i16 v59, v64, v59 clamp
	v_sub_nc_i16 v32, v32, v46 clamp
	v_and_b32_e32 v46, 0xffffff00, v68
	v_lshlrev_b16 v64, 8, v68
	v_sub_nc_i16 v43, v45, v43 clamp
	v_sub_nc_i16 v44, v60, v44 clamp
	v_xor_b32_e32 v36, v36, v77
	v_xor_b32_e32 v38, v38, v78
	v_lshrrev_b32_e32 v77, 16, v34
	v_and_b32_e32 v78, 0xffffff00, v34
	v_lshlrev_b16 v34, 8, v34
	v_sub_nc_i16 v61, v72, v61 clamp
	v_sub_nc_i16 v33, v33, v49 clamp
	v_and_b32_e32 v49, 0xffffff00, v75
	v_lshlrev_b16 v68, 8, v75
	v_perm_b32 v31, v31, v59, 0xc0c0105
	v_sub_nc_i16 v45, v46, v62 clamp
	v_sub_nc_i16 v30, v64, v30 clamp
	v_perm_b32 v43, v44, v43, 0xc0c0105
	v_lshrrev_b32_e32 v79, 16, v35
	v_and_b32_e32 v80, 0xffffff00, v35
	v_lshlrev_b16 v35, 8, v35
	v_sub_nc_i16 v63, v76, v63 clamp
	v_sub_nc_i16 v34, v34, v50 clamp
	v_and_b32_e32 v50, 0xffffff00, v77
	v_lshlrev_b16 v72, 8, v77
	v_perm_b32 v32, v32, v61, 0xc0c0105
	v_sub_nc_i16 v46, v49, v47 clamp
	v_sub_nc_i16 v47, v68, v48 clamp
	v_perm_b32 v30, v30, v45, 0xc0c0105
	v_lshl_or_b32 v31, v43, 16, v31
	v_lshrrev_b32_e32 v81, 16, v36
	v_and_b32_e32 v82, 0xffffff00, v36
	v_lshlrev_b16 v36, 8, v36
	v_sub_nc_i16 v65, v78, v65 clamp
	v_sub_nc_i16 v35, v35, v53 clamp
	v_and_b32_e32 v53, 0xffffff00, v79
	v_lshlrev_b16 v75, 8, v79
	v_perm_b32 v33, v33, v63, 0xc0c0105
	v_sub_nc_i16 v48, v50, v66 clamp
	v_sub_nc_i16 v40, v72, v40 clamp
	v_perm_b32 v43, v47, v46, 0xc0c0105
	v_lshl_or_b32 v30, v30, 16, v32
	v_dot4_i32_iu8 v14, v31, v14, 0 neg_lo:[1,1,0]
	v_dot4_i32_iu8 v18, v31, v18, 0 neg_lo:[1,1,0]
	v_lshrrev_b32_e32 v83, 16, v37
	v_and_b32_e32 v84, 0xffffff00, v37
	v_lshlrev_b16 v37, 8, v37
	v_sub_nc_i16 v67, v80, v67 clamp
	v_sub_nc_i16 v36, v36, v54 clamp
	v_and_b32_e32 v54, 0xffffff00, v81
	v_lshlrev_b16 v76, 8, v81
	v_perm_b32 v34, v34, v65, 0xc0c0105
	v_sub_nc_i16 v49, v53, v51 clamp
	v_sub_nc_i16 v50, v75, v52 clamp
	v_perm_b32 v31, v40, v48, 0xc0c0105
	v_lshl_or_b32 v32, v43, 16, v33
	v_dot4_i32_iu8 v14, v30, v15, v14 neg_lo:[1,1,0]
	v_dot4_i32_iu8 v15, v30, v19, v18 neg_lo:[1,1,0]
	;; [unrolled: 14-line block ×3, first 2 shown]
	v_sub_nc_i16 v71, v84, v71 clamp
	v_sub_nc_i16 v38, v38, v58 clamp
	v_and_b32_e32 v58, 0xffffff00, v85
	v_lshlrev_b16 v78, 8, v85
	v_perm_b32 v36, v36, v69, 0xc0c0105
	v_sub_nc_i16 v52, v57, v55 clamp
	v_sub_nc_i16 v53, v77, v56 clamp
	v_perm_b32 v16, v41, v51, 0xc0c0105
	v_lshl_or_b32 v18, v18, 16, v35
	s_wait_loadcnt 0x2
	v_dot4_i32_iu8 v14, v19, v21, v14 neg_lo:[1,1,0]
	s_wait_loadcnt 0x1
	v_dot4_i32_iu8 v15, v19, v25, v15 neg_lo:[1,1,0]
	v_sub_nc_i16 v73, v86, v73 clamp
	v_perm_b32 v37, v37, v71, 0xc0c0105
	v_sub_nc_i16 v54, v58, v74 clamp
	v_sub_nc_i16 v42, v78, v42 clamp
	v_perm_b32 v19, v53, v52, 0xc0c0105
	v_lshl_or_b32 v16, v16, 16, v36
	v_dot4_i32_iu8 v14, v18, v22, v14 neg_lo:[1,1,0]
	v_dot4_i32_iu8 v15, v18, v26, v15 neg_lo:[1,1,0]
	v_perm_b32 v38, v38, v73, 0xc0c0105
	v_perm_b32 v18, v42, v54, 0xc0c0105
	v_lshl_or_b32 v19, v19, 16, v37
	v_dot4_i32_iu8 v14, v16, v23, v14 neg_lo:[1,1,0]
	v_dot4_i32_iu8 v15, v16, v27, v15 neg_lo:[1,1,0]
	s_delay_alu instid0(VALU_DEP_4) | instskip(NEXT) | instid1(VALU_DEP_3)
	v_lshl_or_b32 v16, v18, 16, v38
	v_dot4_i32_iu8 v14, v19, v24, v14 neg_lo:[1,1,0]
	s_delay_alu instid0(VALU_DEP_3) | instskip(NEXT) | instid1(VALU_DEP_2)
	v_dot4_i32_iu8 v15, v19, v28, v15 neg_lo:[1,1,0]
	v_dot4_i32_iu8 v4, v16, v4, v14 neg_lo:[1,1,0]
	s_wait_loadcnt 0x0
	s_delay_alu instid0(VALU_DEP_2) | instskip(NEXT) | instid1(VALU_DEP_2)
	v_dot4_i32_iu8 v14, v16, v29, v15 neg_lo:[1,1,0]
	v_mul_lo_u32 v4, v4, v5
	s_delay_alu instid0(VALU_DEP_2) | instskip(NEXT) | instid1(VALU_DEP_2)
	v_mul_lo_u32 v5, v14, v5
	v_ashrrev_i32_e32 v14, 31, v4
	s_delay_alu instid0(VALU_DEP_2) | instskip(NEXT) | instid1(VALU_DEP_2)
	v_ashrrev_i32_e32 v15, 31, v5
	v_lshrrev_b32_e32 v14, 29, v14
	s_delay_alu instid0(VALU_DEP_2) | instskip(NEXT) | instid1(VALU_DEP_2)
	v_lshrrev_b32_e32 v15, 29, v15
	v_add_nc_u32_e32 v4, v4, v14
	s_delay_alu instid0(VALU_DEP_2) | instskip(SKIP_2) | instid1(VALU_DEP_4)
	v_add_nc_u32_e32 v5, v5, v15
	v_cvt_f32_f16_e32 v14, v17
	v_cvt_f32_f16_e32 v15, v39
	v_ashrrev_i32_e32 v4, 3, v4
	s_delay_alu instid0(VALU_DEP_4) | instskip(NEXT) | instid1(VALU_DEP_3)
	v_ashrrev_i32_e32 v5, 3, v5
	v_mul_f32_e32 v13, v15, v13
	v_mul_f32_e32 v14, v15, v14
	s_delay_alu instid0(VALU_DEP_4) | instskip(NEXT) | instid1(VALU_DEP_4)
	v_cvt_f32_i32_e32 v4, v4
	v_cvt_f32_i32_e32 v5, v5
	s_delay_alu instid0(VALU_DEP_1)
	v_dual_fmac_f32 v10, v13, v4 :: v_dual_fmac_f32 v7, v14, v5
	s_wait_alu 0xfffe
	s_and_not1_b32 exec_lo, exec_lo, s3
	s_cbranch_execnz .LBB161_2
; %bb.3:
	s_or_b32 exec_lo, exec_lo, s3
.LBB161_4:
	s_delay_alu instid0(SALU_CYCLE_1)
	s_or_b32 exec_lo, exec_lo, s22
	s_mov_b32 s3, 0
	; wave barrier
	global_inv scope:SCOPE_SE
	s_mov_b32 s2, exec_lo
	v_cmpx_eq_u32_e32 0, v8
	s_cbranch_execz .LBB161_9
; %bb.5:
	v_mbcnt_lo_u32_b32 v4, -1, 0
	s_load_b64 s[0:1], s[0:1], 0x38
	s_mul_i32 s2, s10, s19
	s_mul_i32 s4, s18, s20
	s_wait_alu 0xfffe
	s_add_co_i32 s2, s2, ttmp9
	v_xor_b32_e32 v0, 16, v4
	v_xor_b32_e32 v1, 8, v4
	;; [unrolled: 1-line block ×3, first 2 shown]
	s_wait_alu 0xfffe
	s_add_co_i32 s2, s2, s4
	s_wait_alu 0xfffe
	s_lshl_b64 s[2:3], s[2:3], 2
	v_cmp_gt_i32_e32 vcc_lo, 32, v0
	s_wait_alu 0xfffd
	v_cndmask_b32_e32 v0, v4, v0, vcc_lo
	v_cmp_gt_i32_e32 vcc_lo, 32, v1
	s_wait_kmcnt 0x0
	s_wait_alu 0xfffe
	s_add_nc_u64 s[0:1], s[0:1], s[2:3]
	s_wait_alu 0xfffd
	v_cndmask_b32_e32 v1, v4, v1, vcc_lo
	s_delay_alu instid0(VALU_DEP_1)
	v_lshlrev_b32_e32 v1, 2, v1
	v_lshlrev_b32_e32 v0, 2, v0
	ds_bpermute_b32 v2, v0, v10
	s_wait_dscnt 0x0
	v_add_f32_e32 v3, v10, v2
	v_xor_b32_e32 v2, 4, v4
	ds_bpermute_b32 v5, v1, v3
	v_cmp_gt_i32_e32 vcc_lo, 32, v2
	s_wait_dscnt 0x0
	s_wait_alu 0xfffd
	v_dual_cndmask_b32 v2, v4, v2 :: v_dual_add_f32 v5, v3, v5
	s_delay_alu instid0(VALU_DEP_1)
	v_lshlrev_b32_e32 v2, 2, v2
	v_xor_b32_e32 v3, 2, v4
	ds_bpermute_b32 v8, v2, v5
	v_cmp_gt_i32_e32 vcc_lo, 32, v3
	s_wait_alu 0xfffd
	v_cndmask_b32_e32 v3, v4, v3, vcc_lo
	v_cmp_gt_i32_e32 vcc_lo, 32, v9
	s_wait_alu 0xfffd
	v_cndmask_b32_e32 v4, v4, v9, vcc_lo
	v_cmp_eq_u32_e32 vcc_lo, 0, v6
	s_delay_alu instid0(VALU_DEP_2)
	v_lshlrev_b32_e32 v4, 2, v4
	v_lshlrev_b32_e32 v3, 2, v3
	s_wait_dscnt 0x0
	v_add_f32_e32 v5, v5, v8
	ds_bpermute_b32 v8, v3, v5
	s_wait_dscnt 0x0
	v_add_f32_e32 v5, v5, v8
	ds_bpermute_b32 v8, v4, v5
	s_and_saveexec_b32 s2, vcc_lo
	s_cbranch_execz .LBB161_7
; %bb.6:
	s_wait_dscnt 0x0
	v_dual_add_f32 v5, v5, v8 :: v_dual_mov_b32 v6, 0
	global_store_b32 v6, v5, s[0:1]
.LBB161_7:
	s_wait_alu 0xfffe
	s_or_b32 exec_lo, exec_lo, s2
	ds_bpermute_b32 v0, v0, v7
	s_wait_dscnt 0x0
	v_add_f32_e32 v0, v7, v0
	ds_bpermute_b32 v1, v1, v0
	s_wait_dscnt 0x0
	v_add_f32_e32 v0, v0, v1
	;; [unrolled: 3-line block ×4, first 2 shown]
	ds_bpermute_b32 v1, v4, v0
	s_and_b32 exec_lo, exec_lo, vcc_lo
	s_cbranch_execz .LBB161_9
; %bb.8:
	s_mov_b32 s7, 0
	s_wait_dscnt 0x0
	v_dual_add_f32 v0, v0, v1 :: v_dual_mov_b32 v1, 0
	s_lshl_b64 s[2:3], s[6:7], 2
	s_wait_alu 0xfffe
	s_add_nc_u64 s[0:1], s[0:1], s[2:3]
	global_store_b32 v1, v0, s[0:1]
.LBB161_9:
	s_endpgm
	.section	.rodata,"a",@progbits
	.p2align	6, 0x0
	.amdhsa_kernel _ZL13mul_mat_vec_qIL9ggml_type16ELi2ELb0ELb0EEvPKvS2_PKi31ggml_cuda_mm_fusion_args_devicePfj15HIP_vector_typeIjLj3EEjjjS8_jjjS8_jjjj
		.amdhsa_group_segment_fixed_size 0
		.amdhsa_private_segment_fixed_size 0
		.amdhsa_kernarg_size 144
		.amdhsa_user_sgpr_count 2
		.amdhsa_user_sgpr_dispatch_ptr 0
		.amdhsa_user_sgpr_queue_ptr 0
		.amdhsa_user_sgpr_kernarg_segment_ptr 1
		.amdhsa_user_sgpr_dispatch_id 0
		.amdhsa_user_sgpr_private_segment_size 0
		.amdhsa_wavefront_size32 1
		.amdhsa_uses_dynamic_stack 0
		.amdhsa_enable_private_segment 0
		.amdhsa_system_sgpr_workgroup_id_x 1
		.amdhsa_system_sgpr_workgroup_id_y 1
		.amdhsa_system_sgpr_workgroup_id_z 1
		.amdhsa_system_sgpr_workgroup_info 0
		.amdhsa_system_vgpr_workitem_id 1
		.amdhsa_next_free_vgpr 87
		.amdhsa_next_free_sgpr 28
		.amdhsa_reserve_vcc 1
		.amdhsa_float_round_mode_32 0
		.amdhsa_float_round_mode_16_64 0
		.amdhsa_float_denorm_mode_32 3
		.amdhsa_float_denorm_mode_16_64 3
		.amdhsa_fp16_overflow 0
		.amdhsa_workgroup_processor_mode 1
		.amdhsa_memory_ordered 1
		.amdhsa_forward_progress 1
		.amdhsa_inst_pref_size 29
		.amdhsa_round_robin_scheduling 0
		.amdhsa_exception_fp_ieee_invalid_op 0
		.amdhsa_exception_fp_denorm_src 0
		.amdhsa_exception_fp_ieee_div_zero 0
		.amdhsa_exception_fp_ieee_overflow 0
		.amdhsa_exception_fp_ieee_underflow 0
		.amdhsa_exception_fp_ieee_inexact 0
		.amdhsa_exception_int_div_zero 0
	.end_amdhsa_kernel
	.section	.text._ZL13mul_mat_vec_qIL9ggml_type16ELi2ELb0ELb0EEvPKvS2_PKi31ggml_cuda_mm_fusion_args_devicePfj15HIP_vector_typeIjLj3EEjjjS8_jjjS8_jjjj,"axG",@progbits,_ZL13mul_mat_vec_qIL9ggml_type16ELi2ELb0ELb0EEvPKvS2_PKi31ggml_cuda_mm_fusion_args_devicePfj15HIP_vector_typeIjLj3EEjjjS8_jjjS8_jjjj,comdat
.Lfunc_end161:
	.size	_ZL13mul_mat_vec_qIL9ggml_type16ELi2ELb0ELb0EEvPKvS2_PKi31ggml_cuda_mm_fusion_args_devicePfj15HIP_vector_typeIjLj3EEjjjS8_jjjS8_jjjj, .Lfunc_end161-_ZL13mul_mat_vec_qIL9ggml_type16ELi2ELb0ELb0EEvPKvS2_PKi31ggml_cuda_mm_fusion_args_devicePfj15HIP_vector_typeIjLj3EEjjjS8_jjjS8_jjjj
                                        ; -- End function
	.set _ZL13mul_mat_vec_qIL9ggml_type16ELi2ELb0ELb0EEvPKvS2_PKi31ggml_cuda_mm_fusion_args_devicePfj15HIP_vector_typeIjLj3EEjjjS8_jjjS8_jjjj.num_vgpr, 87
	.set _ZL13mul_mat_vec_qIL9ggml_type16ELi2ELb0ELb0EEvPKvS2_PKi31ggml_cuda_mm_fusion_args_devicePfj15HIP_vector_typeIjLj3EEjjjS8_jjjS8_jjjj.num_agpr, 0
	.set _ZL13mul_mat_vec_qIL9ggml_type16ELi2ELb0ELb0EEvPKvS2_PKi31ggml_cuda_mm_fusion_args_devicePfj15HIP_vector_typeIjLj3EEjjjS8_jjjS8_jjjj.numbered_sgpr, 28
	.set _ZL13mul_mat_vec_qIL9ggml_type16ELi2ELb0ELb0EEvPKvS2_PKi31ggml_cuda_mm_fusion_args_devicePfj15HIP_vector_typeIjLj3EEjjjS8_jjjS8_jjjj.num_named_barrier, 0
	.set _ZL13mul_mat_vec_qIL9ggml_type16ELi2ELb0ELb0EEvPKvS2_PKi31ggml_cuda_mm_fusion_args_devicePfj15HIP_vector_typeIjLj3EEjjjS8_jjjS8_jjjj.private_seg_size, 0
	.set _ZL13mul_mat_vec_qIL9ggml_type16ELi2ELb0ELb0EEvPKvS2_PKi31ggml_cuda_mm_fusion_args_devicePfj15HIP_vector_typeIjLj3EEjjjS8_jjjS8_jjjj.uses_vcc, 1
	.set _ZL13mul_mat_vec_qIL9ggml_type16ELi2ELb0ELb0EEvPKvS2_PKi31ggml_cuda_mm_fusion_args_devicePfj15HIP_vector_typeIjLj3EEjjjS8_jjjS8_jjjj.uses_flat_scratch, 0
	.set _ZL13mul_mat_vec_qIL9ggml_type16ELi2ELb0ELb0EEvPKvS2_PKi31ggml_cuda_mm_fusion_args_devicePfj15HIP_vector_typeIjLj3EEjjjS8_jjjS8_jjjj.has_dyn_sized_stack, 0
	.set _ZL13mul_mat_vec_qIL9ggml_type16ELi2ELb0ELb0EEvPKvS2_PKi31ggml_cuda_mm_fusion_args_devicePfj15HIP_vector_typeIjLj3EEjjjS8_jjjS8_jjjj.has_recursion, 0
	.set _ZL13mul_mat_vec_qIL9ggml_type16ELi2ELb0ELb0EEvPKvS2_PKi31ggml_cuda_mm_fusion_args_devicePfj15HIP_vector_typeIjLj3EEjjjS8_jjjS8_jjjj.has_indirect_call, 0
	.section	.AMDGPU.csdata,"",@progbits
; Kernel info:
; codeLenInByte = 3652
; TotalNumSgprs: 30
; NumVgprs: 87
; ScratchSize: 0
; MemoryBound: 0
; FloatMode: 240
; IeeeMode: 1
; LDSByteSize: 0 bytes/workgroup (compile time only)
; SGPRBlocks: 0
; VGPRBlocks: 10
; NumSGPRsForWavesPerEU: 30
; NumVGPRsForWavesPerEU: 87
; Occupancy: 16
; WaveLimiterHint : 0
; COMPUTE_PGM_RSRC2:SCRATCH_EN: 0
; COMPUTE_PGM_RSRC2:USER_SGPR: 2
; COMPUTE_PGM_RSRC2:TRAP_HANDLER: 0
; COMPUTE_PGM_RSRC2:TGID_X_EN: 1
; COMPUTE_PGM_RSRC2:TGID_Y_EN: 1
; COMPUTE_PGM_RSRC2:TGID_Z_EN: 1
; COMPUTE_PGM_RSRC2:TIDIG_COMP_CNT: 1
	.section	.text._ZL13mul_mat_vec_qIL9ggml_type16ELi3ELb0ELb0EEvPKvS2_PKi31ggml_cuda_mm_fusion_args_devicePfj15HIP_vector_typeIjLj3EEjjjS8_jjjS8_jjjj,"axG",@progbits,_ZL13mul_mat_vec_qIL9ggml_type16ELi3ELb0ELb0EEvPKvS2_PKi31ggml_cuda_mm_fusion_args_devicePfj15HIP_vector_typeIjLj3EEjjjS8_jjjS8_jjjj,comdat
	.globl	_ZL13mul_mat_vec_qIL9ggml_type16ELi3ELb0ELb0EEvPKvS2_PKi31ggml_cuda_mm_fusion_args_devicePfj15HIP_vector_typeIjLj3EEjjjS8_jjjS8_jjjj ; -- Begin function _ZL13mul_mat_vec_qIL9ggml_type16ELi3ELb0ELb0EEvPKvS2_PKi31ggml_cuda_mm_fusion_args_devicePfj15HIP_vector_typeIjLj3EEjjjS8_jjjS8_jjjj
	.p2align	8
	.type	_ZL13mul_mat_vec_qIL9ggml_type16ELi3ELb0ELb0EEvPKvS2_PKi31ggml_cuda_mm_fusion_args_devicePfj15HIP_vector_typeIjLj3EEjjjS8_jjjS8_jjjj,@function
_ZL13mul_mat_vec_qIL9ggml_type16ELi3ELb0ELb0EEvPKvS2_PKi31ggml_cuda_mm_fusion_args_devicePfj15HIP_vector_typeIjLj3EEjjjS8_jjjS8_jjjj: ; @_ZL13mul_mat_vec_qIL9ggml_type16ELi3ELb0ELb0EEvPKvS2_PKi31ggml_cuda_mm_fusion_args_devicePfj15HIP_vector_typeIjLj3EEjjjS8_jjjS8_jjjj
; %bb.0:
	s_clause 0x5
	s_load_b96 s[16:18], s[0:1], 0x80
	s_load_b32 s3, s[0:1], 0x40
	s_load_b128 s[4:7], s[0:1], 0x50
	s_load_b32 s2, s[0:1], 0x60
	s_load_b128 s[8:11], s[0:1], 0x68
	s_load_b32 s23, s[0:1], 0x78
	v_bfe_u32 v6, v0, 10, 10
	v_dual_mov_b32 v5, 0 :: v_dual_and_b32 v4, 0x3ff, v0
	v_mov_b32_e32 v7, 0
	v_mov_b32_e32 v9, 0
	s_and_b32 s19, ttmp7, 0xffff
	s_delay_alu instid0(VALU_DEP_3) | instskip(SKIP_2) | instid1(VALU_DEP_1)
	v_lshl_or_b32 v0, v6, 5, v4
	s_lshr_b32 s20, ttmp7, 16
	s_mov_b32 s21, exec_lo
	v_lshrrev_b32_e32 v8, 3, v0
	s_wait_kmcnt 0x0
	s_lshr_b32 s22, s3, 8
	s_delay_alu instid0(VALU_DEP_1) | instid1(SALU_CYCLE_1)
	v_cmpx_gt_u32_e64 s22, v8
	s_cbranch_execz .LBB162_4
; %bb.1:
	v_lshl_add_u32 v0, v6, 5, v4
	s_mov_b32 s3, 0
	s_mul_i32 s24, s9, s19
	s_mov_b32 s25, s3
	s_mul_hi_u32 s7, s7, s19
	v_lshrrev_b32_e32 v0, 3, v0
	s_mul_u64 s[24:25], s[24:25], 36
	s_load_b128 s[12:15], s[0:1], 0x0
	s_add_co_i32 s7, s19, s7
	v_lshlrev_b32_e32 v2, 1, v4
	v_mad_co_u64_u32 v[0:1], null, 0x120, v0, s[24:25]
	s_lshr_b32 s7, s7, s2
	s_mul_i32 s2, s17, s20
	v_and_b32_e32 v7, 7, v4
	v_and_b32_e32 v5, 14, v2
	s_mul_hi_u32 s9, s11, s20
	s_mul_u64 s[26:27], s[2:3], 36
	v_mad_co_u64_u32 v[0:1], null, s2, 36, v[0:1]
	s_add_co_i32 s9, s20, s9
	s_mul_i32 s2, s7, s8
	s_lshr_b32 s9, s9, s23
	v_lshlrev_b32_e32 v9, 3, v8
	s_mul_i32 s7, s9, s16
	v_lshlrev_b32_e32 v12, 1, v5
	v_mad_co_u64_u32 v[2:3], null, v7, 36, v[0:1]
	s_wait_kmcnt 0x0
	s_add_nc_u64 s[8:9], s[14:15], s[26:27]
	s_mul_i32 s4, s4, ttmp9
	s_add_nc_u64 s[8:9], s[8:9], s[24:25]
	v_mov_b32_e32 v5, 0
	v_mad_co_u64_u32 v[0:1], null, v7, 36, s[8:9]
	s_delay_alu instid0(VALU_DEP_3) | instskip(NEXT) | instid1(VALU_DEP_1)
	v_add_co_u32 v2, vcc_lo, s14, v2
	v_add_co_ci_u32_e64 v3, null, s15, v3, vcc_lo
	v_add_nc_u32_e32 v10, s5, v9
	s_delay_alu instid0(VALU_DEP_3)
	v_add_co_u32 v2, vcc_lo, v2, 16
	v_lshl_add_u32 v11, s5, 1, v9
	s_wait_alu 0xfffd
	v_add_co_ci_u32_e64 v3, null, 0, v3, vcc_lo
	v_dual_mov_b32 v7, 0 :: v_dual_lshlrev_b32 v12, 1, v12
	v_mov_b32_e32 v9, 0
	s_wait_alu 0xfffe
	s_add_co_i32 s2, s2, s4
	s_wait_alu 0xfffe
	s_add_co_i32 s2, s7, s2
.LBB162_2:                              ; =>This Inner Loop Header: Depth=1
	s_wait_alu 0xfffe
	v_add_nc_u32_e32 v13, s2, v8
	v_mad_co_u64_u32 v[29:30], null, v10, 36, v[0:1]
	v_mad_co_u64_u32 v[33:34], null, v11, 36, v[0:1]
	s_delay_alu instid0(VALU_DEP_3)
	v_mad_co_i64_i32 v[37:38], null, 0x42, v13, s[12:13]
	global_load_b32 v45, v[2:3], off offset:16
	s_getpc_b64 s[4:5]
	s_wait_alu 0xfffe
	s_sext_i32_i16 s5, s5
	s_add_co_u32 s4, s4, _ZL11iq2xxs_grid@rel32@lo+12
	s_wait_alu 0xfffe
	s_add_co_ci_u32 s5, s5, _ZL11iq2xxs_grid@rel32@hi+24
	v_add_nc_u32_e32 v11, 32, v11
	v_add_co_u32 v13, vcc_lo, v37, v12
	s_wait_alu 0xfffd
	v_add_co_ci_u32_e64 v14, null, 0, v38, vcc_lo
	global_load_b64 v[39:40], v[13:14], off offset:2
	s_clause 0x1
	global_load_b128 v[13:16], v[2:3], off offset:-16
	global_load_b128 v[17:20], v[2:3], off
	s_clause 0x5
	global_load_b128 v[21:24], v[29:30], off
	global_load_b128 v[25:28], v[29:30], off offset:16
	global_load_b32 v46, v[29:30], off offset:32
	global_load_b128 v[29:32], v[33:34], off
	global_load_b32 v47, v[33:34], off offset:32
	global_load_b128 v[33:36], v[33:34], off offset:16
	global_load_u16 v48, v[37:38], off
	s_wait_loadcnt 0x8
	v_cvt_f32_f16_e32 v13, v13
	v_and_b32_e32 v37, 0xff, v39
	v_lshrrev_b32_e32 v38, 5, v39
	v_lshrrev_b32_e32 v41, 13, v39
	v_lshrrev_b32_e32 v39, 21, v39
	v_and_b32_e32 v49, 0xff, v40
	v_lshlrev_b32_e32 v37, 3, v37
	v_bfe_u32 v50, v40, 7, 8
	v_bfe_u32 v51, v40, 14, 8
	;; [unrolled: 1-line block ×3, first 2 shown]
	v_lshrrev_b32_e32 v53, 27, v40
	v_and_b32_e32 v40, 0x7f8, v38
	v_and_b32_e32 v41, 0x7f8, v41
	;; [unrolled: 1-line block ×3, first 2 shown]
	s_clause 0x3
	global_load_b64 v[37:38], v37, s[4:5]
	global_load_b64 v[39:40], v40, s[4:5]
	;; [unrolled: 1-line block ×4, first 2 shown]
	v_bcnt_u32_b32 v54, v49, 0
	v_bcnt_u32_b32 v55, v50, 0
	v_bcnt_u32_b32 v57, v52, 0
	v_bcnt_u32_b32 v56, v51, 0
	s_delay_alu instid0(VALU_DEP_4) | instskip(NEXT) | instid1(VALU_DEP_4)
	v_and_b32_e32 v54, 1, v54
	v_and_b32_e32 v55, 1, v55
	s_delay_alu instid0(VALU_DEP_4) | instskip(NEXT) | instid1(VALU_DEP_4)
	v_and_b32_e32 v57, 1, v57
	v_and_b32_e32 v56, 1, v56
	s_delay_alu instid0(VALU_DEP_4) | instskip(NEXT) | instid1(VALU_DEP_4)
	v_lshlrev_b32_e32 v54, 7, v54
	v_lshlrev_b32_e32 v55, 7, v55
	s_delay_alu instid0(VALU_DEP_4) | instskip(NEXT) | instid1(VALU_DEP_4)
	v_lshlrev_b32_e32 v57, 7, v57
	v_lshlrev_b32_e32 v56, 7, v56
	s_delay_alu instid0(VALU_DEP_4) | instskip(NEXT) | instid1(VALU_DEP_4)
	v_xor_b32_e32 v49, v54, v49
	v_xor_b32_e32 v50, v55, v50
	s_delay_alu instid0(VALU_DEP_4) | instskip(NEXT) | instid1(VALU_DEP_4)
	v_xor_b32_e32 v52, v57, v52
	v_xor_b32_e32 v51, v56, v51
	s_delay_alu instid0(VALU_DEP_4) | instskip(NEXT) | instid1(VALU_DEP_4)
	v_mul_lo_u32 v49, 0x1010101, v49
	v_mul_lo_u32 v50, 0x1010101, v50
	s_delay_alu instid0(VALU_DEP_4) | instskip(NEXT) | instid1(VALU_DEP_4)
	v_mul_lo_u32 v52, 0x1010101, v52
	v_mul_lo_u32 v51, 0x1010101, v51
	s_delay_alu instid0(VALU_DEP_4)
	v_and_b32_e32 v54, 0x8040201, v49
	v_and_b32_e32 v57, 0x80402010, v49
	;; [unrolled: 1-line block ×4, first 2 shown]
	v_lshrrev_b32_e32 v55, 18, v49
	v_lshrrev_b16 v70, 8, v54
	v_lshrrev_b32_e32 v54, 24, v54
	v_lshrrev_b16 v72, 8, v57
	;; [unrolled: 2-line block ×3, first 2 shown]
	v_cmp_ne_u16_e32 vcc_lo, 0, v70
	v_lshrrev_b32_e32 v58, 24, v58
	v_lshrrev_b16 v76, 8, v61
	v_and_b32_e32 v62, 0x8040201, v51
	v_lshrrev_b32_e32 v77, 24, v61
	s_wait_alu 0xfffd
	v_cndmask_b32_e64 v70, 0, -1, vcc_lo
	v_cmp_ne_u16_e32 vcc_lo, 0, v54
	v_bfe_i32 v56, v49, 0, 1
	v_bfe_i32 v55, v55, 0, 1
	v_lshrrev_b16 v78, 8, v62
	v_and_b32_e32 v65, 0x80402010, v51
	s_wait_alu 0xfffd
	v_cndmask_b32_e64 v54, 0, -1, vcc_lo
	v_cmp_ne_u16_e32 vcc_lo, 0, v72
	v_and_b32_e32 v71, 0xff, v56
	v_lshrrev_b32_e32 v62, 24, v62
	v_and_b32_e32 v86, 0xff, v55
	v_lshlrev_b16 v70, 8, v70
	s_wait_alu 0xfffd
	v_cndmask_b32_e64 v72, 0, -1, vcc_lo
	v_cmp_ne_u16_e32 vcc_lo, 0, v73
	v_lshlrev_b16 v54, 8, v54
	v_lshrrev_b32_e32 v49, 22, v49
	v_lshrrev_b16 v57, 4, v57
	v_lshrrev_b16 v80, 8, v65
	s_wait_alu 0xfffd
	v_cndmask_b32_e64 v73, 0, -1, vcc_lo
	v_cmp_ne_u16_e32 vcc_lo, 0, v74
	v_or_b32_e32 v71, v71, v70
	v_or_b32_e32 v86, v86, v54
	v_and_b32_e32 v66, 0x8040201, v52
	v_bfe_i32 v49, v49, 0, 1
	s_wait_alu 0xfffd
	v_cndmask_b32_e64 v74, 0, -1, vcc_lo
	v_cmp_ne_u16_e32 vcc_lo, 0, v58
	v_lshrrev_b32_e32 v81, 24, v65
	v_bfe_i32 v57, v57, 0, 1
	v_and_b32_e32 v71, 0xffff, v71
	v_lshlrev_b32_e32 v86, 16, v86
	s_wait_alu 0xfffd
	v_cndmask_b32_e64 v58, 0, -1, vcc_lo
	v_cmp_ne_u16_e32 vcc_lo, 0, v76
	v_lshrrev_b16 v82, 8, v66
	v_and_b32_e32 v87, 0xff, v49
	v_or_b32_e32 v71, v71, v86
	v_and_b32_e32 v86, 0xff, v57
	s_wait_alu 0xfffd
	v_cndmask_b32_e64 v76, 0, -1, vcc_lo
	v_cmp_ne_u16_e32 vcc_lo, 0, v77
	v_lshlrev_b16 v72, 8, v72
	v_lshlrev_b16 v73, 8, v73
	v_lshrrev_b32_e32 v59, 18, v50
	v_bfe_i32 v60, v50, 0, 1
	s_wait_alu 0xfffd
	v_cndmask_b32_e64 v77, 0, -1, vcc_lo
	v_cmp_ne_u16_e32 vcc_lo, 0, v78
	v_lshrrev_b32_e32 v50, 22, v50
	v_and_b32_e32 v69, 0x80402010, v52
	v_lshrrev_b16 v61, 4, v61
	v_lshrrev_b32_e32 v66, 24, v66
	s_wait_alu 0xfffd
	v_cndmask_b32_e64 v78, 0, -1, vcc_lo
	v_cmp_ne_u16_e32 vcc_lo, 0, v62
	v_or_b32_e32 v86, v86, v72
	v_or_b32_e32 v87, v87, v73
	v_bfe_i32 v59, v59, 0, 1
	v_bfe_i32 v50, v50, 0, 1
	s_wait_alu 0xfffd
	v_cndmask_b32_e64 v62, 0, -1, vcc_lo
	v_cmp_ne_u16_e32 vcc_lo, 0, v80
	v_lshrrev_b16 v84, 8, v69
	v_bfe_i32 v61, v61, 0, 1
	v_and_b32_e32 v86, 0xffff, v86
	v_lshlrev_b32_e32 v87, 16, v87
	s_wait_alu 0xfffd
	v_cndmask_b32_e64 v80, 0, -1, vcc_lo
	v_cmp_ne_u16_e32 vcc_lo, 0, v81
	v_lshrrev_b32_e32 v63, 18, v51
	v_and_b32_e32 v75, 0xff, v60
	v_lshrrev_b32_e32 v85, 24, v69
	v_and_b32_e32 v88, 0xff, v59
	s_wait_alu 0xfffd
	v_cndmask_b32_e64 v81, 0, -1, vcc_lo
	v_cmp_ne_u16_e32 vcc_lo, 0, v82
	v_and_b32_e32 v89, 0xff, v50
	v_lshlrev_b16 v74, 8, v74
	v_lshlrev_b16 v58, 8, v58
	v_or_b32_e32 v86, v86, v87
	s_wait_alu 0xfffd
	v_cndmask_b32_e64 v82, 0, -1, vcc_lo
	v_cmp_ne_u16_e32 vcc_lo, 0, v66
	v_and_b32_e32 v87, 0xff, v61
	v_lshlrev_b16 v76, 8, v76
	v_lshlrev_b16 v77, 8, v77
	v_bfe_i32 v64, v51, 0, 1
	s_wait_alu 0xfffd
	v_cndmask_b32_e64 v66, 0, -1, vcc_lo
	v_cmp_ne_u16_e32 vcc_lo, 0, v84
	v_lshrrev_b32_e32 v67, 18, v52
	v_bfe_i32 v68, v52, 0, 1
	v_lshrrev_b32_e32 v52, 22, v52
	v_bfe_i32 v63, v63, 0, 1
	v_lshrrev_b16 v69, 4, v69
	s_wait_alu 0xfffd
	v_cndmask_b32_e64 v84, 0, -1, vcc_lo
	v_cmp_ne_u16_e32 vcc_lo, 0, v85
	v_or_b32_e32 v75, v75, v74
	v_or_b32_e32 v88, v88, v58
	;; [unrolled: 1-line block ×4, first 2 shown]
	v_lshrrev_b32_e32 v51, 22, v51
	v_and_b32_e32 v79, 0xff, v64
	v_lshrrev_b16 v65, 4, v65
	v_bfe_i32 v67, v67, 0, 1
	v_bfe_i32 v52, v52, 0, 1
	v_and_b32_e32 v90, 0xff, v63
	v_bfe_i32 v69, v69, 0, 1
	s_wait_alu 0xfffd
	v_cndmask_b32_e64 v85, 0, -1, vcc_lo
	v_lshlrev_b16 v78, 8, v78
	v_lshlrev_b16 v62, 8, v62
	v_and_b32_e32 v75, 0xffff, v75
	v_lshlrev_b32_e32 v88, 16, v88
	v_and_b32_e32 v87, 0xffff, v87
	v_lshlrev_b32_e32 v89, 16, v89
	v_bfe_i32 v51, v51, 0, 1
	v_and_b32_e32 v83, 0xff, v68
	v_bfe_i32 v65, v65, 0, 1
	v_and_b32_e32 v92, 0xff, v67
	v_and_b32_e32 v93, 0xff, v52
	v_or_b32_e32 v75, v75, v88
	v_lshlrev_b16 v82, 8, v82
	v_lshlrev_b16 v66, 8, v66
	v_or_b32_e32 v87, v87, v89
	v_and_b32_e32 v89, 0xff, v69
	v_lshlrev_b16 v84, 8, v84
	v_lshlrev_b16 v85, 8, v85
	v_or_b32_e32 v79, v79, v78
	v_or_b32_e32 v90, v90, v62
	v_and_b32_e32 v91, 0xff, v51
	v_and_b32_e32 v88, 0xff, v65
	v_lshlrev_b16 v80, 8, v80
	v_lshlrev_b16 v81, 8, v81
	v_or_b32_e32 v83, v83, v82
	v_or_b32_e32 v92, v92, v66
	;; [unrolled: 1-line block ×4, first 2 shown]
	v_and_b32_e32 v79, 0xffff, v79
	v_lshlrev_b32_e32 v90, 16, v90
	v_or_b32_e32 v88, v88, v80
	v_or_b32_e32 v91, v91, v81
	v_and_b32_e32 v83, 0xffff, v83
	v_lshlrev_b32_e32 v92, 16, v92
	v_and_b32_e32 v89, 0xffff, v89
	v_lshlrev_b32_e32 v93, 16, v93
	v_or_b32_e32 v79, v79, v90
	v_lshlrev_b16 v56, 8, v56
	v_lshlrev_b16 v60, 8, v60
	v_lshlrev_b16 v55, 8, v55
	v_and_b32_e32 v88, 0xffff, v88
	v_lshlrev_b32_e32 v91, 16, v91
	v_or_b32_e32 v83, v83, v92
	v_or_b32_e32 v89, v89, v93
	v_lshlrev_b16 v49, 8, v49
	v_lshlrev_b16 v57, 8, v57
	v_or_b32_e32 v88, v88, v91
	v_lshlrev_b16 v59, 8, v59
	v_lshlrev_b16 v61, 8, v61
	;; [unrolled: 1-line block ×11, first 2 shown]
	v_add_co_u32 v2, vcc_lo, 0x480, v2
	s_wait_alu 0xfffd
	v_add_co_ci_u32_e64 v3, null, 0, v3, vcc_lo
	s_wait_loadcnt 0x3
	v_xor_b32_e32 v37, v37, v71
	s_wait_loadcnt 0x2
	v_xor_b32_e32 v39, v39, v75
	v_xor_b32_e32 v38, v38, v86
	v_xor_b32_e32 v40, v40, v87
	s_wait_loadcnt 0x1
	v_xor_b32_e32 v41, v41, v79
	v_lshrrev_b32_e32 v71, 16, v37
	v_and_b32_e32 v87, 0xffffff00, v39
	v_and_b32_e32 v75, 0xffffff00, v37
	v_lshlrev_b16 v37, 8, v37
	v_lshrrev_b32_e32 v79, 16, v38
	v_lshrrev_b32_e32 v86, 16, v39
	v_lshlrev_b16 v39, 8, v39
	v_sub_nc_i16 v74, v87, v74 clamp
	v_and_b32_e32 v87, 0xffffff00, v71
	v_lshlrev_b16 v71, 8, v71
	s_wait_loadcnt 0x0
	v_xor_b32_e32 v43, v43, v83
	v_xor_b32_e32 v44, v44, v89
	v_and_b32_e32 v83, 0xffffff00, v38
	v_lshlrev_b16 v38, 8, v38
	v_and_b32_e32 v89, 0xffffff00, v40
	v_sub_nc_i16 v70, v75, v70 clamp
	v_sub_nc_i16 v37, v37, v56 clamp
	;; [unrolled: 1-line block ×3, first 2 shown]
	v_and_b32_e32 v60, 0xffffff00, v79
	v_lshlrev_b16 v79, 8, v79
	v_sub_nc_i16 v54, v87, v54 clamp
	v_sub_nc_i16 v55, v71, v55 clamp
	v_xor_b32_e32 v42, v42, v88
	v_lshrrev_b32_e32 v88, 16, v40
	v_lshlrev_b16 v40, 8, v40
	v_sub_nc_i16 v72, v83, v72 clamp
	v_sub_nc_i16 v38, v38, v57 clamp
	;; [unrolled: 1-line block ×3, first 2 shown]
	v_and_b32_e32 v89, 0xffffff00, v86
	v_lshlrev_b16 v86, 8, v86
	v_perm_b32 v37, v37, v70, 0xc0c0105
	v_sub_nc_i16 v60, v60, v73 clamp
	v_sub_nc_i16 v49, v79, v49 clamp
	v_perm_b32 v54, v55, v54, 0xc0c0105
	v_lshrrev_b32_e32 v90, 16, v41
	v_and_b32_e32 v91, 0xffffff00, v41
	v_lshlrev_b16 v41, 8, v41
	v_sub_nc_i16 v40, v40, v61 clamp
	v_and_b32_e32 v61, 0xffffff00, v88
	v_lshlrev_b16 v88, 8, v88
	v_perm_b32 v38, v38, v72, 0xc0c0105
	v_sub_nc_i16 v58, v89, v58 clamp
	v_sub_nc_i16 v59, v86, v59 clamp
	v_perm_b32 v49, v49, v60, 0xc0c0105
	v_lshl_or_b32 v37, v54, 16, v37
	v_lshrrev_b32_e32 v92, 16, v42
	v_and_b32_e32 v93, 0xffffff00, v42
	v_lshlrev_b16 v42, 8, v42
	v_sub_nc_i16 v41, v41, v64 clamp
	v_and_b32_e32 v64, 0xffffff00, v90
	v_lshlrev_b16 v90, 8, v90
	v_perm_b32 v39, v39, v74, 0xc0c0105
	v_sub_nc_i16 v61, v61, v77 clamp
	v_sub_nc_i16 v50, v88, v50 clamp
	v_perm_b32 v55, v59, v58, 0xc0c0105
	v_lshl_or_b32 v38, v49, 16, v38
	v_dot4_i32_iu8 v14, v37, v14, 0 neg_lo:[1,1,0]
	v_dot4_i32_iu8 v22, v37, v22, 0 neg_lo:[1,1,0]
	;; [unrolled: 1-line block ×3, first 2 shown]
	v_lshrrev_b32_e32 v75, 16, v43
	v_and_b32_e32 v56, 0xffffff00, v43
	v_lshlrev_b16 v43, 8, v43
	v_sub_nc_i16 v78, v91, v78 clamp
	v_sub_nc_i16 v42, v42, v65 clamp
	v_and_b32_e32 v65, 0xffffff00, v92
	v_lshlrev_b16 v91, 8, v92
	v_perm_b32 v40, v40, v76, 0xc0c0105
	v_sub_nc_i16 v62, v64, v62 clamp
	v_sub_nc_i16 v63, v90, v63 clamp
	v_perm_b32 v50, v50, v61, 0xc0c0105
	v_lshl_or_b32 v37, v55, 16, v39
	v_dot4_i32_iu8 v14, v38, v15, v14 neg_lo:[1,1,0]
	v_dot4_i32_iu8 v15, v38, v23, v22 neg_lo:[1,1,0]
	;; [unrolled: 1-line block ×3, first 2 shown]
	v_lshrrev_b32_e32 v83, 16, v44
	v_and_b32_e32 v57, 0xffffff00, v44
	v_lshlrev_b16 v44, 8, v44
	v_sub_nc_i16 v80, v93, v80 clamp
	v_sub_nc_i16 v56, v56, v82 clamp
	v_sub_nc_i16 v43, v43, v68 clamp
	v_and_b32_e32 v68, 0xffffff00, v75
	v_lshlrev_b16 v75, 8, v75
	v_perm_b32 v41, v41, v78, 0xc0c0105
	v_sub_nc_i16 v64, v65, v81 clamp
	v_sub_nc_i16 v51, v91, v51 clamp
	v_perm_b32 v58, v63, v62, 0xc0c0105
	v_lshl_or_b32 v23, v50, 16, v40
	v_dot4_i32_iu8 v14, v37, v16, v14 neg_lo:[1,1,0]
	v_dot4_i32_iu8 v15, v37, v24, v15 neg_lo:[1,1,0]
	;; [unrolled: 1-line block ×3, first 2 shown]
	v_sub_nc_i16 v57, v57, v84 clamp
	v_sub_nc_i16 v44, v44, v69 clamp
	v_and_b32_e32 v69, 0xffffff00, v83
	v_lshlrev_b16 v82, 8, v83
	v_perm_b32 v42, v42, v80, 0xc0c0105
	v_perm_b32 v43, v43, v56, 0xc0c0105
	v_sub_nc_i16 v56, v68, v66 clamp
	v_sub_nc_i16 v65, v75, v67 clamp
	v_perm_b32 v51, v51, v64, 0xc0c0105
	v_lshl_or_b32 v22, v58, 16, v41
	v_dot4_i32_iu8 v14, v23, v17, v14 neg_lo:[1,1,0]
	v_dot4_i32_iu8 v15, v23, v25, v15 neg_lo:[1,1,0]
	;; [unrolled: 1-line block ×3, first 2 shown]
	v_perm_b32 v44, v44, v57, 0xc0c0105
	v_sub_nc_i16 v57, v69, v85 clamp
	v_sub_nc_i16 v52, v82, v52 clamp
	v_perm_b32 v56, v65, v56, 0xc0c0105
	v_lshl_or_b32 v17, v51, 16, v42
	v_dot4_i32_iu8 v14, v22, v18, v14 neg_lo:[1,1,0]
	v_dot4_i32_iu8 v15, v22, v26, v15 neg_lo:[1,1,0]
	;; [unrolled: 1-line block ×3, first 2 shown]
	v_perm_b32 v52, v52, v57, 0xc0c0105
	v_lshl_or_b32 v18, v56, 16, v43
	v_dot4_i32_iu8 v14, v17, v19, v14 neg_lo:[1,1,0]
	v_dot4_i32_iu8 v15, v17, v27, v15 neg_lo:[1,1,0]
	;; [unrolled: 1-line block ×3, first 2 shown]
	v_lshl_or_b32 v17, v52, 16, v44
	v_cvt_f32_f16_e32 v22, v48
	v_dot4_i32_iu8 v14, v18, v20, v14 neg_lo:[1,1,0]
	v_dot4_i32_iu8 v15, v18, v28, v15 neg_lo:[1,1,0]
	;; [unrolled: 1-line block ×3, first 2 shown]
	v_or_b32_e32 v18, 1, v53
	v_dual_mul_f32 v13, v22, v13 :: v_dual_add_nc_u32 v8, 4, v8
	v_dot4_i32_iu8 v14, v17, v45, v14 neg_lo:[1,1,0]
	v_dot4_i32_iu8 v15, v17, v46, v15 neg_lo:[1,1,0]
	;; [unrolled: 1-line block ×3, first 2 shown]
	v_cvt_f32_f16_e32 v17, v21
	v_add_nc_u32_e32 v10, 32, v10
	v_mul_lo_u32 v14, v14, v18
	v_mul_lo_u32 v15, v15, v18
	;; [unrolled: 1-line block ×3, first 2 shown]
	v_cvt_f32_f16_e32 v18, v29
	v_mul_f32_e32 v17, v22, v17
	v_cmp_le_u32_e32 vcc_lo, s22, v8
	v_ashrrev_i32_e32 v19, 31, v14
	v_ashrrev_i32_e32 v20, 31, v15
	;; [unrolled: 1-line block ×3, first 2 shown]
	v_mul_f32_e32 v18, v22, v18
	s_or_b32 s3, vcc_lo, s3
	v_lshrrev_b32_e32 v19, 29, v19
	v_lshrrev_b32_e32 v20, 29, v20
	v_lshrrev_b32_e32 v21, 29, v21
	s_delay_alu instid0(VALU_DEP_3) | instskip(NEXT) | instid1(VALU_DEP_3)
	v_add_nc_u32_e32 v14, v14, v19
	v_add_nc_u32_e32 v15, v15, v20
	s_delay_alu instid0(VALU_DEP_3) | instskip(NEXT) | instid1(VALU_DEP_3)
	v_add_nc_u32_e32 v16, v16, v21
	v_ashrrev_i32_e32 v14, 3, v14
	s_delay_alu instid0(VALU_DEP_3) | instskip(NEXT) | instid1(VALU_DEP_3)
	v_ashrrev_i32_e32 v15, 3, v15
	v_ashrrev_i32_e32 v16, 3, v16
	s_delay_alu instid0(VALU_DEP_3) | instskip(NEXT) | instid1(VALU_DEP_3)
	v_cvt_f32_i32_e32 v14, v14
	v_cvt_f32_i32_e32 v15, v15
	s_delay_alu instid0(VALU_DEP_3) | instskip(NEXT) | instid1(VALU_DEP_3)
	v_cvt_f32_i32_e32 v16, v16
	v_fmac_f32_e32 v9, v13, v14
	s_delay_alu instid0(VALU_DEP_3) | instskip(NEXT) | instid1(VALU_DEP_3)
	v_fmac_f32_e32 v7, v17, v15
	v_fmac_f32_e32 v5, v18, v16
	s_wait_alu 0xfffe
	s_and_not1_b32 exec_lo, exec_lo, s3
	s_cbranch_execnz .LBB162_2
; %bb.3:
	s_or_b32 exec_lo, exec_lo, s3
.LBB162_4:
	s_delay_alu instid0(SALU_CYCLE_1)
	s_or_b32 exec_lo, exec_lo, s21
	s_mov_b32 s3, 0
	; wave barrier
	global_inv scope:SCOPE_SE
	s_mov_b32 s2, exec_lo
	v_cmpx_eq_u32_e32 0, v6
	s_cbranch_execz .LBB162_11
; %bb.5:
	v_mbcnt_lo_u32_b32 v6, -1, 0
	s_load_b64 s[0:1], s[0:1], 0x38
	s_mul_i32 s2, s10, s19
	s_mul_i32 s4, s18, s20
	s_wait_alu 0xfffe
	s_add_co_i32 s2, s2, ttmp9
	v_xor_b32_e32 v0, 16, v6
	v_xor_b32_e32 v1, 8, v6
	;; [unrolled: 1-line block ×3, first 2 shown]
	s_wait_alu 0xfffe
	s_add_co_i32 s2, s2, s4
	s_wait_alu 0xfffe
	s_lshl_b64 s[2:3], s[2:3], 2
	v_cmp_gt_i32_e32 vcc_lo, 32, v0
	s_wait_alu 0xfffd
	v_cndmask_b32_e32 v0, v6, v0, vcc_lo
	v_cmp_gt_i32_e32 vcc_lo, 32, v1
	s_wait_kmcnt 0x0
	s_wait_alu 0xfffe
	s_add_nc_u64 s[0:1], s[0:1], s[2:3]
	s_wait_alu 0xfffd
	v_cndmask_b32_e32 v1, v6, v1, vcc_lo
	s_delay_alu instid0(VALU_DEP_1)
	v_lshlrev_b32_e32 v1, 2, v1
	v_lshlrev_b32_e32 v0, 2, v0
	ds_bpermute_b32 v2, v0, v9
	s_wait_dscnt 0x0
	v_add_f32_e32 v3, v9, v2
	v_xor_b32_e32 v2, 4, v6
	ds_bpermute_b32 v8, v1, v3
	v_cmp_gt_i32_e32 vcc_lo, 32, v2
	s_wait_alu 0xfffd
	v_cndmask_b32_e32 v2, v6, v2, vcc_lo
	s_wait_dscnt 0x0
	v_add_f32_e32 v8, v3, v8
	v_xor_b32_e32 v3, 2, v6
	s_delay_alu instid0(VALU_DEP_1) | instskip(SKIP_3) | instid1(VALU_DEP_2)
	v_cmp_gt_i32_e32 vcc_lo, 32, v3
	s_wait_alu 0xfffd
	v_cndmask_b32_e32 v3, v6, v3, vcc_lo
	v_cmp_gt_i32_e32 vcc_lo, 32, v10
	v_lshlrev_b32_e32 v3, 2, v3
	v_lshlrev_b32_e32 v2, 2, v2
	s_wait_alu 0xfffd
	v_cndmask_b32_e32 v6, v6, v10, vcc_lo
	v_cmp_eq_u32_e32 vcc_lo, 0, v4
	ds_bpermute_b32 v9, v2, v8
	v_lshlrev_b32_e32 v6, 2, v6
	s_wait_dscnt 0x0
	v_add_f32_e32 v8, v8, v9
	ds_bpermute_b32 v9, v3, v8
	s_wait_dscnt 0x0
	v_add_f32_e32 v8, v8, v9
	ds_bpermute_b32 v9, v6, v8
	s_and_saveexec_b32 s2, vcc_lo
	s_cbranch_execz .LBB162_7
; %bb.6:
	s_wait_dscnt 0x0
	v_add_f32_e32 v4, v8, v9
	v_mov_b32_e32 v8, 0
	global_store_b32 v8, v4, s[0:1]
.LBB162_7:
	s_wait_alu 0xfffe
	s_or_b32 exec_lo, exec_lo, s2
	ds_bpermute_b32 v4, v0, v7
	s_wait_dscnt 0x0
	v_add_f32_e32 v4, v7, v4
	ds_bpermute_b32 v7, v1, v4
	s_wait_dscnt 0x0
	v_add_f32_e32 v4, v4, v7
	;; [unrolled: 3-line block ×4, first 2 shown]
	ds_bpermute_b32 v7, v6, v4
	s_and_saveexec_b32 s2, vcc_lo
	s_cbranch_execz .LBB162_9
; %bb.8:
	s_mov_b32 s7, 0
	s_wait_dscnt 0x0
	v_dual_add_f32 v4, v4, v7 :: v_dual_mov_b32 v7, 0
	s_lshl_b64 s[4:5], s[6:7], 2
	s_wait_alu 0xfffe
	s_add_nc_u64 s[4:5], s[0:1], s[4:5]
	global_store_b32 v7, v4, s[4:5]
.LBB162_9:
	s_wait_alu 0xfffe
	s_or_b32 exec_lo, exec_lo, s2
	ds_bpermute_b32 v0, v0, v5
	s_wait_dscnt 0x0
	v_add_f32_e32 v0, v5, v0
	ds_bpermute_b32 v1, v1, v0
	s_wait_dscnt 0x0
	v_add_f32_e32 v0, v0, v1
	;; [unrolled: 3-line block ×4, first 2 shown]
	ds_bpermute_b32 v1, v6, v0
	s_and_b32 exec_lo, exec_lo, vcc_lo
	s_cbranch_execz .LBB162_11
; %bb.10:
	s_lshl_b32 s2, s6, 1
	s_mov_b32 s3, 0
	s_wait_dscnt 0x0
	v_dual_add_f32 v0, v0, v1 :: v_dual_mov_b32 v1, 0
	s_wait_alu 0xfffe
	s_lshl_b64 s[2:3], s[2:3], 2
	s_wait_alu 0xfffe
	s_add_nc_u64 s[0:1], s[0:1], s[2:3]
	global_store_b32 v1, v0, s[0:1]
.LBB162_11:
	s_endpgm
	.section	.rodata,"a",@progbits
	.p2align	6, 0x0
	.amdhsa_kernel _ZL13mul_mat_vec_qIL9ggml_type16ELi3ELb0ELb0EEvPKvS2_PKi31ggml_cuda_mm_fusion_args_devicePfj15HIP_vector_typeIjLj3EEjjjS8_jjjS8_jjjj
		.amdhsa_group_segment_fixed_size 0
		.amdhsa_private_segment_fixed_size 0
		.amdhsa_kernarg_size 144
		.amdhsa_user_sgpr_count 2
		.amdhsa_user_sgpr_dispatch_ptr 0
		.amdhsa_user_sgpr_queue_ptr 0
		.amdhsa_user_sgpr_kernarg_segment_ptr 1
		.amdhsa_user_sgpr_dispatch_id 0
		.amdhsa_user_sgpr_private_segment_size 0
		.amdhsa_wavefront_size32 1
		.amdhsa_uses_dynamic_stack 0
		.amdhsa_enable_private_segment 0
		.amdhsa_system_sgpr_workgroup_id_x 1
		.amdhsa_system_sgpr_workgroup_id_y 1
		.amdhsa_system_sgpr_workgroup_id_z 1
		.amdhsa_system_sgpr_workgroup_info 0
		.amdhsa_system_vgpr_workitem_id 1
		.amdhsa_next_free_vgpr 94
		.amdhsa_next_free_sgpr 28
		.amdhsa_reserve_vcc 1
		.amdhsa_float_round_mode_32 0
		.amdhsa_float_round_mode_16_64 0
		.amdhsa_float_denorm_mode_32 3
		.amdhsa_float_denorm_mode_16_64 3
		.amdhsa_fp16_overflow 0
		.amdhsa_workgroup_processor_mode 1
		.amdhsa_memory_ordered 1
		.amdhsa_forward_progress 1
		.amdhsa_inst_pref_size 31
		.amdhsa_round_robin_scheduling 0
		.amdhsa_exception_fp_ieee_invalid_op 0
		.amdhsa_exception_fp_denorm_src 0
		.amdhsa_exception_fp_ieee_div_zero 0
		.amdhsa_exception_fp_ieee_overflow 0
		.amdhsa_exception_fp_ieee_underflow 0
		.amdhsa_exception_fp_ieee_inexact 0
		.amdhsa_exception_int_div_zero 0
	.end_amdhsa_kernel
	.section	.text._ZL13mul_mat_vec_qIL9ggml_type16ELi3ELb0ELb0EEvPKvS2_PKi31ggml_cuda_mm_fusion_args_devicePfj15HIP_vector_typeIjLj3EEjjjS8_jjjS8_jjjj,"axG",@progbits,_ZL13mul_mat_vec_qIL9ggml_type16ELi3ELb0ELb0EEvPKvS2_PKi31ggml_cuda_mm_fusion_args_devicePfj15HIP_vector_typeIjLj3EEjjjS8_jjjS8_jjjj,comdat
.Lfunc_end162:
	.size	_ZL13mul_mat_vec_qIL9ggml_type16ELi3ELb0ELb0EEvPKvS2_PKi31ggml_cuda_mm_fusion_args_devicePfj15HIP_vector_typeIjLj3EEjjjS8_jjjS8_jjjj, .Lfunc_end162-_ZL13mul_mat_vec_qIL9ggml_type16ELi3ELb0ELb0EEvPKvS2_PKi31ggml_cuda_mm_fusion_args_devicePfj15HIP_vector_typeIjLj3EEjjjS8_jjjS8_jjjj
                                        ; -- End function
	.set _ZL13mul_mat_vec_qIL9ggml_type16ELi3ELb0ELb0EEvPKvS2_PKi31ggml_cuda_mm_fusion_args_devicePfj15HIP_vector_typeIjLj3EEjjjS8_jjjS8_jjjj.num_vgpr, 94
	.set _ZL13mul_mat_vec_qIL9ggml_type16ELi3ELb0ELb0EEvPKvS2_PKi31ggml_cuda_mm_fusion_args_devicePfj15HIP_vector_typeIjLj3EEjjjS8_jjjS8_jjjj.num_agpr, 0
	.set _ZL13mul_mat_vec_qIL9ggml_type16ELi3ELb0ELb0EEvPKvS2_PKi31ggml_cuda_mm_fusion_args_devicePfj15HIP_vector_typeIjLj3EEjjjS8_jjjS8_jjjj.numbered_sgpr, 28
	.set _ZL13mul_mat_vec_qIL9ggml_type16ELi3ELb0ELb0EEvPKvS2_PKi31ggml_cuda_mm_fusion_args_devicePfj15HIP_vector_typeIjLj3EEjjjS8_jjjS8_jjjj.num_named_barrier, 0
	.set _ZL13mul_mat_vec_qIL9ggml_type16ELi3ELb0ELb0EEvPKvS2_PKi31ggml_cuda_mm_fusion_args_devicePfj15HIP_vector_typeIjLj3EEjjjS8_jjjS8_jjjj.private_seg_size, 0
	.set _ZL13mul_mat_vec_qIL9ggml_type16ELi3ELb0ELb0EEvPKvS2_PKi31ggml_cuda_mm_fusion_args_devicePfj15HIP_vector_typeIjLj3EEjjjS8_jjjS8_jjjj.uses_vcc, 1
	.set _ZL13mul_mat_vec_qIL9ggml_type16ELi3ELb0ELb0EEvPKvS2_PKi31ggml_cuda_mm_fusion_args_devicePfj15HIP_vector_typeIjLj3EEjjjS8_jjjS8_jjjj.uses_flat_scratch, 0
	.set _ZL13mul_mat_vec_qIL9ggml_type16ELi3ELb0ELb0EEvPKvS2_PKi31ggml_cuda_mm_fusion_args_devicePfj15HIP_vector_typeIjLj3EEjjjS8_jjjS8_jjjj.has_dyn_sized_stack, 0
	.set _ZL13mul_mat_vec_qIL9ggml_type16ELi3ELb0ELb0EEvPKvS2_PKi31ggml_cuda_mm_fusion_args_devicePfj15HIP_vector_typeIjLj3EEjjjS8_jjjS8_jjjj.has_recursion, 0
	.set _ZL13mul_mat_vec_qIL9ggml_type16ELi3ELb0ELb0EEvPKvS2_PKi31ggml_cuda_mm_fusion_args_devicePfj15HIP_vector_typeIjLj3EEjjjS8_jjjS8_jjjj.has_indirect_call, 0
	.section	.AMDGPU.csdata,"",@progbits
; Kernel info:
; codeLenInByte = 3924
; TotalNumSgprs: 30
; NumVgprs: 94
; ScratchSize: 0
; MemoryBound: 0
; FloatMode: 240
; IeeeMode: 1
; LDSByteSize: 0 bytes/workgroup (compile time only)
; SGPRBlocks: 0
; VGPRBlocks: 11
; NumSGPRsForWavesPerEU: 30
; NumVGPRsForWavesPerEU: 94
; Occupancy: 16
; WaveLimiterHint : 0
; COMPUTE_PGM_RSRC2:SCRATCH_EN: 0
; COMPUTE_PGM_RSRC2:USER_SGPR: 2
; COMPUTE_PGM_RSRC2:TRAP_HANDLER: 0
; COMPUTE_PGM_RSRC2:TGID_X_EN: 1
; COMPUTE_PGM_RSRC2:TGID_Y_EN: 1
; COMPUTE_PGM_RSRC2:TGID_Z_EN: 1
; COMPUTE_PGM_RSRC2:TIDIG_COMP_CNT: 1
	.section	.text._ZL13mul_mat_vec_qIL9ggml_type16ELi4ELb0ELb0EEvPKvS2_PKi31ggml_cuda_mm_fusion_args_devicePfj15HIP_vector_typeIjLj3EEjjjS8_jjjS8_jjjj,"axG",@progbits,_ZL13mul_mat_vec_qIL9ggml_type16ELi4ELb0ELb0EEvPKvS2_PKi31ggml_cuda_mm_fusion_args_devicePfj15HIP_vector_typeIjLj3EEjjjS8_jjjS8_jjjj,comdat
	.globl	_ZL13mul_mat_vec_qIL9ggml_type16ELi4ELb0ELb0EEvPKvS2_PKi31ggml_cuda_mm_fusion_args_devicePfj15HIP_vector_typeIjLj3EEjjjS8_jjjS8_jjjj ; -- Begin function _ZL13mul_mat_vec_qIL9ggml_type16ELi4ELb0ELb0EEvPKvS2_PKi31ggml_cuda_mm_fusion_args_devicePfj15HIP_vector_typeIjLj3EEjjjS8_jjjS8_jjjj
	.p2align	8
	.type	_ZL13mul_mat_vec_qIL9ggml_type16ELi4ELb0ELb0EEvPKvS2_PKi31ggml_cuda_mm_fusion_args_devicePfj15HIP_vector_typeIjLj3EEjjjS8_jjjS8_jjjj,@function
_ZL13mul_mat_vec_qIL9ggml_type16ELi4ELb0ELb0EEvPKvS2_PKi31ggml_cuda_mm_fusion_args_devicePfj15HIP_vector_typeIjLj3EEjjjS8_jjjS8_jjjj: ; @_ZL13mul_mat_vec_qIL9ggml_type16ELi4ELb0ELb0EEvPKvS2_PKi31ggml_cuda_mm_fusion_args_devicePfj15HIP_vector_typeIjLj3EEjjjS8_jjjS8_jjjj
; %bb.0:
	s_clause 0x5
	s_load_b96 s[16:18], s[0:1], 0x80
	s_load_b32 s3, s[0:1], 0x40
	s_load_b128 s[4:7], s[0:1], 0x50
	s_load_b32 s2, s[0:1], 0x60
	s_load_b128 s[8:11], s[0:1], 0x68
	s_load_b32 s23, s[0:1], 0x78
	v_bfe_u32 v8, v0, 10, 10
	v_dual_mov_b32 v6, 0 :: v_dual_and_b32 v5, 0x3ff, v0
	v_mov_b32_e32 v7, 0
	v_mov_b32_e32 v9, 0
	v_mov_b32_e32 v11, 0
	s_delay_alu instid0(VALU_DEP_4) | instskip(SKIP_3) | instid1(VALU_DEP_1)
	v_lshl_or_b32 v0, v8, 5, v5
	s_and_b32 s19, ttmp7, 0xffff
	s_lshr_b32 s20, ttmp7, 16
	s_mov_b32 s21, exec_lo
	v_lshrrev_b32_e32 v10, 3, v0
	s_wait_kmcnt 0x0
	s_lshr_b32 s22, s3, 8
	s_delay_alu instid0(VALU_DEP_1) | instid1(SALU_CYCLE_1)
	v_cmpx_gt_u32_e64 s22, v10
	s_cbranch_execz .LBB163_4
; %bb.1:
	v_lshl_add_u32 v0, v8, 5, v5
	s_mul_hi_u32 s3, s7, s19
	s_mul_i32 s24, s9, s19
	s_add_co_i32 s7, s19, s3
	s_mov_b32 s3, 0
	v_lshrrev_b32_e32 v0, 3, v0
	s_mov_b32 s25, s3
	s_load_b128 s[12:15], s[0:1], 0x0
	s_mul_u64 s[24:25], s[24:25], 36
	s_lshr_b32 s2, s7, s2
	v_mad_co_u64_u32 v[0:1], null, 0x120, v0, s[24:25]
	s_mul_i32 s7, s2, s8
	s_mul_hi_u32 s2, s11, s20
	v_dual_mov_b32 v6, 0 :: v_dual_and_b32 v3, 7, v5
	s_add_co_i32 s8, s20, s2
	s_mul_i32 s2, s17, s20
	v_lshlrev_b32_e32 v2, 1, v5
	v_mad_co_u64_u32 v[0:1], null, s2, 36, v[0:1]
	s_lshr_b32 s11, s8, s23
	s_mul_u64 s[8:9], s[2:3], 36
	v_and_b32_e32 v2, 14, v2
	v_dual_mov_b32 v11, 0 :: v_dual_lshlrev_b32 v4, 3, v10
	s_mul_i32 s4, s4, ttmp9
	v_mad_co_u64_u32 v[13:14], null, v3, 36, v[0:1]
	s_wait_kmcnt 0x0
	s_add_nc_u64 s[8:9], s[14:15], s[8:9]
	v_lshlrev_b32_e32 v7, 1, v2
	s_add_nc_u64 s[8:9], s[8:9], s[24:25]
	v_add_nc_u32_e32 v12, s5, v4
	v_mad_co_u64_u32 v[0:1], null, v3, 36, s[8:9]
	v_mad_co_u64_u32 v[2:3], null, s5, 3, v[4:5]
	v_add_co_u32 v3, vcc_lo, s14, v13
	s_delay_alu instid0(VALU_DEP_1) | instskip(SKIP_1) | instid1(VALU_DEP_3)
	v_add_co_ci_u32_e64 v9, null, s15, v14, vcc_lo
	v_lshl_add_u32 v13, s5, 1, v4
	v_add_co_u32 v3, vcc_lo, v3, 16
	s_wait_alu 0xfffd
	s_delay_alu instid0(VALU_DEP_3)
	v_add_co_ci_u32_e64 v4, null, 0, v9, vcc_lo
	v_dual_mov_b32 v7, 0 :: v_dual_lshlrev_b32 v14, 1, v7
	v_mov_b32_e32 v9, 0
	s_mul_i32 s2, s11, s16
	s_add_co_i32 s7, s7, s4
	s_wait_alu 0xfffe
	s_add_co_i32 s7, s2, s7
.LBB163_2:                              ; =>This Inner Loop Header: Depth=1
	s_delay_alu instid0(SALU_CYCLE_1) | instskip(SKIP_2) | instid1(VALU_DEP_3)
	v_add_nc_u32_e32 v23, s7, v10
	v_mad_co_u64_u32 v[31:32], null, v12, 36, v[0:1]
	v_mad_co_u64_u32 v[35:36], null, v13, 36, v[0:1]
	v_mad_co_i64_i32 v[45:46], null, 0x42, v23, s[12:13]
	v_mad_co_u64_u32 v[43:44], null, v2, 36, v[0:1]
	s_clause 0x1
	global_load_b128 v[15:18], v[3:4], off offset:-16
	global_load_b128 v[19:22], v[3:4], off
	s_clause 0x6
	global_load_b128 v[23:26], v[31:32], off
	global_load_b128 v[27:30], v[31:32], off offset:16
	global_load_b32 v55, v[31:32], off offset:32
	global_load_b128 v[31:34], v[35:36], off
	global_load_b32 v56, v[35:36], off offset:32
	global_load_b128 v[35:38], v[35:36], off offset:16
	global_load_b128 v[39:42], v[43:44], off
	s_getpc_b64 s[4:5]
	s_wait_alu 0xfffe
	s_sext_i32_i16 s5, s5
	s_add_co_u32 s4, s4, _ZL11iq2xxs_grid@rel32@lo+12
	s_wait_alu 0xfffe
	s_add_co_ci_u32 s5, s5, _ZL11iq2xxs_grid@rel32@hi+24
	v_add_nc_u32_e32 v10, 4, v10
	v_add_co_u32 v47, vcc_lo, v45, v14
	s_wait_alu 0xfffd
	v_add_co_ci_u32_e64 v48, null, 0, v46, vcc_lo
	v_add_nc_u32_e32 v12, 32, v12
	v_add_nc_u32_e32 v2, 32, v2
	;; [unrolled: 1-line block ×3, first 2 shown]
	s_clause 0x1
	global_load_b64 v[47:48], v[47:48], off offset:2
	global_load_u16 v57, v[45:46], off
	s_wait_loadcnt 0xa
	v_cvt_f32_f16_e32 v15, v15
	s_wait_loadcnt 0x1
	v_and_b32_e32 v45, 0xff, v47
	v_lshrrev_b32_e32 v46, 5, v47
	v_lshrrev_b32_e32 v49, 13, v47
	;; [unrolled: 1-line block ×3, first 2 shown]
	v_and_b32_e32 v58, 0xff, v48
	v_lshlrev_b32_e32 v45, 3, v45
	v_and_b32_e32 v50, 0x7f8, v46
	v_and_b32_e32 v51, 0x7f8, v49
	;; [unrolled: 1-line block ×3, first 2 shown]
	v_bcnt_u32_b32 v62, v58, 0
	s_clause 0x3
	global_load_b64 v[45:46], v45, s[4:5]
	global_load_b64 v[49:50], v50, s[4:5]
	;; [unrolled: 1-line block ×4, first 2 shown]
	v_bfe_u32 v59, v48, 7, 8
	v_bfe_u32 v60, v48, 14, 8
	;; [unrolled: 1-line block ×3, first 2 shown]
	v_and_b32_e32 v47, 1, v62
	v_lshrrev_b32_e32 v48, 27, v48
	v_bcnt_u32_b32 v63, v59, 0
	v_bcnt_u32_b32 v64, v60, 0
	;; [unrolled: 1-line block ×3, first 2 shown]
	v_lshlrev_b32_e32 v47, 7, v47
	s_delay_alu instid0(VALU_DEP_4) | instskip(NEXT) | instid1(VALU_DEP_4)
	v_and_b32_e32 v62, 1, v63
	v_and_b32_e32 v63, 1, v64
	s_delay_alu instid0(VALU_DEP_4) | instskip(NEXT) | instid1(VALU_DEP_4)
	v_and_b32_e32 v64, 1, v65
	v_xor_b32_e32 v47, v47, v58
	s_delay_alu instid0(VALU_DEP_4) | instskip(NEXT) | instid1(VALU_DEP_4)
	v_lshlrev_b32_e32 v62, 7, v62
	v_lshlrev_b32_e32 v63, 7, v63
	s_delay_alu instid0(VALU_DEP_4) | instskip(NEXT) | instid1(VALU_DEP_4)
	v_lshlrev_b32_e32 v64, 7, v64
	v_mul_lo_u32 v47, 0x1010101, v47
	s_delay_alu instid0(VALU_DEP_4) | instskip(NEXT) | instid1(VALU_DEP_4)
	v_xor_b32_e32 v58, v62, v59
	v_xor_b32_e32 v59, v63, v60
	s_delay_alu instid0(VALU_DEP_4) | instskip(NEXT) | instid1(VALU_DEP_3)
	v_xor_b32_e32 v60, v64, v61
	v_mul_lo_u32 v58, 0x1010101, v58
	v_and_b32_e32 v61, 0x8040201, v47
	v_lshrrev_b32_e32 v62, 18, v47
	v_bfe_i32 v63, v47, 0, 1
	v_and_b32_e32 v64, 0x80402010, v47
	v_lshrrev_b32_e32 v47, 22, v47
	v_lshrrev_b16 v77, 8, v61
	v_lshrrev_b32_e32 v61, 24, v61
	v_bfe_i32 v62, v62, 0, 1
	v_and_b32_e32 v78, 0xff, v63
	v_lshrrev_b16 v79, 8, v64
	v_cmp_ne_u16_e32 vcc_lo, 0, v77
	v_lshrrev_b32_e32 v80, 24, v64
	v_and_b32_e32 v91, 0xff, v62
	v_and_b32_e32 v65, 0x8040201, v58
	v_lshrrev_b16 v64, 4, v64
	s_wait_alu 0xfffd
	v_cndmask_b32_e64 v77, 0, -1, vcc_lo
	v_cmp_ne_u16_e32 vcc_lo, 0, v61
	v_cmp_ne_u16_e64 s2, 0, v80
	v_bfe_i32 v47, v47, 0, 1
	v_lshrrev_b16 v81, 8, v65
	v_lshlrev_b16 v77, 8, v77
	s_wait_alu 0xfffd
	v_cndmask_b32_e64 v61, 0, -1, vcc_lo
	v_cmp_ne_u16_e32 vcc_lo, 0, v79
	v_bfe_i32 v64, v64, 0, 1
	s_wait_alu 0xf1ff
	v_cndmask_b32_e64 v80, 0, -1, s2
	v_or_b32_e32 v78, v78, v77
	v_lshlrev_b16 v61, 8, v61
	s_wait_alu 0xfffd
	v_cndmask_b32_e64 v79, 0, -1, vcc_lo
	v_cmp_ne_u16_e32 vcc_lo, 0, v81
	v_and_b32_e32 v81, 0xff, v47
	v_and_b32_e32 v78, 0xffff, v78
	v_or_b32_e32 v91, v91, v61
	v_lshlrev_b16 v79, 8, v79
	v_lshlrev_b16 v80, 8, v80
	v_lshrrev_b32_e32 v65, 24, v65
	v_lshrrev_b32_e32 v66, 18, v58
	v_lshlrev_b32_e32 v91, 16, v91
	v_bfe_i32 v67, v58, 0, 1
	v_or_b32_e32 v81, v81, v80
	v_and_b32_e32 v68, 0x80402010, v58
	v_bfe_i32 v66, v66, 0, 1
	v_or_b32_e32 v78, v78, v91
	v_and_b32_e32 v91, 0xff, v64
	v_lshlrev_b32_e32 v81, 16, v81
	v_mul_lo_u32 v59, 0x1010101, v59
	v_and_b32_e32 v82, 0xff, v67
	v_lshrrev_b16 v83, 8, v68
	v_or_b32_e32 v91, v91, v79
	v_lshrrev_b32_e32 v84, 24, v68
	v_lshrrev_b32_e32 v58, 22, v58
	v_lshrrev_b16 v68, 4, v68
	v_mul_lo_u32 v60, 0x1010101, v60
	v_and_b32_e32 v91, 0xffff, v91
	v_and_b32_e32 v69, 0x8040201, v59
	v_cmp_ne_u16_e64 s2, 0, v84
	v_bfe_i32 v58, v58, 0, 1
	v_bfe_i32 v68, v68, 0, 1
	v_or_b32_e32 v81, v91, v81
	v_lshrrev_b16 v85, 8, v69
	s_wait_alu 0xf1ff
	v_cndmask_b32_e64 v84, 0, -1, s2
	v_and_b32_e32 v72, 0x80402010, v59
	v_and_b32_e32 v73, 0x8040201, v60
	v_lshrrev_b32_e32 v69, 24, v69
	v_lshrrev_b32_e32 v70, 18, v59
	v_and_b32_e32 v76, 0x80402010, v60
	v_lshrrev_b32_e32 v88, 24, v72
	v_lshrrev_b16 v87, 8, v72
	v_lshrrev_b16 v89, 8, v73
	v_bfe_i32 v71, v59, 0, 1
	v_bfe_i32 v70, v70, 0, 1
	v_cmp_ne_u16_e64 s2, 0, v88
	v_lshrrev_b16 v91, 8, v76
	v_lshrrev_b32_e32 v59, 22, v59
	v_and_b32_e32 v86, 0xff, v71
	v_lshrrev_b16 v72, 4, v72
	v_lshrrev_b32_e32 v73, 24, v73
	v_lshrrev_b32_e32 v74, 18, v60
	v_bfe_i32 v59, v59, 0, 1
	v_bfe_i32 v75, v60, 0, 1
	;; [unrolled: 1-line block ×3, first 2 shown]
	v_lshlrev_b16 v63, 8, v63
	v_bfe_i32 v74, v74, 0, 1
	v_lshlrev_b16 v64, 8, v64
	v_and_b32_e32 v90, 0xff, v75
	v_lshlrev_b16 v67, 8, v67
	v_lshrrev_b32_e32 v60, 22, v60
	v_lshlrev_b16 v71, 8, v71
	v_lshlrev_b16 v75, 8, v75
	;; [unrolled: 1-line block ×4, first 2 shown]
	v_bfe_i32 v60, v60, 0, 1
	s_wait_loadcnt 0x3
	v_xor_b32_e32 v78, v45, v78
	s_wait_alu 0xfffd
	v_cndmask_b32_e64 v45, 0, -1, vcc_lo
	v_cmp_ne_u16_e32 vcc_lo, 0, v65
	v_xor_b32_e32 v81, v46, v81
	v_and_b32_e32 v46, 0xff, v66
	v_lshlrev_b16 v66, 8, v66
	v_lshlrev_b16 v92, 8, v45
	s_wait_alu 0xfffd
	v_cndmask_b32_e64 v65, 0, -1, vcc_lo
	v_cmp_ne_u16_e32 vcc_lo, 0, v83
	s_delay_alu instid0(VALU_DEP_3) | instskip(NEXT) | instid1(VALU_DEP_3)
	v_or_b32_e32 v45, v82, v92
	v_lshlrev_b16 v65, 8, v65
	s_wait_alu 0xfffd
	v_cndmask_b32_e64 v83, 0, -1, vcc_lo
	v_cmp_ne_u16_e32 vcc_lo, 0, v85
	v_and_b32_e32 v85, 0xff, v58
	v_and_b32_e32 v45, 0xffff, v45
	v_or_b32_e32 v46, v46, v65
	v_lshlrev_b16 v82, 8, v83
	v_lshlrev_b16 v83, 8, v84
	;; [unrolled: 1-line block ×3, first 2 shown]
	s_delay_alu instid0(VALU_DEP_4) | instskip(NEXT) | instid1(VALU_DEP_3)
	v_lshlrev_b32_e32 v46, 16, v46
	v_or_b32_e32 v84, v85, v83
	s_delay_alu instid0(VALU_DEP_2) | instskip(SKIP_1) | instid1(VALU_DEP_3)
	v_or_b32_e32 v45, v45, v46
	v_and_b32_e32 v46, 0xff, v68
	v_lshlrev_b32_e32 v84, 16, v84
	v_lshlrev_b16 v68, 8, v68
	s_wait_loadcnt 0x2
	v_xor_b32_e32 v49, v49, v45
	v_or_b32_e32 v46, v46, v82
	s_wait_alu 0xfffd
	v_cndmask_b32_e64 v45, 0, -1, vcc_lo
	v_cmp_ne_u16_e32 vcc_lo, 0, v69
	s_delay_alu instid0(VALU_DEP_3)
	v_and_b32_e32 v46, 0xffff, v46
	s_wait_alu 0xfffd
	v_cndmask_b32_e64 v69, 0, -1, vcc_lo
	v_cmp_ne_u16_e32 vcc_lo, 0, v87
	s_wait_alu 0xf1ff
	v_cndmask_b32_e64 v87, 0, -1, s2
	v_or_b32_e32 v46, v46, v84
	v_cmp_ne_u16_e64 s2, 0, v89
	v_lshlrev_b16 v69, 8, v69
	s_wait_alu 0xfffd
	v_cndmask_b32_e64 v85, 0, -1, vcc_lo
	v_cmp_ne_u16_e32 vcc_lo, 0, v73
	v_xor_b32_e32 v50, v50, v46
	v_and_b32_e32 v46, 0xff, v70
	s_wait_alu 0xf1ff
	v_cndmask_b32_e64 v88, 0, -1, s2
	v_cmp_ne_u16_e64 s2, 0, v91
	v_lshlrev_b16 v91, 8, v45
	v_and_b32_e32 v73, 0xff, v59
	v_or_b32_e32 v46, v46, v69
	v_lshlrev_b16 v85, 8, v85
	v_and_b32_e32 v89, 0xff, v74
	v_or_b32_e32 v45, v86, v91
	v_lshlrev_b16 v86, 8, v87
	v_lshlrev_b32_e32 v46, 16, v46
	v_lshlrev_b16 v87, 8, v88
	v_lshrrev_b32_e32 v84, 24, v76
	v_and_b32_e32 v45, 0xffff, v45
	v_or_b32_e32 v73, v73, v86
	v_lshrrev_b16 v76, 4, v76
	v_or_b32_e32 v88, v90, v87
	v_lshlrev_b16 v70, 8, v70
	v_or_b32_e32 v45, v45, v46
	v_and_b32_e32 v46, 0xff, v72
	v_lshlrev_b32_e32 v73, 16, v73
	v_and_b32_e32 v88, 0xffff, v88
	v_bfe_i32 v76, v76, 0, 1
	s_wait_loadcnt 0x1
	v_xor_b32_e32 v51, v51, v45
	v_or_b32_e32 v46, v46, v85
	s_wait_alu 0xf1ff
	v_cndmask_b32_e64 v45, 0, -1, s2
	v_lshlrev_b16 v72, 8, v72
	v_lshlrev_b16 v59, 8, v59
	v_lshlrev_b16 v74, 8, v74
	v_and_b32_e32 v46, 0xffff, v46
	v_lshlrev_b16 v90, 8, v45
	s_delay_alu instid0(VALU_DEP_2) | instskip(SKIP_3) | instid1(VALU_DEP_3)
	v_or_b32_e32 v46, v46, v73
	s_wait_alu 0xfffd
	v_cndmask_b32_e64 v73, 0, -1, vcc_lo
	v_cmp_ne_u16_e32 vcc_lo, 0, v84
	v_xor_b32_e32 v52, v52, v46
	s_delay_alu instid0(VALU_DEP_3)
	v_lshlrev_b16 v73, 8, v73
	s_wait_alu 0xfffd
	v_cndmask_b32_e64 v84, 0, -1, vcc_lo
	v_and_b32_e32 v46, 0xff, v60
	v_lshlrev_b16 v60, 8, v60
	v_or_b32_e32 v89, v89, v73
	s_delay_alu instid0(VALU_DEP_4) | instskip(NEXT) | instid1(VALU_DEP_2)
	v_lshlrev_b16 v84, 8, v84
	v_lshlrev_b32_e32 v89, 16, v89
	s_delay_alu instid0(VALU_DEP_2) | instskip(NEXT) | instid1(VALU_DEP_2)
	v_or_b32_e32 v46, v46, v84
	v_or_b32_e32 v88, v88, v89
	v_and_b32_e32 v89, 0xff, v76
	s_delay_alu instid0(VALU_DEP_3)
	v_lshlrev_b32_e32 v46, 16, v46
	v_lshlrev_b16 v76, 8, v76
	s_wait_loadcnt 0x0
	v_xor_b32_e32 v53, v53, v88
	v_and_b32_e32 v88, 0xffffff00, v78
	v_or_b32_e32 v45, v89, v90
	global_load_b32 v89, v[43:44], off offset:32
	v_sub_nc_i16 v77, v88, v77 clamp
	v_lshlrev_b16 v88, 8, v78
	v_and_b32_e32 v45, 0xffff, v45
	v_lshrrev_b32_e32 v78, 16, v78
	s_delay_alu instid0(VALU_DEP_3) | instskip(SKIP_1) | instid1(VALU_DEP_4)
	v_sub_nc_i16 v63, v88, v63 clamp
	v_and_b32_e32 v88, 0xffffff00, v81
	v_or_b32_e32 v45, v45, v46
	s_delay_alu instid0(VALU_DEP_3) | instskip(NEXT) | instid1(VALU_DEP_3)
	v_perm_b32 v63, v63, v77, 0xc0c0105
	v_sub_nc_i16 v79, v88, v79 clamp
	v_lshlrev_b16 v88, 8, v81
	s_delay_alu instid0(VALU_DEP_4)
	v_xor_b32_e32 v54, v54, v45
	global_load_b128 v[43:46], v[43:44], off offset:16
	v_and_b32_e32 v77, 0xffffff00, v78
	v_lshlrev_b16 v78, 8, v78
	v_sub_nc_i16 v64, v88, v64 clamp
	v_and_b32_e32 v88, 0xffffff00, v49
	v_lshrrev_b32_e32 v81, 16, v81
	v_sub_nc_i16 v61, v77, v61 clamp
	v_sub_nc_i16 v62, v78, v62 clamp
	v_perm_b32 v64, v64, v79, 0xc0c0105
	v_sub_nc_i16 v88, v88, v92 clamp
	v_lshlrev_b16 v92, 8, v49
	v_lshrrev_b32_e32 v49, 16, v49
	v_and_b32_e32 v77, 0xffffff00, v81
	v_lshlrev_b16 v81, 8, v81
	s_delay_alu instid0(VALU_DEP_4)
	v_sub_nc_i16 v67, v92, v67 clamp
	v_and_b32_e32 v92, 0xffffff00, v50
	v_and_b32_e32 v78, 0xffffff00, v49
	v_lshlrev_b16 v49, 8, v49
	v_sub_nc_i16 v77, v77, v80 clamp
	v_sub_nc_i16 v47, v81, v47 clamp
	v_sub_nc_i16 v82, v92, v82 clamp
	v_lshlrev_b16 v92, 8, v50
	v_sub_nc_i16 v65, v78, v65 clamp
	v_lshrrev_b32_e32 v50, 16, v50
	v_sub_nc_i16 v49, v49, v66 clamp
	v_perm_b32 v47, v47, v77, 0xc0c0105
	v_sub_nc_i16 v68, v92, v68 clamp
	v_and_b32_e32 v92, 0xffffff00, v51
	v_and_b32_e32 v79, 0xffffff00, v50
	v_lshlrev_b16 v50, 8, v50
	v_perm_b32 v67, v67, v88, 0xc0c0105
	v_perm_b32 v66, v68, v82, 0xc0c0105
	v_sub_nc_i16 v91, v92, v91 clamp
	v_lshlrev_b16 v92, 8, v51
	v_lshrrev_b32_e32 v51, 16, v51
	v_sub_nc_i16 v68, v79, v83 clamp
	v_sub_nc_i16 v50, v50, v58 clamp
	v_perm_b32 v49, v49, v65, 0xc0c0105
	v_sub_nc_i16 v71, v92, v71 clamp
	v_and_b32_e32 v92, 0xffffff00, v52
	v_and_b32_e32 v80, 0xffffff00, v51
	v_lshlrev_b16 v51, 8, v51
	v_lshl_or_b32 v47, v47, 16, v64
	v_perm_b32 v50, v50, v68, 0xc0c0105
	v_sub_nc_i16 v85, v92, v85 clamp
	v_lshlrev_b16 v92, 8, v52
	v_lshrrev_b32_e32 v52, 16, v52
	v_sub_nc_i16 v69, v80, v69 clamp
	v_sub_nc_i16 v51, v51, v70 clamp
	v_lshl_or_b32 v49, v49, 16, v67
	v_sub_nc_i16 v72, v92, v72 clamp
	v_and_b32_e32 v92, 0xffffff00, v53
	v_and_b32_e32 v81, 0xffffff00, v52
	v_lshlrev_b16 v52, 8, v52
	v_perm_b32 v58, v71, v91, 0xc0c0105
	v_perm_b32 v51, v51, v69, 0xc0c0105
	v_sub_nc_i16 v87, v92, v87 clamp
	v_lshlrev_b16 v92, 8, v53
	v_lshrrev_b32_e32 v53, 16, v53
	v_sub_nc_i16 v71, v81, v86 clamp
	v_sub_nc_i16 v52, v52, v59 clamp
	v_perm_b32 v70, v72, v85, 0xc0c0105
	v_sub_nc_i16 v75, v92, v75 clamp
	v_and_b32_e32 v92, 0xffffff00, v54
	v_and_b32_e32 v88, 0xffffff00, v53
	v_lshlrev_b16 v53, 8, v53
	v_perm_b32 v52, v52, v71, 0xc0c0105
	v_perm_b32 v59, v75, v87, 0xc0c0105
	v_sub_nc_i16 v90, v92, v90 clamp
	v_lshlrev_b16 v92, 8, v54
	v_lshrrev_b32_e32 v54, 16, v54
	v_sub_nc_i16 v72, v88, v73 clamp
	v_sub_nc_i16 v53, v53, v74 clamp
	s_delay_alu instid0(VALU_DEP_4)
	v_sub_nc_i16 v76, v92, v76 clamp
	global_load_b32 v92, v[3:4], off offset:16
	v_and_b32_e32 v78, 0xffffff00, v54
	v_lshlrev_b16 v54, 8, v54
	v_perm_b32 v53, v53, v72, 0xc0c0105
	v_perm_b32 v73, v76, v90, 0xc0c0105
	v_add_co_u32 v3, vcc_lo, 0x480, v3
	s_delay_alu instid0(VALU_DEP_4)
	v_sub_nc_i16 v54, v54, v60 clamp
	v_perm_b32 v60, v62, v61, 0xc0c0105
	v_sub_nc_i16 v74, v78, v84 clamp
	s_wait_alu 0xfffd
	v_add_co_ci_u32_e64 v4, null, 0, v4, vcc_lo
	v_cmp_le_u32_e32 vcc_lo, s22, v10
	v_lshl_or_b32 v60, v60, 16, v63
	v_perm_b32 v54, v54, v74, 0xc0c0105
	s_or_b32 s3, vcc_lo, s3
	s_delay_alu instid0(VALU_DEP_2) | instskip(SKIP_3) | instid1(VALU_DEP_4)
	v_dot4_i32_iu8 v16, v60, v16, 0 neg_lo:[1,1,0]
	v_dot4_i32_iu8 v24, v60, v24, 0 neg_lo:[1,1,0]
	;; [unrolled: 1-line block ×5, first 2 shown]
	s_delay_alu instid0(VALU_DEP_4) | instskip(NEXT) | instid1(VALU_DEP_4)
	v_dot4_i32_iu8 v17, v47, v25, v24 neg_lo:[1,1,0]
	v_dot4_i32_iu8 v24, v47, v33, v32 neg_lo:[1,1,0]
	s_delay_alu instid0(VALU_DEP_4)
	v_dot4_i32_iu8 v25, v47, v41, v40 neg_lo:[1,1,0]
	v_lshl_or_b32 v32, v50, 16, v66
	v_dot4_i32_iu8 v16, v49, v18, v16 neg_lo:[1,1,0]
	v_dot4_i32_iu8 v17, v49, v26, v17 neg_lo:[1,1,0]
	;; [unrolled: 1-line block ×4, first 2 shown]
	v_lshl_or_b32 v25, v51, 16, v58
	v_dot4_i32_iu8 v16, v32, v19, v16 neg_lo:[1,1,0]
	v_dot4_i32_iu8 v17, v32, v27, v17 neg_lo:[1,1,0]
	;; [unrolled: 1-line block ×3, first 2 shown]
	s_delay_alu instid0(VALU_DEP_3) | instskip(NEXT) | instid1(VALU_DEP_3)
	v_dot4_i32_iu8 v16, v25, v20, v16 neg_lo:[1,1,0]
	v_dot4_i32_iu8 v17, v25, v28, v17 neg_lo:[1,1,0]
	s_delay_alu instid0(VALU_DEP_3) | instskip(SKIP_4) | instid1(VALU_DEP_2)
	v_dot4_i32_iu8 v18, v25, v36, v18 neg_lo:[1,1,0]
	v_lshl_or_b32 v20, v53, 16, v59
	s_wait_loadcnt 0x1
	v_dot4_i32_iu8 v19, v32, v43, v24 neg_lo:[1,1,0]
	v_lshl_or_b32 v24, v52, 16, v70
	v_dot4_i32_iu8 v19, v25, v44, v19 neg_lo:[1,1,0]
	s_delay_alu instid0(VALU_DEP_2)
	v_dot4_i32_iu8 v16, v24, v21, v16 neg_lo:[1,1,0]
	v_dot4_i32_iu8 v17, v24, v29, v17 neg_lo:[1,1,0]
	;; [unrolled: 1-line block ×3, first 2 shown]
	v_lshl_or_b32 v21, v54, 16, v73
	v_dot4_i32_iu8 v19, v24, v45, v19 neg_lo:[1,1,0]
	v_dot4_i32_iu8 v16, v20, v22, v16 neg_lo:[1,1,0]
	;; [unrolled: 1-line block ×4, first 2 shown]
	v_cvt_f32_f16_e32 v22, v39
	v_dot4_i32_iu8 v19, v20, v46, v19 neg_lo:[1,1,0]
	v_or_b32_e32 v20, 1, v48
	v_dot4_i32_iu8 v17, v21, v55, v17 neg_lo:[1,1,0]
	v_dot4_i32_iu8 v18, v21, v56, v18 neg_lo:[1,1,0]
	s_delay_alu instid0(VALU_DEP_4) | instskip(NEXT) | instid1(VALU_DEP_3)
	v_dot4_i32_iu8 v19, v21, v89, v19 neg_lo:[1,1,0]
	v_mul_lo_u32 v17, v17, v20
	s_delay_alu instid0(VALU_DEP_3) | instskip(NEXT) | instid1(VALU_DEP_3)
	v_mul_lo_u32 v18, v18, v20
	v_mul_lo_u32 v19, v19, v20
	s_delay_alu instid0(VALU_DEP_3) | instskip(NEXT) | instid1(VALU_DEP_3)
	v_ashrrev_i32_e32 v25, 31, v17
	v_ashrrev_i32_e32 v26, 31, v18
	s_delay_alu instid0(VALU_DEP_3) | instskip(NEXT) | instid1(VALU_DEP_3)
	v_ashrrev_i32_e32 v27, 31, v19
	v_lshrrev_b32_e32 v25, 29, v25
	s_delay_alu instid0(VALU_DEP_3) | instskip(NEXT) | instid1(VALU_DEP_3)
	v_lshrrev_b32_e32 v26, 29, v26
	v_lshrrev_b32_e32 v27, 29, v27
	s_delay_alu instid0(VALU_DEP_3) | instskip(NEXT) | instid1(VALU_DEP_3)
	v_add_nc_u32_e32 v17, v17, v25
	v_add_nc_u32_e32 v18, v18, v26
	s_delay_alu instid0(VALU_DEP_3) | instskip(NEXT) | instid1(VALU_DEP_3)
	v_add_nc_u32_e32 v19, v19, v27
	v_ashrrev_i32_e32 v17, 3, v17
	s_delay_alu instid0(VALU_DEP_3) | instskip(NEXT) | instid1(VALU_DEP_3)
	v_ashrrev_i32_e32 v18, 3, v18
	v_ashrrev_i32_e32 v19, 3, v19
	s_delay_alu instid0(VALU_DEP_3) | instskip(NEXT) | instid1(VALU_DEP_3)
	v_cvt_f32_i32_e32 v17, v17
	v_cvt_f32_i32_e32 v18, v18
	s_delay_alu instid0(VALU_DEP_3) | instskip(SKIP_3) | instid1(VALU_DEP_2)
	v_cvt_f32_i32_e32 v19, v19
	s_wait_loadcnt 0x0
	v_dot4_i32_iu8 v16, v21, v92, v16 neg_lo:[1,1,0]
	v_cvt_f32_f16_e32 v21, v31
	v_mul_lo_u32 v16, v16, v20
	v_cvt_f32_f16_e32 v20, v23
	v_cvt_f32_f16_e32 v23, v57
	s_delay_alu instid0(VALU_DEP_1) | instskip(NEXT) | instid1(VALU_DEP_4)
	v_mul_f32_e32 v15, v23, v15
	v_ashrrev_i32_e32 v24, 31, v16
	s_delay_alu instid0(VALU_DEP_4) | instskip(SKIP_2) | instid1(VALU_DEP_4)
	v_mul_f32_e32 v20, v23, v20
	v_mul_f32_e32 v21, v23, v21
	;; [unrolled: 1-line block ×3, first 2 shown]
	v_lshrrev_b32_e32 v24, 29, v24
	s_delay_alu instid0(VALU_DEP_4) | instskip(NEXT) | instid1(VALU_DEP_3)
	v_fmac_f32_e32 v9, v20, v17
	v_dual_fmac_f32 v7, v21, v18 :: v_dual_fmac_f32 v6, v22, v19
	s_delay_alu instid0(VALU_DEP_3) | instskip(NEXT) | instid1(VALU_DEP_1)
	v_add_nc_u32_e32 v16, v16, v24
	v_ashrrev_i32_e32 v16, 3, v16
	s_delay_alu instid0(VALU_DEP_1) | instskip(NEXT) | instid1(VALU_DEP_1)
	v_cvt_f32_i32_e32 v16, v16
	v_fmac_f32_e32 v11, v15, v16
	s_wait_alu 0xfffe
	s_and_not1_b32 exec_lo, exec_lo, s3
	s_cbranch_execnz .LBB163_2
; %bb.3:
	s_or_b32 exec_lo, exec_lo, s3
.LBB163_4:
	s_delay_alu instid0(SALU_CYCLE_1)
	s_or_b32 exec_lo, exec_lo, s21
	s_mov_b32 s3, 0
	; wave barrier
	global_inv scope:SCOPE_SE
	s_mov_b32 s2, exec_lo
	v_cmpx_eq_u32_e32 0, v8
	s_cbranch_execz .LBB163_13
; %bb.5:
	v_mbcnt_lo_u32_b32 v4, -1, 0
	s_load_b64 s[0:1], s[0:1], 0x38
	s_mul_i32 s2, s10, s19
	s_mul_i32 s4, s18, s20
	s_wait_alu 0xfffe
	s_add_co_i32 s2, s2, ttmp9
	v_xor_b32_e32 v0, 16, v4
	v_xor_b32_e32 v1, 8, v4
	s_wait_alu 0xfffe
	s_add_co_i32 s2, s2, s4
	s_wait_alu 0xfffe
	s_lshl_b64 s[2:3], s[2:3], 2
	v_cmp_gt_i32_e32 vcc_lo, 32, v0
	s_wait_alu 0xfffd
	v_cndmask_b32_e32 v0, v4, v0, vcc_lo
	v_cmp_gt_i32_e32 vcc_lo, 32, v1
	s_wait_alu 0xfffd
	v_cndmask_b32_e32 v1, v4, v1, vcc_lo
	s_wait_kmcnt 0x0
	s_wait_alu 0xfffe
	s_add_nc_u64 s[0:1], s[0:1], s[2:3]
	s_delay_alu instid0(VALU_DEP_1)
	v_lshlrev_b32_e32 v1, 2, v1
	v_lshlrev_b32_e32 v0, 2, v0
	ds_bpermute_b32 v2, v0, v11
	s_wait_dscnt 0x0
	v_add_f32_e32 v3, v11, v2
	v_xor_b32_e32 v2, 4, v4
	v_xor_b32_e32 v11, 1, v4
	ds_bpermute_b32 v8, v1, v3
	v_cmp_gt_i32_e32 vcc_lo, 32, v2
	s_wait_alu 0xfffd
	v_cndmask_b32_e32 v2, v4, v2, vcc_lo
	s_wait_dscnt 0x0
	v_add_f32_e32 v8, v3, v8
	v_xor_b32_e32 v3, 2, v4
	s_delay_alu instid0(VALU_DEP_1) | instskip(SKIP_3) | instid1(VALU_DEP_2)
	v_cmp_gt_i32_e32 vcc_lo, 32, v3
	s_wait_alu 0xfffd
	v_cndmask_b32_e32 v3, v4, v3, vcc_lo
	v_cmp_gt_i32_e32 vcc_lo, 32, v11
	v_lshlrev_b32_e32 v3, 2, v3
	v_lshlrev_b32_e32 v2, 2, v2
	s_wait_alu 0xfffd
	v_cndmask_b32_e32 v4, v4, v11, vcc_lo
	v_cmp_eq_u32_e32 vcc_lo, 0, v5
	ds_bpermute_b32 v10, v2, v8
	v_lshlrev_b32_e32 v4, 2, v4
	s_wait_dscnt 0x0
	v_add_f32_e32 v8, v8, v10
	ds_bpermute_b32 v10, v3, v8
	s_wait_dscnt 0x0
	v_add_f32_e32 v8, v8, v10
	ds_bpermute_b32 v10, v4, v8
	s_and_saveexec_b32 s2, vcc_lo
	s_cbranch_execz .LBB163_7
; %bb.6:
	s_wait_dscnt 0x0
	v_dual_add_f32 v5, v8, v10 :: v_dual_mov_b32 v8, 0
	global_store_b32 v8, v5, s[0:1]
.LBB163_7:
	s_wait_alu 0xfffe
	s_or_b32 exec_lo, exec_lo, s2
	ds_bpermute_b32 v5, v0, v9
	s_wait_dscnt 0x0
	v_add_f32_e32 v5, v9, v5
	ds_bpermute_b32 v8, v1, v5
	s_wait_dscnt 0x0
	v_add_f32_e32 v5, v5, v8
	;; [unrolled: 3-line block ×4, first 2 shown]
	ds_bpermute_b32 v8, v4, v5
	s_and_saveexec_b32 s2, vcc_lo
	s_cbranch_execz .LBB163_9
; %bb.8:
	s_mov_b32 s7, 0
	s_wait_dscnt 0x0
	v_dual_add_f32 v5, v5, v8 :: v_dual_mov_b32 v8, 0
	s_wait_alu 0xfffe
	s_lshl_b64 s[4:5], s[6:7], 2
	s_wait_alu 0xfffe
	s_add_nc_u64 s[4:5], s[0:1], s[4:5]
	global_store_b32 v8, v5, s[4:5]
.LBB163_9:
	s_wait_alu 0xfffe
	s_or_b32 exec_lo, exec_lo, s2
	ds_bpermute_b32 v5, v0, v7
	s_wait_dscnt 0x0
	v_add_f32_e32 v5, v7, v5
	ds_bpermute_b32 v7, v1, v5
	s_wait_dscnt 0x0
	v_add_f32_e32 v5, v5, v7
	;; [unrolled: 3-line block ×4, first 2 shown]
	ds_bpermute_b32 v7, v4, v5
	s_and_saveexec_b32 s2, vcc_lo
	s_cbranch_execz .LBB163_11
; %bb.10:
	s_lshl_b32 s4, s6, 1
	s_mov_b32 s5, 0
	s_wait_dscnt 0x0
	v_add_f32_e32 v5, v5, v7
	v_mov_b32_e32 v7, 0
	s_wait_alu 0xfffe
	s_lshl_b64 s[4:5], s[4:5], 2
	s_wait_alu 0xfffe
	s_add_nc_u64 s[4:5], s[0:1], s[4:5]
	global_store_b32 v7, v5, s[4:5]
.LBB163_11:
	s_wait_alu 0xfffe
	s_or_b32 exec_lo, exec_lo, s2
	ds_bpermute_b32 v0, v0, v6
	s_wait_dscnt 0x0
	v_add_f32_e32 v0, v6, v0
	ds_bpermute_b32 v1, v1, v0
	s_wait_dscnt 0x0
	v_add_f32_e32 v0, v0, v1
	;; [unrolled: 3-line block ×4, first 2 shown]
	ds_bpermute_b32 v1, v4, v0
	s_and_b32 exec_lo, exec_lo, vcc_lo
	s_cbranch_execz .LBB163_13
; %bb.12:
	s_mul_i32 s2, s6, 3
	s_mov_b32 s3, 0
	s_wait_dscnt 0x0
	v_dual_add_f32 v0, v0, v1 :: v_dual_mov_b32 v1, 0
	s_wait_alu 0xfffe
	s_lshl_b64 s[2:3], s[2:3], 2
	s_wait_alu 0xfffe
	s_add_nc_u64 s[0:1], s[0:1], s[2:3]
	global_store_b32 v1, v0, s[0:1]
.LBB163_13:
	s_endpgm
	.section	.rodata,"a",@progbits
	.p2align	6, 0x0
	.amdhsa_kernel _ZL13mul_mat_vec_qIL9ggml_type16ELi4ELb0ELb0EEvPKvS2_PKi31ggml_cuda_mm_fusion_args_devicePfj15HIP_vector_typeIjLj3EEjjjS8_jjjS8_jjjj
		.amdhsa_group_segment_fixed_size 0
		.amdhsa_private_segment_fixed_size 0
		.amdhsa_kernarg_size 144
		.amdhsa_user_sgpr_count 2
		.amdhsa_user_sgpr_dispatch_ptr 0
		.amdhsa_user_sgpr_queue_ptr 0
		.amdhsa_user_sgpr_kernarg_segment_ptr 1
		.amdhsa_user_sgpr_dispatch_id 0
		.amdhsa_user_sgpr_private_segment_size 0
		.amdhsa_wavefront_size32 1
		.amdhsa_uses_dynamic_stack 0
		.amdhsa_enable_private_segment 0
		.amdhsa_system_sgpr_workgroup_id_x 1
		.amdhsa_system_sgpr_workgroup_id_y 1
		.amdhsa_system_sgpr_workgroup_id_z 1
		.amdhsa_system_sgpr_workgroup_info 0
		.amdhsa_system_vgpr_workitem_id 1
		.amdhsa_next_free_vgpr 93
		.amdhsa_next_free_sgpr 26
		.amdhsa_reserve_vcc 1
		.amdhsa_float_round_mode_32 0
		.amdhsa_float_round_mode_16_64 0
		.amdhsa_float_denorm_mode_32 3
		.amdhsa_float_denorm_mode_16_64 3
		.amdhsa_fp16_overflow 0
		.amdhsa_workgroup_processor_mode 1
		.amdhsa_memory_ordered 1
		.amdhsa_forward_progress 1
		.amdhsa_inst_pref_size 35
		.amdhsa_round_robin_scheduling 0
		.amdhsa_exception_fp_ieee_invalid_op 0
		.amdhsa_exception_fp_denorm_src 0
		.amdhsa_exception_fp_ieee_div_zero 0
		.amdhsa_exception_fp_ieee_overflow 0
		.amdhsa_exception_fp_ieee_underflow 0
		.amdhsa_exception_fp_ieee_inexact 0
		.amdhsa_exception_int_div_zero 0
	.end_amdhsa_kernel
	.section	.text._ZL13mul_mat_vec_qIL9ggml_type16ELi4ELb0ELb0EEvPKvS2_PKi31ggml_cuda_mm_fusion_args_devicePfj15HIP_vector_typeIjLj3EEjjjS8_jjjS8_jjjj,"axG",@progbits,_ZL13mul_mat_vec_qIL9ggml_type16ELi4ELb0ELb0EEvPKvS2_PKi31ggml_cuda_mm_fusion_args_devicePfj15HIP_vector_typeIjLj3EEjjjS8_jjjS8_jjjj,comdat
.Lfunc_end163:
	.size	_ZL13mul_mat_vec_qIL9ggml_type16ELi4ELb0ELb0EEvPKvS2_PKi31ggml_cuda_mm_fusion_args_devicePfj15HIP_vector_typeIjLj3EEjjjS8_jjjS8_jjjj, .Lfunc_end163-_ZL13mul_mat_vec_qIL9ggml_type16ELi4ELb0ELb0EEvPKvS2_PKi31ggml_cuda_mm_fusion_args_devicePfj15HIP_vector_typeIjLj3EEjjjS8_jjjS8_jjjj
                                        ; -- End function
	.set _ZL13mul_mat_vec_qIL9ggml_type16ELi4ELb0ELb0EEvPKvS2_PKi31ggml_cuda_mm_fusion_args_devicePfj15HIP_vector_typeIjLj3EEjjjS8_jjjS8_jjjj.num_vgpr, 93
	.set _ZL13mul_mat_vec_qIL9ggml_type16ELi4ELb0ELb0EEvPKvS2_PKi31ggml_cuda_mm_fusion_args_devicePfj15HIP_vector_typeIjLj3EEjjjS8_jjjS8_jjjj.num_agpr, 0
	.set _ZL13mul_mat_vec_qIL9ggml_type16ELi4ELb0ELb0EEvPKvS2_PKi31ggml_cuda_mm_fusion_args_devicePfj15HIP_vector_typeIjLj3EEjjjS8_jjjS8_jjjj.numbered_sgpr, 26
	.set _ZL13mul_mat_vec_qIL9ggml_type16ELi4ELb0ELb0EEvPKvS2_PKi31ggml_cuda_mm_fusion_args_devicePfj15HIP_vector_typeIjLj3EEjjjS8_jjjS8_jjjj.num_named_barrier, 0
	.set _ZL13mul_mat_vec_qIL9ggml_type16ELi4ELb0ELb0EEvPKvS2_PKi31ggml_cuda_mm_fusion_args_devicePfj15HIP_vector_typeIjLj3EEjjjS8_jjjS8_jjjj.private_seg_size, 0
	.set _ZL13mul_mat_vec_qIL9ggml_type16ELi4ELb0ELb0EEvPKvS2_PKi31ggml_cuda_mm_fusion_args_devicePfj15HIP_vector_typeIjLj3EEjjjS8_jjjS8_jjjj.uses_vcc, 1
	.set _ZL13mul_mat_vec_qIL9ggml_type16ELi4ELb0ELb0EEvPKvS2_PKi31ggml_cuda_mm_fusion_args_devicePfj15HIP_vector_typeIjLj3EEjjjS8_jjjS8_jjjj.uses_flat_scratch, 0
	.set _ZL13mul_mat_vec_qIL9ggml_type16ELi4ELb0ELb0EEvPKvS2_PKi31ggml_cuda_mm_fusion_args_devicePfj15HIP_vector_typeIjLj3EEjjjS8_jjjS8_jjjj.has_dyn_sized_stack, 0
	.set _ZL13mul_mat_vec_qIL9ggml_type16ELi4ELb0ELb0EEvPKvS2_PKi31ggml_cuda_mm_fusion_args_devicePfj15HIP_vector_typeIjLj3EEjjjS8_jjjS8_jjjj.has_recursion, 0
	.set _ZL13mul_mat_vec_qIL9ggml_type16ELi4ELb0ELb0EEvPKvS2_PKi31ggml_cuda_mm_fusion_args_devicePfj15HIP_vector_typeIjLj3EEjjjS8_jjjS8_jjjj.has_indirect_call, 0
	.section	.AMDGPU.csdata,"",@progbits
; Kernel info:
; codeLenInByte = 4368
; TotalNumSgprs: 28
; NumVgprs: 93
; ScratchSize: 0
; MemoryBound: 0
; FloatMode: 240
; IeeeMode: 1
; LDSByteSize: 0 bytes/workgroup (compile time only)
; SGPRBlocks: 0
; VGPRBlocks: 11
; NumSGPRsForWavesPerEU: 28
; NumVGPRsForWavesPerEU: 93
; Occupancy: 16
; WaveLimiterHint : 0
; COMPUTE_PGM_RSRC2:SCRATCH_EN: 0
; COMPUTE_PGM_RSRC2:USER_SGPR: 2
; COMPUTE_PGM_RSRC2:TRAP_HANDLER: 0
; COMPUTE_PGM_RSRC2:TGID_X_EN: 1
; COMPUTE_PGM_RSRC2:TGID_Y_EN: 1
; COMPUTE_PGM_RSRC2:TGID_Z_EN: 1
; COMPUTE_PGM_RSRC2:TIDIG_COMP_CNT: 1
	.section	.text._ZL13mul_mat_vec_qIL9ggml_type16ELi5ELb0ELb0EEvPKvS2_PKi31ggml_cuda_mm_fusion_args_devicePfj15HIP_vector_typeIjLj3EEjjjS8_jjjS8_jjjj,"axG",@progbits,_ZL13mul_mat_vec_qIL9ggml_type16ELi5ELb0ELb0EEvPKvS2_PKi31ggml_cuda_mm_fusion_args_devicePfj15HIP_vector_typeIjLj3EEjjjS8_jjjS8_jjjj,comdat
	.globl	_ZL13mul_mat_vec_qIL9ggml_type16ELi5ELb0ELb0EEvPKvS2_PKi31ggml_cuda_mm_fusion_args_devicePfj15HIP_vector_typeIjLj3EEjjjS8_jjjS8_jjjj ; -- Begin function _ZL13mul_mat_vec_qIL9ggml_type16ELi5ELb0ELb0EEvPKvS2_PKi31ggml_cuda_mm_fusion_args_devicePfj15HIP_vector_typeIjLj3EEjjjS8_jjjS8_jjjj
	.p2align	8
	.type	_ZL13mul_mat_vec_qIL9ggml_type16ELi5ELb0ELb0EEvPKvS2_PKi31ggml_cuda_mm_fusion_args_devicePfj15HIP_vector_typeIjLj3EEjjjS8_jjjS8_jjjj,@function
_ZL13mul_mat_vec_qIL9ggml_type16ELi5ELb0ELb0EEvPKvS2_PKi31ggml_cuda_mm_fusion_args_devicePfj15HIP_vector_typeIjLj3EEjjjS8_jjjS8_jjjj: ; @_ZL13mul_mat_vec_qIL9ggml_type16ELi5ELb0ELb0EEvPKvS2_PKi31ggml_cuda_mm_fusion_args_devicePfj15HIP_vector_typeIjLj3EEjjjS8_jjjS8_jjjj
; %bb.0:
	s_clause 0x5
	s_load_b96 s[16:18], s[0:1], 0x80
	s_load_b32 s12, s[0:1], 0x40
	s_load_b128 s[4:7], s[0:1], 0x50
	s_load_b32 s2, s[0:1], 0x60
	s_load_b128 s[8:11], s[0:1], 0x68
	s_load_b32 s3, s[0:1], 0x78
	v_bfe_u32 v9, v0, 10, 10
	v_dual_mov_b32 v5, 0 :: v_dual_and_b32 v6, 0x3ff, v0
	v_dual_mov_b32 v7, 0 :: v_dual_mov_b32 v8, 0
	v_mov_b32_e32 v10, 0
	s_delay_alu instid0(VALU_DEP_3)
	v_lshl_or_b32 v0, v9, 5, v6
	v_mov_b32_e32 v12, 0
	s_and_b32 s19, ttmp7, 0xffff
	s_lshr_b32 s22, ttmp7, 16
	s_mov_b32 s23, exec_lo
	v_lshrrev_b32_e32 v11, 3, v0
	s_wait_kmcnt 0x0
	s_lshr_b32 s24, s12, 8
	s_delay_alu instid0(VALU_DEP_1) | instid1(SALU_CYCLE_1)
	v_cmpx_gt_u32_e64 s24, v11
	s_cbranch_execz .LBB164_4
; %bb.1:
	v_lshl_add_u32 v0, v9, 5, v6
	s_mov_b32 s21, 0
	s_mul_i32 s26, s9, s19
	s_mov_b32 s27, s21
	s_load_b128 s[12:15], s[0:1], 0x0
	v_lshrrev_b32_e32 v0, 3, v0
	s_mul_u64 s[26:27], s[26:27], 36
	s_mul_i32 s20, s17, s22
	v_and_b32_e32 v3, 7, v6
	s_mul_hi_u32 s7, s7, s19
	v_mad_co_u64_u32 v[0:1], null, 0x120, v0, s[26:27]
	v_dual_mov_b32 v5, 0 :: v_dual_lshlrev_b32 v2, 1, v6
	s_mul_hi_u32 s11, s11, s22
	s_add_co_i32 s7, s19, s7
	s_mul_u64 s[28:29], s[20:21], 36
	s_add_co_i32 s9, s22, s11
	s_delay_alu instid0(VALU_DEP_2)
	v_mad_co_u64_u32 v[0:1], null, s20, 36, v[0:1]
	s_lshr_b32 s2, s7, s2
	v_and_b32_e32 v2, 14, v2
	v_lshlrev_b32_e32 v4, 3, v11
	s_lshr_b32 s7, s9, s3
	s_mul_i32 s8, s2, s8
	s_wait_kmcnt 0x0
	s_add_nc_u64 s[2:3], s[14:15], s[28:29]
	v_mad_co_u64_u32 v[7:8], null, v3, 36, v[0:1]
	s_add_nc_u64 s[2:3], s[2:3], s[26:27]
	v_lshlrev_b32_e32 v10, 1, v2
	v_mad_co_u64_u32 v[0:1], null, v3, 36, s[2:3]
	v_mad_co_u64_u32 v[2:3], null, s5, 3, v[4:5]
	v_add_co_u32 v3, vcc_lo, s14, v7
	s_delay_alu instid0(VALU_DEP_1)
	v_add_co_ci_u32_e64 v7, null, s15, v8, vcc_lo
	s_mul_i32 s4, s4, ttmp9
	v_add_co_u32 v3, vcc_lo, v3, 16
	v_add_nc_u32_e32 v13, s5, v4
	v_lshl_add_u32 v14, s5, 2, v4
	v_lshl_add_u32 v15, s5, 1, v4
	s_wait_alu 0xfffd
	v_add_co_ci_u32_e64 v4, null, 0, v7, vcc_lo
	v_dual_mov_b32 v7, 0 :: v_dual_lshlrev_b32 v16, 1, v10
	v_mov_b32_e32 v8, 0
	v_mov_b32_e32 v10, 0
	;; [unrolled: 1-line block ×3, first 2 shown]
	s_mul_i32 s7, s7, s16
	s_wait_alu 0xfffe
	s_add_co_i32 s8, s8, s4
	s_delay_alu instid0(SALU_CYCLE_1)
	s_add_co_i32 s4, s7, s8
.LBB164_2:                              ; =>This Inner Loop Header: Depth=1
	s_wait_alu 0xfffe
	v_add_nc_u32_e32 v25, s4, v11
	v_mad_co_u64_u32 v[33:34], null, v13, 36, v[0:1]
	v_mad_co_u64_u32 v[45:46], null, v15, 36, v[0:1]
	s_delay_alu instid0(VALU_DEP_3)
	v_mad_co_i64_i32 v[37:38], null, 0x42, v25, s[12:13]
	s_clause 0x1
	global_load_b128 v[17:20], v[3:4], off offset:-16
	global_load_b128 v[21:24], v[3:4], off
	s_clause 0x4
	global_load_b128 v[25:28], v[33:34], off
	global_load_b128 v[29:32], v[33:34], off offset:16
	global_load_b32 v57, v[33:34], off offset:32
	global_load_b128 v[33:36], v[45:46], off
	global_load_b32 v58, v[45:46], off offset:32
	s_getpc_b64 s[2:3]
	s_wait_alu 0xfffe
	s_sext_i32_i16 s3, s3
	s_add_co_u32 s2, s2, _ZL11iq2xxs_grid@rel32@lo+12
	s_wait_alu 0xfffe
	s_add_co_ci_u32 s3, s3, _ZL11iq2xxs_grid@rel32@hi+24
	v_mad_co_u64_u32 v[49:50], null, v2, 36, v[0:1]
	v_add_co_u32 v39, vcc_lo, v37, v16
	s_wait_alu 0xfffd
	v_add_co_ci_u32_e64 v40, null, 0, v38, vcc_lo
	v_mad_co_u64_u32 v[53:54], null, v14, 36, v[0:1]
	v_add_nc_u32_e32 v11, 4, v11
	s_clause 0x1
	global_load_b64 v[40:41], v[39:40], off offset:2
	global_load_u16 v59, v[37:38], off
	v_add_nc_u32_e32 v13, 32, v13
	v_add_nc_u32_e32 v14, 32, v14
	;; [unrolled: 1-line block ×4, first 2 shown]
	s_wait_loadcnt 0x6
	v_cvt_f32_f16_e32 v25, v25
	v_cvt_f32_f16_e32 v17, v17
	s_wait_loadcnt 0x3
	v_cvt_f32_f16_e32 v33, v33
	s_wait_loadcnt 0x1
	v_and_b32_e32 v44, 0xff, v41
	v_lshrrev_b32_e32 v38, 5, v40
	s_wait_loadcnt 0x0
	v_cvt_f32_f16_e32 v59, v59
	v_and_b32_e32 v37, 0xff, v40
	v_lshrrev_b32_e32 v39, 13, v40
	v_lshrrev_b32_e32 v40, 21, v40
	v_bcnt_u32_b32 v56, v44, 0
	v_dual_mul_f32 v17, v59, v17 :: v_dual_and_b32 v42, 0x7f8, v38
	v_lshlrev_b32_e32 v37, 3, v37
	v_and_b32_e32 v43, 0x7f8, v39
	s_delay_alu instid0(VALU_DEP_4)
	v_dual_mul_f32 v25, v59, v25 :: v_dual_and_b32 v56, 1, v56
	v_and_b32_e32 v47, 0x7f8, v40
	s_clause 0x3
	global_load_b64 v[37:38], v37, s[2:3]
	global_load_b64 v[39:40], v42, s[2:3]
	;; [unrolled: 1-line block ×4, first 2 shown]
	v_bfe_u32 v55, v41, 21, 8
	v_lshlrev_b32_e32 v56, 7, v56
	v_bfe_u32 v51, v41, 7, 8
	v_bfe_u32 v52, v41, 14, 8
	v_lshrrev_b32_e32 v96, 27, v41
	v_bcnt_u32_b32 v62, v55, 0
	v_xor_b32_e32 v44, v56, v44
	v_bcnt_u32_b32 v60, v51, 0
	v_bcnt_u32_b32 v61, v52, 0
	s_delay_alu instid0(VALU_DEP_4) | instskip(NEXT) | instid1(VALU_DEP_4)
	v_and_b32_e32 v62, 1, v62
	v_mul_lo_u32 v44, 0x1010101, v44
	s_delay_alu instid0(VALU_DEP_4) | instskip(NEXT) | instid1(VALU_DEP_4)
	v_and_b32_e32 v60, 1, v60
	v_and_b32_e32 v61, 1, v61
	s_delay_alu instid0(VALU_DEP_4) | instskip(NEXT) | instid1(VALU_DEP_3)
	v_lshlrev_b32_e32 v62, 7, v62
	v_lshlrev_b32_e32 v60, 7, v60
	s_delay_alu instid0(VALU_DEP_3) | instskip(SKIP_1) | instid1(VALU_DEP_4)
	v_lshlrev_b32_e32 v61, 7, v61
	v_and_b32_e32 v56, 0x8040201, v44
	v_xor_b32_e32 v55, v62, v55
	v_and_b32_e32 v62, 0x80402010, v44
	v_xor_b32_e32 v51, v60, v51
	v_lshrrev_b32_e32 v60, 18, v44
	v_lshrrev_b16 v75, 8, v56
	v_mul_lo_u32 v55, 0x1010101, v55
	v_lshrrev_b32_e32 v56, 24, v56
	v_xor_b32_e32 v52, v61, v52
	v_bfe_i32 v61, v44, 0, 1
	v_cmp_ne_u16_e32 vcc_lo, 0, v75
	v_bfe_i32 v60, v60, 0, 1
	v_mul_lo_u32 v51, 0x1010101, v51
	v_lshrrev_b16 v77, 8, v62
	v_and_b32_e32 v71, 0x8040201, v55
	v_lshrrev_b32_e32 v72, 18, v55
	v_bfe_i32 v73, v55, 0, 1
	v_and_b32_e32 v74, 0x80402010, v55
	v_lshrrev_b32_e32 v55, 22, v55
	v_and_b32_e32 v76, 0xff, v61
	v_lshrrev_b32_e32 v78, 24, v62
	;; [unrolled: 2-line block ×3, first 2 shown]
	v_bfe_i32 v91, v55, 0, 1
	s_wait_alu 0xfffd
	v_cndmask_b32_e64 v55, 0, -1, vcc_lo
	v_cmp_ne_u16_e32 vcc_lo, 0, v56
	v_and_b32_e32 v63, 0x8040201, v51
	v_lshrrev_b16 v62, 4, v62
	v_cmp_ne_u16_e64 s2, 0, v78
	v_lshlrev_b16 v55, 8, v55
	s_wait_alu 0xfffd
	v_cndmask_b32_e64 v56, 0, -1, vcc_lo
	v_cmp_ne_u16_e32 vcc_lo, 0, v77
	v_bfe_i32 v79, v44, 0, 1
	v_lshrrev_b16 v44, 8, v63
	v_or_b32_e32 v76, v76, v55
	v_lshlrev_b16 v56, 8, v56
	v_lshrrev_b32_e32 v63, 24, v63
	v_bfe_i32 v62, v62, 0, 1
	s_wait_alu 0xfffd
	v_cndmask_b32_e64 v77, 0, -1, vcc_lo
	s_wait_alu 0xf1ff
	v_cndmask_b32_e64 v78, 0, -1, s2
	v_or_b32_e32 v75, v75, v56
	v_and_b32_e32 v76, 0xffff, v76
	v_cmp_ne_u16_e32 vcc_lo, 0, v63
	v_and_b32_e32 v63, 0xff, v79
	v_lshlrev_b16 v77, 8, v77
	v_lshlrev_b32_e32 v75, 16, v75
	v_lshlrev_b16 v78, 8, v78
	v_lshrrev_b32_e32 v64, 18, v51
	v_and_b32_e32 v66, 0x80402010, v51
	v_cmp_ne_u16_e64 s2, 0, v44
	v_or_b32_e32 v75, v76, v75
	v_and_b32_e32 v76, 0xff, v62
	v_or_b32_e32 v63, v63, v78
	v_bfe_i32 v65, v51, 0, 1
	v_bfe_i32 v64, v64, 0, 1
	v_lshrrev_b16 v81, 8, v66
	v_or_b32_e32 v76, v76, v77
	v_lshlrev_b32_e32 v63, 16, v63
	s_wait_alu 0xf1ff
	v_cndmask_b32_e64 v44, 0, -1, s2
	v_and_b32_e32 v80, 0xff, v65
	v_lshrrev_b32_e32 v82, 24, v66
	v_and_b32_e32 v76, 0xffff, v76
	v_cmp_ne_u16_e64 s2, 0, v81
	v_and_b32_e32 v81, 0xff, v64
	v_lshlrev_b16 v44, 8, v44
	v_mul_lo_u32 v52, 0x1010101, v52
	v_or_b32_e32 v63, v76, v63
	s_wait_alu 0xfffd
	v_cndmask_b32_e64 v76, 0, -1, vcc_lo
	v_lshrrev_b32_e32 v51, 22, v51
	v_lshrrev_b16 v66, 4, v66
	v_cmp_ne_u16_e32 vcc_lo, 0, v82
	v_or_b32_e32 v80, v80, v44
	v_lshlrev_b16 v76, 8, v76
	v_and_b32_e32 v67, 0x8040201, v52
	v_bfe_i32 v83, v51, 0, 1
	v_bfe_i32 v66, v66, 0, 1
	s_wait_alu 0xfffd
	v_cndmask_b32_e64 v82, 0, -1, vcc_lo
	v_or_b32_e32 v81, v81, v76
	v_and_b32_e32 v80, 0xffff, v80
	v_lshrrev_b16 v51, 8, v67
	v_lshrrev_b32_e32 v67, 24, v67
	v_lshlrev_b16 v82, 8, v82
	v_lshlrev_b32_e32 v81, 16, v81
	v_lshrrev_b32_e32 v68, 18, v52
	v_bfe_i32 v69, v52, 0, 1
	v_and_b32_e32 v70, 0x80402010, v52
	v_lshrrev_b32_e32 v52, 22, v52
	v_or_b32_e32 v80, v80, v81
	v_and_b32_e32 v81, 0xff, v66
	v_cmp_ne_u16_e32 vcc_lo, 0, v51
	v_bfe_i32 v68, v68, 0, 1
	v_bfe_i32 v87, v52, 0, 1
	v_lshrrev_b16 v52, 8, v71
	v_lshrrev_b32_e32 v71, 24, v71
	s_wait_alu 0xfffd
	v_cndmask_b32_e64 v51, 0, -1, vcc_lo
	v_and_b32_e32 v84, 0xff, v69
	v_lshrrev_b16 v85, 8, v70
	v_lshrrev_b32_e32 v86, 24, v70
	v_cmp_ne_u16_e32 vcc_lo, 0, v71
	v_and_b32_e32 v71, 0xff, v68
	v_lshlrev_b16 v51, 8, v51
	v_lshrrev_b16 v70, 4, v70
	v_cmp_ne_u16_e64 s3, 0, v86
	v_lshrrev_b32_e32 v90, 24, v74
	v_bfe_i32 v72, v72, 0, 1
	v_lshrrev_b16 v89, 8, v74
	v_bfe_i32 v70, v70, 0, 1
	s_wait_alu 0xf1fe
	v_cndmask_b32_e64 v86, 0, -1, s3
	v_cmp_ne_u16_e64 s3, 0, v52
	v_and_b32_e32 v88, 0xff, v73
	v_lshrrev_b16 v74, 4, v74
	v_lshlrev_b16 v41, 8, v61
	v_lshlrev_b16 v61, 8, v66
	s_wait_alu 0xf1ff
	v_cndmask_b32_e64 v52, 0, -1, s3
	v_cmp_ne_u16_e64 s3, 0, v89
	v_and_b32_e32 v89, 0xff, v72
	v_bfe_i32 v74, v74, 0, 1
	v_lshlrev_b16 v72, 8, v72
	v_lshlrev_b16 v52, 8, v52
	s_wait_loadcnt 0x3
	v_xor_b32_e32 v75, v37, v75
	v_cndmask_b32_e64 v37, 0, -1, s2
	v_xor_b32_e32 v63, v38, v63
	v_and_b32_e32 v38, 0xff, v83
	v_cmp_ne_u16_e64 s2, 0, v67
	s_wait_loadcnt 0x2
	v_xor_b32_e32 v80, v39, v80
	v_lshlrev_b16 v92, 8, v37
	v_and_b32_e32 v39, 0xff, v91
	v_or_b32_e32 v38, v38, v82
	s_wait_alu 0xf1ff
	v_cndmask_b32_e64 v67, 0, -1, s2
	v_cmp_ne_u16_e64 s2, 0, v85
	v_or_b32_e32 v37, v81, v92
	v_and_b32_e32 v66, 0xffffff00, v75
	v_lshlrev_b32_e32 v38, 16, v38
	v_lshlrev_b16 v67, 8, v67
	s_wait_alu 0xf1ff
	v_cndmask_b32_e64 v85, 0, -1, s2
	v_and_b32_e32 v37, 0xffff, v37
	v_cmp_ne_u16_e64 s2, 0, v90
	v_and_b32_e32 v90, 0xff, v87
	v_or_b32_e32 v71, v71, v67
	v_sub_nc_i16 v55, v66, v55 clamp
	v_or_b32_e32 v37, v37, v38
	s_wait_alu 0xfffd
	v_cndmask_b32_e64 v38, 0, -1, vcc_lo
	v_lshlrev_b16 v66, 8, v75
	v_lshlrev_b32_e32 v71, 16, v71
	v_xor_b32_e32 v81, v40, v37
	v_or_b32_e32 v40, v84, v51
	v_lshlrev_b16 v84, 8, v85
	v_lshlrev_b16 v85, 8, v86
	v_cndmask_b32_e64 v37, 0, -1, s3
	v_sub_nc_i16 v41, v66, v41 clamp
	v_and_b32_e32 v40, 0xffff, v40
	v_and_b32_e32 v66, 0xffffff00, v63
	v_or_b32_e32 v86, v90, v85
	v_lshlrev_b16 v90, 8, v38
	v_or_b32_e32 v38, v88, v52
	v_or_b32_e32 v40, v40, v71
	v_and_b32_e32 v71, 0xff, v70
	v_lshlrev_b32_e32 v86, 16, v86
	v_or_b32_e32 v88, v89, v90
	v_and_b32_e32 v38, 0xffff, v38
	v_lshlrev_b16 v89, 8, v37
	v_or_b32_e32 v71, v71, v84
	v_sub_nc_i16 v66, v66, v77 clamp
	v_lshlrev_b32_e32 v88, 16, v88
	s_delay_alu instid0(VALU_DEP_3) | instskip(NEXT) | instid1(VALU_DEP_2)
	v_and_b32_e32 v71, 0xffff, v71
	v_or_b32_e32 v38, v38, v88
	v_and_b32_e32 v88, 0xff, v74
	s_delay_alu instid0(VALU_DEP_3)
	v_or_b32_e32 v71, v71, v86
	s_wait_alu 0xf1ff
	v_cndmask_b32_e64 v86, 0, -1, s2
	s_wait_loadcnt 0x0
	v_xor_b32_e32 v93, v47, v38
	v_or_b32_e32 v37, v88, v89
	v_xor_b32_e32 v88, v42, v40
	v_xor_b32_e32 v71, v43, v71
	v_lshlrev_b16 v86, 8, v86
	v_lshlrev_b16 v43, 8, v69
	v_and_b32_e32 v37, 0xffff, v37
	v_lshlrev_b16 v69, 8, v63
	v_lshlrev_b16 v42, 8, v65
	v_or_b32_e32 v39, v39, v86
	v_lshlrev_b16 v47, 8, v73
	v_lshlrev_b16 v65, 8, v74
	s_delay_alu instid0(VALU_DEP_3) | instskip(NEXT) | instid1(VALU_DEP_1)
	v_lshlrev_b32_e32 v39, 16, v39
	v_or_b32_e32 v37, v37, v39
	s_delay_alu instid0(VALU_DEP_1)
	v_xor_b32_e32 v94, v48, v37
	v_lshlrev_b16 v48, 8, v60
	v_lshlrev_b16 v60, 8, v62
	;; [unrolled: 1-line block ×3, first 2 shown]
	s_clause 0x1
	global_load_b128 v[37:40], v[49:50], off
	global_load_b32 v95, v[49:50], off offset:32
	v_sub_nc_i16 v60, v69, v60 clamp
	v_and_b32_e32 v69, 0xffffff00, v80
	s_delay_alu instid0(VALU_DEP_2) | instskip(NEXT) | instid1(VALU_DEP_2)
	v_perm_b32 v60, v60, v66, 0xc0c0105
	v_sub_nc_i16 v69, v69, v44 clamp
	v_lshlrev_b16 v44, 8, v80
	s_delay_alu instid0(VALU_DEP_1) | instskip(SKIP_1) | instid1(VALU_DEP_2)
	v_sub_nc_i16 v70, v44, v42 clamp
	v_and_b32_e32 v42, 0xffffff00, v81
	v_perm_b32 v69, v70, v69, 0xc0c0105
	s_delay_alu instid0(VALU_DEP_2) | instskip(SKIP_1) | instid1(VALU_DEP_1)
	v_sub_nc_i16 v73, v42, v92 clamp
	v_lshlrev_b16 v42, 8, v81
	v_sub_nc_i16 v61, v42, v61 clamp
	v_and_b32_e32 v42, 0xffffff00, v88
	s_delay_alu instid0(VALU_DEP_2) | instskip(NEXT) | instid1(VALU_DEP_2)
	v_perm_b32 v61, v61, v73, 0xc0c0105
	v_sub_nc_i16 v74, v42, v51 clamp
	v_lshlrev_b16 v42, 8, v88
	v_lshrrev_b32_e32 v51, 16, v80
	global_load_b32 v80, v[3:4], off offset:16
	v_add_co_u32 v3, vcc_lo, 0x480, v3
	v_sub_nc_i16 v77, v42, v43 clamp
	v_and_b32_e32 v42, 0xffffff00, v71
	v_lshrrev_b32_e32 v43, 16, v75
	s_wait_alu 0xfffd
	v_add_co_ci_u32_e64 v4, null, 0, v4, vcc_lo
	v_cmp_le_u32_e32 vcc_lo, s24, v11
	v_sub_nc_i16 v84, v42, v84 clamp
	v_lshlrev_b16 v42, 8, v71
	v_lshrrev_b32_e32 v71, 16, v71
	s_or_b32 s21, vcc_lo, s21
	s_delay_alu instid0(VALU_DEP_2) | instskip(SKIP_1) | instid1(VALU_DEP_2)
	v_sub_nc_i16 v62, v42, v62 clamp
	v_and_b32_e32 v42, 0xffffff00, v93
	v_perm_b32 v62, v62, v84, 0xc0c0105
	s_delay_alu instid0(VALU_DEP_2) | instskip(SKIP_2) | instid1(VALU_DEP_2)
	v_sub_nc_i16 v92, v42, v52 clamp
	v_lshlrev_b16 v42, 8, v93
	v_lshlrev_b16 v52, 8, v64
	v_sub_nc_i16 v97, v42, v47 clamp
	v_and_b32_e32 v42, 0xffffff00, v94
	v_lshrrev_b32_e32 v47, 16, v63
	s_delay_alu instid0(VALU_DEP_2) | instskip(SKIP_1) | instid1(VALU_DEP_1)
	v_sub_nc_i16 v89, v42, v89 clamp
	v_lshlrev_b16 v42, 8, v94
	v_sub_nc_i16 v63, v42, v65 clamp
	v_and_b32_e32 v42, 0xffffff00, v43
	v_lshlrev_b16 v43, 8, v43
	v_perm_b32 v65, v41, v55, 0xc0c0105
	v_and_b32_e32 v41, 0xffffff00, v47
	v_lshlrev_b16 v47, 8, v47
	v_lshrrev_b32_e32 v55, 16, v81
	v_sub_nc_i16 v98, v43, v48 clamp
	v_lshlrev_b16 v48, 8, v79
	v_sub_nc_i16 v66, v41, v78 clamp
	v_sub_nc_i16 v75, v42, v56 clamp
	s_clause 0x1
	global_load_b128 v[41:44], v[53:54], off
	global_load_b32 v79, v[53:54], off offset:32
	v_sub_nc_i16 v78, v47, v48 clamp
	v_and_b32_e32 v47, 0xffffff00, v51
	v_lshlrev_b16 v51, 8, v51
	v_lshlrev_b16 v56, 8, v83
	v_perm_b32 v75, v98, v75, 0xc0c0105
	v_lshlrev_b16 v81, 8, v87
	v_sub_nc_i16 v70, v47, v76 clamp
	v_sub_nc_i16 v64, v51, v52 clamp
	v_and_b32_e32 v51, 0xffffff00, v55
	v_lshlrev_b16 v55, 8, v55
	global_load_b128 v[45:48], v[45:46], off offset:16
	v_perm_b32 v66, v78, v66, 0xc0c0105
	v_lshl_or_b32 v65, v75, 16, v65
	v_sub_nc_i16 v73, v51, v82 clamp
	v_sub_nc_i16 v76, v55, v56 clamp
	v_lshrrev_b32_e32 v56, 16, v88
	v_lshlrev_b16 v55, 8, v68
	v_perm_b32 v68, v77, v74, 0xc0c0105
	global_load_b128 v[49:52], v[49:50], off offset:16
	v_and_b32_e32 v77, 0xffffff00, v71
	v_and_b32_e32 v74, 0xffffff00, v56
	v_lshlrev_b16 v56, 8, v56
	v_lshlrev_b16 v71, 8, v71
	v_perm_b32 v64, v64, v70, 0xc0c0105
	v_lshl_or_b32 v60, v66, 16, v60
	v_sub_nc_i16 v67, v74, v67 clamp
	v_sub_nc_i16 v74, v56, v55 clamp
	global_load_b128 v[53:56], v[53:54], off offset:16
	v_sub_nc_i16 v71, v71, v81 clamp
	v_lshrrev_b32_e32 v81, 16, v93
	v_dot4_i32_iu8 v18, v65, v18, 0 neg_lo:[1,1,0]
	v_dot4_i32_iu8 v26, v65, v26, 0 neg_lo:[1,1,0]
	;; [unrolled: 1-line block ×3, first 2 shown]
	v_perm_b32 v70, v76, v73, 0xc0c0105
	v_and_b32_e32 v83, 0xffffff00, v81
	v_lshlrev_b16 v81, 8, v81
	v_lshl_or_b32 v64, v64, 16, v69
	v_dot4_i32_iu8 v18, v60, v19, v18 neg_lo:[1,1,0]
	v_dot4_i32_iu8 v19, v60, v27, v26 neg_lo:[1,1,0]
	;; [unrolled: 1-line block ×3, first 2 shown]
	v_sub_nc_i16 v77, v77, v85 clamp
	v_sub_nc_i16 v72, v81, v72 clamp
	v_lshrrev_b32_e32 v81, 16, v94
	v_perm_b32 v67, v74, v67, 0xc0c0105
	v_lshl_or_b32 v61, v70, 16, v61
	v_dot4_i32_iu8 v18, v64, v20, v18 neg_lo:[1,1,0]
	v_dot4_i32_iu8 v19, v64, v28, v19 neg_lo:[1,1,0]
	;; [unrolled: 1-line block ×3, first 2 shown]
	v_sub_nc_i16 v83, v83, v90 clamp
	v_and_b32_e32 v84, 0xffffff00, v81
	v_lshlrev_b16 v85, 8, v91
	v_lshlrev_b16 v81, 8, v81
	v_perm_b32 v71, v71, v77, 0xc0c0105
	v_lshl_or_b32 v66, v67, 16, v68
	v_dot4_i32_iu8 v18, v61, v21, v18 neg_lo:[1,1,0]
	v_dot4_i32_iu8 v19, v61, v29, v19 neg_lo:[1,1,0]
	v_perm_b32 v82, v97, v92, 0xc0c0105
	v_sub_nc_i16 v84, v84, v86 clamp
	v_sub_nc_i16 v81, v81, v85 clamp
	v_perm_b32 v72, v72, v83, 0xc0c0105
	v_lshl_or_b32 v62, v71, 16, v62
	v_dot4_i32_iu8 v18, v66, v22, v18 neg_lo:[1,1,0]
	v_dot4_i32_iu8 v19, v66, v30, v19 neg_lo:[1,1,0]
	v_perm_b32 v63, v63, v89, 0xc0c0105
	v_perm_b32 v73, v81, v84, 0xc0c0105
	v_lshl_or_b32 v67, v72, 16, v82
	v_dot4_i32_iu8 v18, v62, v23, v18 neg_lo:[1,1,0]
	v_dot4_i32_iu8 v19, v62, v31, v19 neg_lo:[1,1,0]
	v_or_b32_e32 v85, 1, v96
	v_lshl_or_b32 v63, v73, 16, v63
	v_mul_f32_e32 v23, v59, v33
	v_dot4_i32_iu8 v18, v67, v24, v18 neg_lo:[1,1,0]
	v_dot4_i32_iu8 v19, v67, v32, v19 neg_lo:[1,1,0]
	s_delay_alu instid0(VALU_DEP_1) | instskip(NEXT) | instid1(VALU_DEP_1)
	v_dot4_i32_iu8 v19, v63, v57, v19 neg_lo:[1,1,0]
	v_mul_lo_u32 v19, v19, v85
	s_delay_alu instid0(VALU_DEP_1) | instskip(NEXT) | instid1(VALU_DEP_1)
	v_ashrrev_i32_e32 v28, 31, v19
	v_lshrrev_b32_e32 v28, 29, v28
	s_delay_alu instid0(VALU_DEP_1) | instskip(NEXT) | instid1(VALU_DEP_1)
	v_add_nc_u32_e32 v19, v19, v28
	v_ashrrev_i32_e32 v19, 3, v19
	s_delay_alu instid0(VALU_DEP_1) | instskip(NEXT) | instid1(VALU_DEP_1)
	v_cvt_f32_i32_e32 v19, v19
	v_fmac_f32_e32 v10, v25, v19
	s_wait_loadcnt 0x7
	v_dot4_i32_iu8 v38, v65, v38, 0 neg_lo:[1,1,0]
	v_cvt_f32_f16_e32 v37, v37
	s_delay_alu instid0(VALU_DEP_2) | instskip(NEXT) | instid1(VALU_DEP_2)
	v_dot4_i32_iu8 v27, v60, v39, v38 neg_lo:[1,1,0]
	v_mul_f32_e32 v24, v59, v37
	s_delay_alu instid0(VALU_DEP_2) | instskip(SKIP_2) | instid1(VALU_DEP_1)
	v_dot4_i32_iu8 v26, v64, v40, v27 neg_lo:[1,1,0]
	s_wait_loadcnt 0x5
	v_dot4_i32_iu8 v18, v63, v80, v18 neg_lo:[1,1,0]
	v_mul_lo_u32 v18, v18, v85
	s_wait_loadcnt 0x4
	v_dot4_i32_iu8 v42, v65, v42, 0 neg_lo:[1,1,0]
	v_cvt_f32_f16_e32 v41, v41
	s_delay_alu instid0(VALU_DEP_2) | instskip(NEXT) | instid1(VALU_DEP_1)
	v_dot4_i32_iu8 v34, v60, v43, v42 neg_lo:[1,1,0]
	v_dot4_i32_iu8 v27, v64, v44, v34 neg_lo:[1,1,0]
	s_wait_loadcnt 0x2
	v_dot4_i32_iu8 v20, v61, v45, v20 neg_lo:[1,1,0]
	s_delay_alu instid0(VALU_DEP_1) | instskip(SKIP_2) | instid1(VALU_DEP_2)
	v_dot4_i32_iu8 v20, v66, v46, v20 neg_lo:[1,1,0]
	s_wait_loadcnt 0x1
	v_dot4_i32_iu8 v21, v61, v49, v26 neg_lo:[1,1,0]
	v_dot4_i32_iu8 v20, v62, v47, v20 neg_lo:[1,1,0]
	s_delay_alu instid0(VALU_DEP_2) | instskip(NEXT) | instid1(VALU_DEP_2)
	v_dot4_i32_iu8 v21, v66, v50, v21 neg_lo:[1,1,0]
	v_dot4_i32_iu8 v20, v67, v48, v20 neg_lo:[1,1,0]
	s_wait_loadcnt 0x0
	v_dot4_i32_iu8 v26, v61, v53, v27 neg_lo:[1,1,0]
	s_delay_alu instid0(VALU_DEP_3) | instskip(SKIP_2) | instid1(VALU_DEP_4)
	v_dot4_i32_iu8 v21, v62, v51, v21 neg_lo:[1,1,0]
	v_ashrrev_i32_e32 v27, 31, v18
	v_dot4_i32_iu8 v20, v63, v58, v20 neg_lo:[1,1,0]
	v_dot4_i32_iu8 v22, v66, v54, v26 neg_lo:[1,1,0]
	s_delay_alu instid0(VALU_DEP_4) | instskip(NEXT) | instid1(VALU_DEP_4)
	v_dot4_i32_iu8 v21, v67, v52, v21 neg_lo:[1,1,0]
	v_lshrrev_b32_e32 v27, 29, v27
	s_delay_alu instid0(VALU_DEP_4) | instskip(SKIP_4) | instid1(VALU_DEP_3)
	v_mul_lo_u32 v20, v20, v85
	v_mul_f32_e32 v26, v59, v41
	v_dot4_i32_iu8 v22, v62, v55, v22 neg_lo:[1,1,0]
	v_dot4_i32_iu8 v21, v63, v95, v21 neg_lo:[1,1,0]
	v_add_nc_u32_e32 v18, v18, v27
	v_dot4_i32_iu8 v22, v67, v56, v22 neg_lo:[1,1,0]
	s_delay_alu instid0(VALU_DEP_3) | instskip(SKIP_1) | instid1(VALU_DEP_4)
	v_mul_lo_u32 v21, v21, v85
	v_ashrrev_i32_e32 v29, 31, v20
	v_ashrrev_i32_e32 v18, 3, v18
	s_delay_alu instid0(VALU_DEP_4) | instskip(NEXT) | instid1(VALU_DEP_3)
	v_dot4_i32_iu8 v22, v63, v79, v22 neg_lo:[1,1,0]
	v_lshrrev_b32_e32 v29, 29, v29
	s_delay_alu instid0(VALU_DEP_3) | instskip(SKIP_1) | instid1(VALU_DEP_4)
	v_cvt_f32_i32_e32 v18, v18
	v_ashrrev_i32_e32 v30, 31, v21
	v_mul_lo_u32 v22, v22, v85
	s_delay_alu instid0(VALU_DEP_4) | instskip(NEXT) | instid1(VALU_DEP_4)
	v_add_nc_u32_e32 v20, v20, v29
	v_fmac_f32_e32 v12, v17, v18
	s_delay_alu instid0(VALU_DEP_4) | instskip(NEXT) | instid1(VALU_DEP_3)
	v_lshrrev_b32_e32 v30, 29, v30
	v_ashrrev_i32_e32 v20, 3, v20
	v_ashrrev_i32_e32 v31, 31, v22
	s_delay_alu instid0(VALU_DEP_3) | instskip(NEXT) | instid1(VALU_DEP_3)
	v_add_nc_u32_e32 v21, v21, v30
	v_cvt_f32_i32_e32 v20, v20
	s_delay_alu instid0(VALU_DEP_3) | instskip(NEXT) | instid1(VALU_DEP_3)
	v_lshrrev_b32_e32 v31, 29, v31
	v_ashrrev_i32_e32 v21, 3, v21
	s_delay_alu instid0(VALU_DEP_3) | instskip(NEXT) | instid1(VALU_DEP_3)
	v_fmac_f32_e32 v8, v23, v20
	v_add_nc_u32_e32 v22, v22, v31
	s_delay_alu instid0(VALU_DEP_3) | instskip(NEXT) | instid1(VALU_DEP_2)
	v_cvt_f32_i32_e32 v21, v21
	v_ashrrev_i32_e32 v22, 3, v22
	s_delay_alu instid0(VALU_DEP_2) | instskip(NEXT) | instid1(VALU_DEP_2)
	v_fmac_f32_e32 v7, v24, v21
	v_cvt_f32_i32_e32 v22, v22
	s_delay_alu instid0(VALU_DEP_1)
	v_fmac_f32_e32 v5, v26, v22
	s_wait_alu 0xfffe
	s_and_not1_b32 exec_lo, exec_lo, s21
	s_cbranch_execnz .LBB164_2
; %bb.3:
	s_or_b32 exec_lo, exec_lo, s21
.LBB164_4:
	s_delay_alu instid0(SALU_CYCLE_1)
	s_or_b32 exec_lo, exec_lo, s23
	s_mov_b32 s3, 0
	; wave barrier
	global_inv scope:SCOPE_SE
	s_mov_b32 s2, exec_lo
	v_cmpx_eq_u32_e32 0, v9
	s_cbranch_execz .LBB164_15
; %bb.5:
	v_mbcnt_lo_u32_b32 v4, -1, 0
	s_load_b64 s[0:1], s[0:1], 0x38
	s_mul_i32 s2, s10, s19
	s_mul_i32 s4, s18, s22
	s_wait_alu 0xfffe
	s_add_co_i32 s2, s2, ttmp9
	v_xor_b32_e32 v0, 16, v4
	v_xor_b32_e32 v1, 8, v4
	s_wait_alu 0xfffe
	s_add_co_i32 s2, s2, s4
	s_wait_alu 0xfffe
	s_lshl_b64 s[2:3], s[2:3], 2
	v_cmp_gt_i32_e32 vcc_lo, 32, v0
	s_wait_alu 0xfffd
	v_cndmask_b32_e32 v0, v4, v0, vcc_lo
	v_cmp_gt_i32_e32 vcc_lo, 32, v1
	s_wait_alu 0xfffd
	v_cndmask_b32_e32 v1, v4, v1, vcc_lo
	s_wait_kmcnt 0x0
	s_wait_alu 0xfffe
	s_add_nc_u64 s[0:1], s[0:1], s[2:3]
	s_delay_alu instid0(VALU_DEP_1)
	v_lshlrev_b32_e32 v1, 2, v1
	v_lshlrev_b32_e32 v0, 2, v0
	ds_bpermute_b32 v2, v0, v12
	s_wait_dscnt 0x0
	v_add_f32_e32 v3, v12, v2
	v_xor_b32_e32 v2, 4, v4
	v_xor_b32_e32 v12, 1, v4
	ds_bpermute_b32 v9, v1, v3
	v_cmp_gt_i32_e32 vcc_lo, 32, v2
	s_wait_dscnt 0x0
	s_wait_alu 0xfffd
	v_dual_cndmask_b32 v2, v4, v2 :: v_dual_add_f32 v9, v3, v9
	s_delay_alu instid0(VALU_DEP_1)
	v_lshlrev_b32_e32 v2, 2, v2
	v_xor_b32_e32 v3, 2, v4
	ds_bpermute_b32 v11, v2, v9
	v_cmp_gt_i32_e32 vcc_lo, 32, v3
	s_wait_alu 0xfffd
	v_cndmask_b32_e32 v3, v4, v3, vcc_lo
	v_cmp_gt_i32_e32 vcc_lo, 32, v12
	s_wait_alu 0xfffd
	v_cndmask_b32_e32 v4, v4, v12, vcc_lo
	v_cmp_eq_u32_e32 vcc_lo, 0, v6
	s_delay_alu instid0(VALU_DEP_2)
	v_lshlrev_b32_e32 v4, 2, v4
	v_lshlrev_b32_e32 v3, 2, v3
	s_wait_dscnt 0x0
	v_add_f32_e32 v9, v9, v11
	ds_bpermute_b32 v11, v3, v9
	s_wait_dscnt 0x0
	v_add_f32_e32 v9, v9, v11
	ds_bpermute_b32 v11, v4, v9
	s_and_saveexec_b32 s2, vcc_lo
	s_cbranch_execz .LBB164_7
; %bb.6:
	s_wait_dscnt 0x0
	v_dual_add_f32 v6, v9, v11 :: v_dual_mov_b32 v9, 0
	global_store_b32 v9, v6, s[0:1]
.LBB164_7:
	s_wait_alu 0xfffe
	s_or_b32 exec_lo, exec_lo, s2
	ds_bpermute_b32 v6, v0, v10
	s_wait_dscnt 0x0
	v_add_f32_e32 v6, v10, v6
	ds_bpermute_b32 v9, v1, v6
	s_wait_dscnt 0x0
	v_add_f32_e32 v6, v6, v9
	ds_bpermute_b32 v9, v2, v6
	s_wait_dscnt 0x0
	v_add_f32_e32 v6, v6, v9
	ds_bpermute_b32 v9, v3, v6
	s_wait_dscnt 0x0
	v_add_f32_e32 v6, v6, v9
	ds_bpermute_b32 v9, v4, v6
	s_and_saveexec_b32 s2, vcc_lo
	s_cbranch_execz .LBB164_9
; %bb.8:
	s_mov_b32 s7, 0
	s_wait_dscnt 0x0
	v_dual_add_f32 v6, v6, v9 :: v_dual_mov_b32 v9, 0
	s_lshl_b64 s[4:5], s[6:7], 2
	s_wait_alu 0xfffe
	s_add_nc_u64 s[4:5], s[0:1], s[4:5]
	global_store_b32 v9, v6, s[4:5]
.LBB164_9:
	s_wait_alu 0xfffe
	s_or_b32 exec_lo, exec_lo, s2
	ds_bpermute_b32 v6, v0, v8
	s_wait_dscnt 0x0
	v_add_f32_e32 v6, v8, v6
	ds_bpermute_b32 v8, v1, v6
	s_wait_dscnt 0x0
	v_add_f32_e32 v6, v6, v8
	ds_bpermute_b32 v8, v2, v6
	s_wait_dscnt 0x0
	v_add_f32_e32 v6, v6, v8
	ds_bpermute_b32 v8, v3, v6
	s_wait_dscnt 0x0
	v_add_f32_e32 v6, v6, v8
	ds_bpermute_b32 v8, v4, v6
	s_and_saveexec_b32 s2, vcc_lo
	s_cbranch_execz .LBB164_11
; %bb.10:
	s_lshl_b32 s4, s6, 1
	s_mov_b32 s5, 0
	s_wait_dscnt 0x0
	v_add_f32_e32 v6, v6, v8
	v_mov_b32_e32 v8, 0
	s_wait_alu 0xfffe
	s_lshl_b64 s[4:5], s[4:5], 2
	s_wait_alu 0xfffe
	s_add_nc_u64 s[4:5], s[0:1], s[4:5]
	global_store_b32 v8, v6, s[4:5]
.LBB164_11:
	s_wait_alu 0xfffe
	s_or_b32 exec_lo, exec_lo, s2
	ds_bpermute_b32 v6, v0, v7
	s_wait_dscnt 0x0
	v_add_f32_e32 v6, v7, v6
	ds_bpermute_b32 v7, v1, v6
	s_wait_dscnt 0x0
	v_add_f32_e32 v6, v6, v7
	;; [unrolled: 3-line block ×4, first 2 shown]
	ds_bpermute_b32 v7, v4, v6
	s_and_saveexec_b32 s2, vcc_lo
	s_cbranch_execz .LBB164_13
; %bb.12:
	s_mul_i32 s4, s6, 3
	s_mov_b32 s5, 0
	s_wait_dscnt 0x0
	v_dual_add_f32 v6, v6, v7 :: v_dual_mov_b32 v7, 0
	s_wait_alu 0xfffe
	s_lshl_b64 s[4:5], s[4:5], 2
	s_wait_alu 0xfffe
	s_add_nc_u64 s[4:5], s[0:1], s[4:5]
	global_store_b32 v7, v6, s[4:5]
.LBB164_13:
	s_wait_alu 0xfffe
	s_or_b32 exec_lo, exec_lo, s2
	ds_bpermute_b32 v0, v0, v5
	s_wait_dscnt 0x0
	v_add_f32_e32 v0, v5, v0
	ds_bpermute_b32 v1, v1, v0
	s_wait_dscnt 0x0
	v_add_f32_e32 v0, v0, v1
	;; [unrolled: 3-line block ×4, first 2 shown]
	ds_bpermute_b32 v1, v4, v0
	s_and_b32 exec_lo, exec_lo, vcc_lo
	s_cbranch_execz .LBB164_15
; %bb.14:
	s_lshl_b32 s2, s6, 2
	s_mov_b32 s3, 0
	s_wait_dscnt 0x0
	v_dual_add_f32 v0, v0, v1 :: v_dual_mov_b32 v1, 0
	s_wait_alu 0xfffe
	s_lshl_b64 s[2:3], s[2:3], 2
	s_wait_alu 0xfffe
	s_add_nc_u64 s[0:1], s[0:1], s[2:3]
	global_store_b32 v1, v0, s[0:1]
.LBB164_15:
	s_nop 0
	s_sendmsg sendmsg(MSG_DEALLOC_VGPRS)
	s_endpgm
	.section	.rodata,"a",@progbits
	.p2align	6, 0x0
	.amdhsa_kernel _ZL13mul_mat_vec_qIL9ggml_type16ELi5ELb0ELb0EEvPKvS2_PKi31ggml_cuda_mm_fusion_args_devicePfj15HIP_vector_typeIjLj3EEjjjS8_jjjS8_jjjj
		.amdhsa_group_segment_fixed_size 0
		.amdhsa_private_segment_fixed_size 0
		.amdhsa_kernarg_size 144
		.amdhsa_user_sgpr_count 2
		.amdhsa_user_sgpr_dispatch_ptr 0
		.amdhsa_user_sgpr_queue_ptr 0
		.amdhsa_user_sgpr_kernarg_segment_ptr 1
		.amdhsa_user_sgpr_dispatch_id 0
		.amdhsa_user_sgpr_private_segment_size 0
		.amdhsa_wavefront_size32 1
		.amdhsa_uses_dynamic_stack 0
		.amdhsa_enable_private_segment 0
		.amdhsa_system_sgpr_workgroup_id_x 1
		.amdhsa_system_sgpr_workgroup_id_y 1
		.amdhsa_system_sgpr_workgroup_id_z 1
		.amdhsa_system_sgpr_workgroup_info 0
		.amdhsa_system_vgpr_workitem_id 1
		.amdhsa_next_free_vgpr 99
		.amdhsa_next_free_sgpr 30
		.amdhsa_reserve_vcc 1
		.amdhsa_float_round_mode_32 0
		.amdhsa_float_round_mode_16_64 0
		.amdhsa_float_denorm_mode_32 3
		.amdhsa_float_denorm_mode_16_64 3
		.amdhsa_fp16_overflow 0
		.amdhsa_workgroup_processor_mode 1
		.amdhsa_memory_ordered 1
		.amdhsa_forward_progress 1
		.amdhsa_inst_pref_size 37
		.amdhsa_round_robin_scheduling 0
		.amdhsa_exception_fp_ieee_invalid_op 0
		.amdhsa_exception_fp_denorm_src 0
		.amdhsa_exception_fp_ieee_div_zero 0
		.amdhsa_exception_fp_ieee_overflow 0
		.amdhsa_exception_fp_ieee_underflow 0
		.amdhsa_exception_fp_ieee_inexact 0
		.amdhsa_exception_int_div_zero 0
	.end_amdhsa_kernel
	.section	.text._ZL13mul_mat_vec_qIL9ggml_type16ELi5ELb0ELb0EEvPKvS2_PKi31ggml_cuda_mm_fusion_args_devicePfj15HIP_vector_typeIjLj3EEjjjS8_jjjS8_jjjj,"axG",@progbits,_ZL13mul_mat_vec_qIL9ggml_type16ELi5ELb0ELb0EEvPKvS2_PKi31ggml_cuda_mm_fusion_args_devicePfj15HIP_vector_typeIjLj3EEjjjS8_jjjS8_jjjj,comdat
.Lfunc_end164:
	.size	_ZL13mul_mat_vec_qIL9ggml_type16ELi5ELb0ELb0EEvPKvS2_PKi31ggml_cuda_mm_fusion_args_devicePfj15HIP_vector_typeIjLj3EEjjjS8_jjjS8_jjjj, .Lfunc_end164-_ZL13mul_mat_vec_qIL9ggml_type16ELi5ELb0ELb0EEvPKvS2_PKi31ggml_cuda_mm_fusion_args_devicePfj15HIP_vector_typeIjLj3EEjjjS8_jjjS8_jjjj
                                        ; -- End function
	.set _ZL13mul_mat_vec_qIL9ggml_type16ELi5ELb0ELb0EEvPKvS2_PKi31ggml_cuda_mm_fusion_args_devicePfj15HIP_vector_typeIjLj3EEjjjS8_jjjS8_jjjj.num_vgpr, 99
	.set _ZL13mul_mat_vec_qIL9ggml_type16ELi5ELb0ELb0EEvPKvS2_PKi31ggml_cuda_mm_fusion_args_devicePfj15HIP_vector_typeIjLj3EEjjjS8_jjjS8_jjjj.num_agpr, 0
	.set _ZL13mul_mat_vec_qIL9ggml_type16ELi5ELb0ELb0EEvPKvS2_PKi31ggml_cuda_mm_fusion_args_devicePfj15HIP_vector_typeIjLj3EEjjjS8_jjjS8_jjjj.numbered_sgpr, 30
	.set _ZL13mul_mat_vec_qIL9ggml_type16ELi5ELb0ELb0EEvPKvS2_PKi31ggml_cuda_mm_fusion_args_devicePfj15HIP_vector_typeIjLj3EEjjjS8_jjjS8_jjjj.num_named_barrier, 0
	.set _ZL13mul_mat_vec_qIL9ggml_type16ELi5ELb0ELb0EEvPKvS2_PKi31ggml_cuda_mm_fusion_args_devicePfj15HIP_vector_typeIjLj3EEjjjS8_jjjS8_jjjj.private_seg_size, 0
	.set _ZL13mul_mat_vec_qIL9ggml_type16ELi5ELb0ELb0EEvPKvS2_PKi31ggml_cuda_mm_fusion_args_devicePfj15HIP_vector_typeIjLj3EEjjjS8_jjjS8_jjjj.uses_vcc, 1
	.set _ZL13mul_mat_vec_qIL9ggml_type16ELi5ELb0ELb0EEvPKvS2_PKi31ggml_cuda_mm_fusion_args_devicePfj15HIP_vector_typeIjLj3EEjjjS8_jjjS8_jjjj.uses_flat_scratch, 0
	.set _ZL13mul_mat_vec_qIL9ggml_type16ELi5ELb0ELb0EEvPKvS2_PKi31ggml_cuda_mm_fusion_args_devicePfj15HIP_vector_typeIjLj3EEjjjS8_jjjS8_jjjj.has_dyn_sized_stack, 0
	.set _ZL13mul_mat_vec_qIL9ggml_type16ELi5ELb0ELb0EEvPKvS2_PKi31ggml_cuda_mm_fusion_args_devicePfj15HIP_vector_typeIjLj3EEjjjS8_jjjS8_jjjj.has_recursion, 0
	.set _ZL13mul_mat_vec_qIL9ggml_type16ELi5ELb0ELb0EEvPKvS2_PKi31ggml_cuda_mm_fusion_args_devicePfj15HIP_vector_typeIjLj3EEjjjS8_jjjS8_jjjj.has_indirect_call, 0
	.section	.AMDGPU.csdata,"",@progbits
; Kernel info:
; codeLenInByte = 4712
; TotalNumSgprs: 32
; NumVgprs: 99
; ScratchSize: 0
; MemoryBound: 0
; FloatMode: 240
; IeeeMode: 1
; LDSByteSize: 0 bytes/workgroup (compile time only)
; SGPRBlocks: 0
; VGPRBlocks: 12
; NumSGPRsForWavesPerEU: 32
; NumVGPRsForWavesPerEU: 99
; Occupancy: 12
; WaveLimiterHint : 0
; COMPUTE_PGM_RSRC2:SCRATCH_EN: 0
; COMPUTE_PGM_RSRC2:USER_SGPR: 2
; COMPUTE_PGM_RSRC2:TRAP_HANDLER: 0
; COMPUTE_PGM_RSRC2:TGID_X_EN: 1
; COMPUTE_PGM_RSRC2:TGID_Y_EN: 1
; COMPUTE_PGM_RSRC2:TGID_Z_EN: 1
; COMPUTE_PGM_RSRC2:TIDIG_COMP_CNT: 1
	.section	.text._ZL13mul_mat_vec_qIL9ggml_type16ELi6ELb0ELb0EEvPKvS2_PKi31ggml_cuda_mm_fusion_args_devicePfj15HIP_vector_typeIjLj3EEjjjS8_jjjS8_jjjj,"axG",@progbits,_ZL13mul_mat_vec_qIL9ggml_type16ELi6ELb0ELb0EEvPKvS2_PKi31ggml_cuda_mm_fusion_args_devicePfj15HIP_vector_typeIjLj3EEjjjS8_jjjS8_jjjj,comdat
	.globl	_ZL13mul_mat_vec_qIL9ggml_type16ELi6ELb0ELb0EEvPKvS2_PKi31ggml_cuda_mm_fusion_args_devicePfj15HIP_vector_typeIjLj3EEjjjS8_jjjS8_jjjj ; -- Begin function _ZL13mul_mat_vec_qIL9ggml_type16ELi6ELb0ELb0EEvPKvS2_PKi31ggml_cuda_mm_fusion_args_devicePfj15HIP_vector_typeIjLj3EEjjjS8_jjjS8_jjjj
	.p2align	8
	.type	_ZL13mul_mat_vec_qIL9ggml_type16ELi6ELb0ELb0EEvPKvS2_PKi31ggml_cuda_mm_fusion_args_devicePfj15HIP_vector_typeIjLj3EEjjjS8_jjjS8_jjjj,@function
_ZL13mul_mat_vec_qIL9ggml_type16ELi6ELb0ELb0EEvPKvS2_PKi31ggml_cuda_mm_fusion_args_devicePfj15HIP_vector_typeIjLj3EEjjjS8_jjjS8_jjjj: ; @_ZL13mul_mat_vec_qIL9ggml_type16ELi6ELb0ELb0EEvPKvS2_PKi31ggml_cuda_mm_fusion_args_devicePfj15HIP_vector_typeIjLj3EEjjjS8_jjjS8_jjjj
; %bb.0:
	s_clause 0x5
	s_load_b96 s[16:18], s[0:1], 0x80
	s_load_b32 s3, s[0:1], 0x40
	s_load_b128 s[4:7], s[0:1], 0x50
	s_load_b32 s2, s[0:1], 0x60
	s_load_b128 s[8:11], s[0:1], 0x68
	s_load_b32 s23, s[0:1], 0x78
	v_bfe_u32 v11, v0, 10, 10
	v_dual_mov_b32 v6, 0 :: v_dual_and_b32 v7, 0x3ff, v0
	v_dual_mov_b32 v8, 0 :: v_dual_mov_b32 v9, 0
	v_mov_b32_e32 v10, 0
	s_delay_alu instid0(VALU_DEP_3)
	v_lshl_or_b32 v0, v11, 5, v7
	v_mov_b32_e32 v12, 0
	v_mov_b32_e32 v14, 0
	s_and_b32 s19, ttmp7, 0xffff
	s_lshr_b32 s20, ttmp7, 16
	v_lshrrev_b32_e32 v13, 3, v0
	s_mov_b32 s21, exec_lo
	s_wait_kmcnt 0x0
	s_lshr_b32 s22, s3, 8
	s_delay_alu instid0(VALU_DEP_1) | instid1(SALU_CYCLE_1)
	v_cmpx_gt_u32_e64 s22, v13
	s_cbranch_execz .LBB165_4
; %bb.1:
	s_mul_hi_u32 s3, s7, s19
	v_lshl_add_u32 v0, v11, 5, v7
	s_load_b128 s[12:15], s[0:1], 0x0
	s_add_co_i32 s3, s19, s3
	s_mul_i32 s24, s9, s19
	s_lshr_b32 s7, s3, s2
	s_mov_b32 s3, 0
	v_lshrrev_b32_e32 v0, 3, v0
	s_mov_b32 s25, s3
	v_lshlrev_b32_e32 v2, 1, v7
	s_mul_u64 s[24:25], s[24:25], 36
	s_mul_hi_u32 s11, s11, s20
	v_mad_co_u64_u32 v[0:1], null, 0x120, v0, s[24:25]
	s_mul_i32 s2, s17, s20
	s_add_co_i32 s9, s20, s11
	v_and_b32_e32 v4, 14, v2
	s_mul_u64 s[26:27], s[2:3], 36
	s_lshr_b32 s9, s9, s23
	v_and_b32_e32 v8, 7, v7
	v_mad_co_u64_u32 v[2:3], null, s2, 36, v[0:1]
	s_mul_i32 s7, s7, s8
	s_mul_i32 s11, s9, s16
	s_wait_kmcnt 0x0
	s_add_nc_u64 s[8:9], s[14:15], s[26:27]
	v_dual_mov_b32 v6, 0 :: v_dual_lshlrev_b32 v5, 3, v13
	s_add_nc_u64 s[8:9], s[8:9], s[24:25]
	v_lshlrev_b32_e32 v10, 1, v4
	v_mad_co_u64_u32 v[0:1], null, v8, 36, s[8:9]
	v_mad_co_u64_u32 v[8:9], null, v8, 36, v[2:3]
	;; [unrolled: 1-line block ×4, first 2 shown]
	s_mul_i32 s4, s4, ttmp9
	v_add_nc_u32_e32 v15, s5, v5
	v_add_co_u32 v4, vcc_lo, s14, v8
	s_delay_alu instid0(VALU_DEP_1) | instskip(SKIP_1) | instid1(VALU_DEP_3)
	v_add_co_ci_u32_e64 v8, null, s15, v9, vcc_lo
	v_lshl_add_u32 v16, s5, 2, v5
	v_add_co_u32 v4, vcc_lo, v4, 16
	v_lshl_add_u32 v17, s5, 1, v5
	s_wait_alu 0xfffd
	v_add_co_ci_u32_e64 v5, null, 0, v8, vcc_lo
	v_lshlrev_b32_e32 v18, 1, v10
	v_dual_mov_b32 v8, 0 :: v_dual_mov_b32 v9, 0
	v_mov_b32_e32 v10, 0
	v_mov_b32_e32 v12, 0
	;; [unrolled: 1-line block ×3, first 2 shown]
	s_wait_alu 0xfffe
	s_add_co_i32 s7, s7, s4
	s_delay_alu instid0(SALU_CYCLE_1)
	s_add_co_i32 s7, s11, s7
.LBB165_2:                              ; =>This Inner Loop Header: Depth=1
	s_delay_alu instid0(SALU_CYCLE_1)
	v_add_nc_u32_e32 v19, s7, v13
	s_getpc_b64 s[4:5]
	s_wait_alu 0xfffe
	s_sext_i32_i16 s5, s5
	s_add_co_u32 s4, s4, _ZL11iq2xxs_grid@rel32@lo+12
	s_wait_alu 0xfffe
	s_add_co_ci_u32 s5, s5, _ZL11iq2xxs_grid@rel32@hi+24
	v_add_nc_u32_e32 v13, 4, v13
	v_mad_co_i64_i32 v[29:30], null, 0x42, v19, s[12:13]
	s_delay_alu instid0(VALU_DEP_1) | instskip(SKIP_1) | instid1(VALU_DEP_2)
	v_add_co_u32 v19, vcc_lo, v29, v18
	s_wait_alu 0xfffd
	v_add_co_ci_u32_e64 v20, null, 0, v30, vcc_lo
	global_load_b64 v[25:26], v[19:20], off offset:2
	s_wait_loadcnt 0x0
	v_and_b32_e32 v19, 0xff, v25
	v_and_b32_e32 v21, 0xff, v26
	s_delay_alu instid0(VALU_DEP_2) | instskip(NEXT) | instid1(VALU_DEP_2)
	v_lshlrev_b32_e32 v19, 3, v19
	v_bcnt_u32_b32 v22, v21, 0
	global_load_b64 v[19:20], v19, s[4:5]
	v_and_b32_e32 v22, 1, v22
	s_delay_alu instid0(VALU_DEP_1) | instskip(NEXT) | instid1(VALU_DEP_1)
	v_lshlrev_b32_e32 v22, 7, v22
	v_xor_b32_e32 v21, v22, v21
	s_delay_alu instid0(VALU_DEP_1) | instskip(NEXT) | instid1(VALU_DEP_1)
	v_mul_lo_u32 v21, 0x1010101, v21
	v_and_b32_e32 v22, 0x8040201, v21
	s_delay_alu instid0(VALU_DEP_1) | instskip(SKIP_1) | instid1(VALU_DEP_2)
	v_lshrrev_b16 v23, 8, v22
	v_lshrrev_b32_e32 v22, 24, v22
	v_cmp_ne_u16_e64 s2, 0, v23
	s_delay_alu instid0(VALU_DEP_2)
	v_cmp_ne_u16_e32 vcc_lo, 0, v22
	v_lshrrev_b32_e32 v22, 18, v21
	v_bfe_i32 v23, v21, 0, 1
	s_wait_alu 0xf1ff
	v_cndmask_b32_e64 v27, 0, -1, s2
	s_wait_alu 0xfffd
	v_cndmask_b32_e64 v31, 0, -1, vcc_lo
	v_bfe_i32 v22, v22, 0, 1
	v_and_b32_e32 v24, 0xff, v23
	v_lshlrev_b16 v23, 8, v23
	v_lshlrev_b16 v27, 8, v27
	;; [unrolled: 1-line block ×3, first 2 shown]
	v_and_b32_e32 v28, 0xff, v22
	v_lshlrev_b16 v22, 8, v22
	s_delay_alu instid0(VALU_DEP_4) | instskip(NEXT) | instid1(VALU_DEP_3)
	v_or_b32_e32 v24, v24, v27
	v_or_b32_e32 v28, v28, v31
	s_delay_alu instid0(VALU_DEP_2) | instskip(NEXT) | instid1(VALU_DEP_2)
	v_and_b32_e32 v24, 0xffff, v24
	v_lshlrev_b32_e32 v28, 16, v28
	s_delay_alu instid0(VALU_DEP_1) | instskip(SKIP_1) | instid1(VALU_DEP_1)
	v_or_b32_e32 v24, v24, v28
	s_wait_loadcnt 0x0
	v_xor_b32_e32 v19, v19, v24
	s_delay_alu instid0(VALU_DEP_1) | instskip(SKIP_2) | instid1(VALU_DEP_2)
	v_lshrrev_b32_e32 v24, 16, v19
	v_and_b32_e32 v28, 0xffffff00, v19
	v_lshlrev_b16 v19, 8, v19
	v_sub_nc_i16 v27, v28, v27 clamp
	s_delay_alu instid0(VALU_DEP_2) | instskip(SKIP_2) | instid1(VALU_DEP_3)
	v_sub_nc_i16 v19, v19, v23 clamp
	v_and_b32_e32 v23, 0xffffff00, v24
	v_lshlrev_b16 v24, 8, v24
	v_perm_b32 v19, v19, v27, 0xc0c0105
	s_delay_alu instid0(VALU_DEP_3) | instskip(NEXT) | instid1(VALU_DEP_3)
	v_sub_nc_i16 v23, v23, v31 clamp
	v_sub_nc_i16 v22, v24, v22 clamp
	s_delay_alu instid0(VALU_DEP_1) | instskip(NEXT) | instid1(VALU_DEP_1)
	v_perm_b32 v22, v22, v23, 0xc0c0105
	v_lshl_or_b32 v19, v22, 16, v19
	v_and_b32_e32 v22, 0x80402010, v21
	v_lshrrev_b32_e32 v21, 22, v21
	s_delay_alu instid0(VALU_DEP_2) | instskip(SKIP_2) | instid1(VALU_DEP_4)
	v_lshrrev_b16 v23, 8, v22
	v_lshrrev_b32_e32 v24, 24, v22
	v_lshrrev_b16 v22, 4, v22
	v_bfe_i32 v21, v21, 0, 1
	s_delay_alu instid0(VALU_DEP_4) | instskip(NEXT) | instid1(VALU_DEP_4)
	v_cmp_ne_u16_e64 s2, 0, v23
	v_cmp_ne_u16_e32 vcc_lo, 0, v24
	s_delay_alu instid0(VALU_DEP_4) | instskip(NEXT) | instid1(VALU_DEP_4)
	v_bfe_i32 v22, v22, 0, 1
	v_and_b32_e32 v27, 0xff, v21
	v_lshlrev_b16 v21, 8, v21
	s_wait_alu 0xf1ff
	v_cndmask_b32_e64 v24, 0, -1, s2
	s_wait_alu 0xfffd
	v_cndmask_b32_e64 v28, 0, -1, vcc_lo
	v_and_b32_e32 v23, 0xff, v22
	v_lshlrev_b16 v22, 8, v22
	v_lshlrev_b16 v24, 8, v24
	s_delay_alu instid0(VALU_DEP_4) | instskip(NEXT) | instid1(VALU_DEP_2)
	v_lshlrev_b16 v28, 8, v28
	v_or_b32_e32 v23, v23, v24
	s_delay_alu instid0(VALU_DEP_2) | instskip(NEXT) | instid1(VALU_DEP_2)
	v_or_b32_e32 v27, v27, v28
	v_and_b32_e32 v23, 0xffff, v23
	s_delay_alu instid0(VALU_DEP_2) | instskip(NEXT) | instid1(VALU_DEP_1)
	v_lshlrev_b32_e32 v27, 16, v27
	v_or_b32_e32 v23, v23, v27
	s_delay_alu instid0(VALU_DEP_1) | instskip(NEXT) | instid1(VALU_DEP_1)
	v_xor_b32_e32 v20, v20, v23
	v_lshrrev_b32_e32 v23, 16, v20
	v_and_b32_e32 v27, 0xffffff00, v20
	v_lshlrev_b16 v20, 8, v20
	s_delay_alu instid0(VALU_DEP_2) | instskip(NEXT) | instid1(VALU_DEP_2)
	v_sub_nc_i16 v24, v27, v24 clamp
	v_sub_nc_i16 v20, v20, v22 clamp
	v_and_b32_e32 v22, 0xffffff00, v23
	v_lshlrev_b16 v23, 8, v23
	s_delay_alu instid0(VALU_DEP_3) | instskip(NEXT) | instid1(VALU_DEP_3)
	v_perm_b32 v20, v20, v24, 0xc0c0105
	v_sub_nc_i16 v22, v22, v28 clamp
	s_delay_alu instid0(VALU_DEP_3) | instskip(SKIP_1) | instid1(VALU_DEP_2)
	v_sub_nc_i16 v21, v23, v21 clamp
	v_bfe_u32 v23, v26, 7, 8
	v_perm_b32 v21, v21, v22, 0xc0c0105
	s_delay_alu instid0(VALU_DEP_2) | instskip(NEXT) | instid1(VALU_DEP_2)
	v_bcnt_u32_b32 v24, v23, 0
	v_lshl_or_b32 v20, v21, 16, v20
	v_lshrrev_b32_e32 v21, 5, v25
	s_delay_alu instid0(VALU_DEP_3) | instskip(NEXT) | instid1(VALU_DEP_2)
	v_and_b32_e32 v24, 1, v24
	v_and_b32_e32 v21, 0x7f8, v21
	s_delay_alu instid0(VALU_DEP_2) | instskip(SKIP_2) | instid1(VALU_DEP_1)
	v_lshlrev_b32_e32 v24, 7, v24
	global_load_b64 v[21:22], v21, s[4:5]
	v_xor_b32_e32 v23, v24, v23
	v_mul_lo_u32 v23, 0x1010101, v23
	s_delay_alu instid0(VALU_DEP_1) | instskip(NEXT) | instid1(VALU_DEP_1)
	v_and_b32_e32 v24, 0x8040201, v23
	v_lshrrev_b16 v27, 8, v24
	v_lshrrev_b32_e32 v24, 24, v24
	s_delay_alu instid0(VALU_DEP_2) | instskip(NEXT) | instid1(VALU_DEP_2)
	v_cmp_ne_u16_e64 s2, 0, v27
	v_cmp_ne_u16_e32 vcc_lo, 0, v24
	v_lshrrev_b32_e32 v24, 18, v23
	v_bfe_i32 v27, v23, 0, 1
	s_wait_alu 0xf1ff
	v_cndmask_b32_e64 v31, 0, -1, s2
	s_wait_alu 0xfffd
	v_cndmask_b32_e64 v33, 0, -1, vcc_lo
	v_bfe_i32 v24, v24, 0, 1
	v_and_b32_e32 v28, 0xff, v27
	v_lshlrev_b16 v27, 8, v27
	v_lshlrev_b16 v31, 8, v31
	;; [unrolled: 1-line block ×3, first 2 shown]
	v_and_b32_e32 v32, 0xff, v24
	v_lshlrev_b16 v24, 8, v24
	s_delay_alu instid0(VALU_DEP_4) | instskip(NEXT) | instid1(VALU_DEP_3)
	v_or_b32_e32 v28, v28, v31
	v_or_b32_e32 v32, v32, v33
	s_delay_alu instid0(VALU_DEP_2) | instskip(NEXT) | instid1(VALU_DEP_2)
	v_and_b32_e32 v28, 0xffff, v28
	v_lshlrev_b32_e32 v32, 16, v32
	s_delay_alu instid0(VALU_DEP_1) | instskip(SKIP_1) | instid1(VALU_DEP_1)
	v_or_b32_e32 v28, v28, v32
	s_wait_loadcnt 0x0
	v_xor_b32_e32 v21, v21, v28
	s_delay_alu instid0(VALU_DEP_1) | instskip(SKIP_2) | instid1(VALU_DEP_2)
	v_lshrrev_b32_e32 v28, 16, v21
	v_and_b32_e32 v32, 0xffffff00, v21
	v_lshlrev_b16 v21, 8, v21
	v_sub_nc_i16 v31, v32, v31 clamp
	s_delay_alu instid0(VALU_DEP_2) | instskip(SKIP_2) | instid1(VALU_DEP_3)
	v_sub_nc_i16 v21, v21, v27 clamp
	v_and_b32_e32 v27, 0xffffff00, v28
	v_lshlrev_b16 v28, 8, v28
	v_perm_b32 v21, v21, v31, 0xc0c0105
	s_delay_alu instid0(VALU_DEP_3) | instskip(NEXT) | instid1(VALU_DEP_3)
	v_sub_nc_i16 v27, v27, v33 clamp
	v_sub_nc_i16 v24, v28, v24 clamp
	s_delay_alu instid0(VALU_DEP_1) | instskip(NEXT) | instid1(VALU_DEP_1)
	v_perm_b32 v24, v24, v27, 0xc0c0105
	v_lshl_or_b32 v21, v24, 16, v21
	v_and_b32_e32 v24, 0x80402010, v23
	v_lshrrev_b32_e32 v23, 22, v23
	s_delay_alu instid0(VALU_DEP_2) | instskip(SKIP_2) | instid1(VALU_DEP_4)
	v_lshrrev_b16 v27, 8, v24
	v_lshrrev_b32_e32 v28, 24, v24
	v_lshrrev_b16 v24, 4, v24
	v_bfe_i32 v23, v23, 0, 1
	s_delay_alu instid0(VALU_DEP_4) | instskip(NEXT) | instid1(VALU_DEP_4)
	v_cmp_ne_u16_e64 s2, 0, v27
	v_cmp_ne_u16_e32 vcc_lo, 0, v28
	s_delay_alu instid0(VALU_DEP_4) | instskip(NEXT) | instid1(VALU_DEP_4)
	v_bfe_i32 v24, v24, 0, 1
	v_and_b32_e32 v31, 0xff, v23
	v_lshlrev_b16 v23, 8, v23
	s_wait_alu 0xf1ff
	v_cndmask_b32_e64 v28, 0, -1, s2
	s_wait_alu 0xfffd
	v_cndmask_b32_e64 v32, 0, -1, vcc_lo
	v_and_b32_e32 v27, 0xff, v24
	v_lshlrev_b16 v24, 8, v24
	v_lshlrev_b16 v28, 8, v28
	s_delay_alu instid0(VALU_DEP_4) | instskip(NEXT) | instid1(VALU_DEP_2)
	v_lshlrev_b16 v32, 8, v32
	v_or_b32_e32 v27, v27, v28
	s_delay_alu instid0(VALU_DEP_2) | instskip(NEXT) | instid1(VALU_DEP_2)
	v_or_b32_e32 v31, v31, v32
	v_and_b32_e32 v27, 0xffff, v27
	s_delay_alu instid0(VALU_DEP_2) | instskip(NEXT) | instid1(VALU_DEP_1)
	v_lshlrev_b32_e32 v31, 16, v31
	v_or_b32_e32 v27, v27, v31
	s_delay_alu instid0(VALU_DEP_1) | instskip(NEXT) | instid1(VALU_DEP_1)
	v_xor_b32_e32 v22, v22, v27
	v_lshrrev_b32_e32 v27, 16, v22
	v_and_b32_e32 v31, 0xffffff00, v22
	v_lshlrev_b16 v22, 8, v22
	s_delay_alu instid0(VALU_DEP_2) | instskip(NEXT) | instid1(VALU_DEP_2)
	v_sub_nc_i16 v28, v31, v28 clamp
	v_sub_nc_i16 v22, v22, v24 clamp
	v_and_b32_e32 v24, 0xffffff00, v27
	v_lshlrev_b16 v27, 8, v27
	s_delay_alu instid0(VALU_DEP_3) | instskip(NEXT) | instid1(VALU_DEP_3)
	v_perm_b32 v22, v22, v28, 0xc0c0105
	v_sub_nc_i16 v24, v24, v32 clamp
	s_delay_alu instid0(VALU_DEP_3) | instskip(SKIP_1) | instid1(VALU_DEP_2)
	v_sub_nc_i16 v23, v27, v23 clamp
	v_bfe_u32 v27, v26, 14, 8
	v_perm_b32 v23, v23, v24, 0xc0c0105
	s_delay_alu instid0(VALU_DEP_2) | instskip(NEXT) | instid1(VALU_DEP_2)
	v_bcnt_u32_b32 v28, v27, 0
	v_lshl_or_b32 v22, v23, 16, v22
	v_lshrrev_b32_e32 v23, 13, v25
	s_delay_alu instid0(VALU_DEP_3) | instskip(SKIP_1) | instid1(VALU_DEP_3)
	v_and_b32_e32 v28, 1, v28
	v_lshrrev_b32_e32 v25, 21, v25
	v_and_b32_e32 v23, 0x7f8, v23
	s_delay_alu instid0(VALU_DEP_3) | instskip(NEXT) | instid1(VALU_DEP_3)
	v_lshlrev_b32_e32 v28, 7, v28
	v_and_b32_e32 v25, 0x7f8, v25
	global_load_b64 v[23:24], v23, s[4:5]
	v_xor_b32_e32 v27, v28, v27
	s_delay_alu instid0(VALU_DEP_1) | instskip(NEXT) | instid1(VALU_DEP_1)
	v_mul_lo_u32 v27, 0x1010101, v27
	v_and_b32_e32 v28, 0x8040201, v27
	s_delay_alu instid0(VALU_DEP_1) | instskip(SKIP_1) | instid1(VALU_DEP_2)
	v_lshrrev_b16 v31, 8, v28
	v_lshrrev_b32_e32 v28, 24, v28
	v_cmp_ne_u16_e64 s2, 0, v31
	s_delay_alu instid0(VALU_DEP_2)
	v_cmp_ne_u16_e32 vcc_lo, 0, v28
	v_lshrrev_b32_e32 v28, 18, v27
	v_bfe_i32 v31, v27, 0, 1
	s_wait_alu 0xf1ff
	v_cndmask_b32_e64 v33, 0, -1, s2
	s_wait_alu 0xfffd
	v_cndmask_b32_e64 v35, 0, -1, vcc_lo
	v_bfe_i32 v28, v28, 0, 1
	v_and_b32_e32 v32, 0xff, v31
	v_lshlrev_b16 v31, 8, v31
	v_lshlrev_b16 v33, 8, v33
	;; [unrolled: 1-line block ×3, first 2 shown]
	v_and_b32_e32 v34, 0xff, v28
	v_lshlrev_b16 v28, 8, v28
	s_delay_alu instid0(VALU_DEP_4) | instskip(NEXT) | instid1(VALU_DEP_3)
	v_or_b32_e32 v32, v32, v33
	v_or_b32_e32 v34, v34, v35
	s_delay_alu instid0(VALU_DEP_2) | instskip(NEXT) | instid1(VALU_DEP_2)
	v_and_b32_e32 v32, 0xffff, v32
	v_lshlrev_b32_e32 v34, 16, v34
	s_delay_alu instid0(VALU_DEP_1) | instskip(SKIP_1) | instid1(VALU_DEP_1)
	v_or_b32_e32 v32, v32, v34
	s_wait_loadcnt 0x0
	v_xor_b32_e32 v23, v23, v32
	s_delay_alu instid0(VALU_DEP_1) | instskip(SKIP_2) | instid1(VALU_DEP_2)
	v_lshrrev_b32_e32 v32, 16, v23
	v_and_b32_e32 v34, 0xffffff00, v23
	v_lshlrev_b16 v23, 8, v23
	v_sub_nc_i16 v33, v34, v33 clamp
	s_delay_alu instid0(VALU_DEP_2) | instskip(SKIP_2) | instid1(VALU_DEP_3)
	v_sub_nc_i16 v23, v23, v31 clamp
	v_and_b32_e32 v31, 0xffffff00, v32
	v_lshlrev_b16 v32, 8, v32
	v_perm_b32 v23, v23, v33, 0xc0c0105
	s_delay_alu instid0(VALU_DEP_3) | instskip(NEXT) | instid1(VALU_DEP_3)
	v_sub_nc_i16 v31, v31, v35 clamp
	v_sub_nc_i16 v28, v32, v28 clamp
	s_delay_alu instid0(VALU_DEP_1) | instskip(NEXT) | instid1(VALU_DEP_1)
	v_perm_b32 v28, v28, v31, 0xc0c0105
	v_lshl_or_b32 v23, v28, 16, v23
	v_and_b32_e32 v28, 0x80402010, v27
	v_lshrrev_b32_e32 v27, 22, v27
	s_delay_alu instid0(VALU_DEP_2) | instskip(SKIP_2) | instid1(VALU_DEP_4)
	v_lshrrev_b16 v31, 8, v28
	v_lshrrev_b32_e32 v32, 24, v28
	v_lshrrev_b16 v28, 4, v28
	v_bfe_i32 v27, v27, 0, 1
	s_delay_alu instid0(VALU_DEP_4) | instskip(NEXT) | instid1(VALU_DEP_4)
	v_cmp_ne_u16_e64 s2, 0, v31
	v_cmp_ne_u16_e32 vcc_lo, 0, v32
	s_delay_alu instid0(VALU_DEP_4) | instskip(NEXT) | instid1(VALU_DEP_4)
	v_bfe_i32 v28, v28, 0, 1
	v_and_b32_e32 v33, 0xff, v27
	v_lshlrev_b16 v27, 8, v27
	s_wait_alu 0xf1ff
	v_cndmask_b32_e64 v32, 0, -1, s2
	s_wait_alu 0xfffd
	v_cndmask_b32_e64 v34, 0, -1, vcc_lo
	v_and_b32_e32 v31, 0xff, v28
	v_lshlrev_b16 v28, 8, v28
	v_lshlrev_b16 v32, 8, v32
	s_delay_alu instid0(VALU_DEP_4) | instskip(NEXT) | instid1(VALU_DEP_2)
	v_lshlrev_b16 v34, 8, v34
	v_or_b32_e32 v31, v31, v32
	s_delay_alu instid0(VALU_DEP_2) | instskip(NEXT) | instid1(VALU_DEP_2)
	v_or_b32_e32 v33, v33, v34
	v_and_b32_e32 v31, 0xffff, v31
	s_delay_alu instid0(VALU_DEP_2) | instskip(NEXT) | instid1(VALU_DEP_1)
	v_lshlrev_b32_e32 v33, 16, v33
	v_or_b32_e32 v31, v31, v33
	s_delay_alu instid0(VALU_DEP_1) | instskip(NEXT) | instid1(VALU_DEP_1)
	v_xor_b32_e32 v24, v24, v31
	v_lshrrev_b32_e32 v31, 16, v24
	v_and_b32_e32 v33, 0xffffff00, v24
	v_lshlrev_b16 v24, 8, v24
	s_delay_alu instid0(VALU_DEP_2) | instskip(NEXT) | instid1(VALU_DEP_2)
	v_sub_nc_i16 v32, v33, v32 clamp
	v_sub_nc_i16 v24, v24, v28 clamp
	v_and_b32_e32 v28, 0xffffff00, v31
	v_lshlrev_b16 v31, 8, v31
	s_delay_alu instid0(VALU_DEP_3) | instskip(NEXT) | instid1(VALU_DEP_3)
	v_perm_b32 v24, v24, v32, 0xc0c0105
	v_sub_nc_i16 v28, v28, v34 clamp
	s_delay_alu instid0(VALU_DEP_3) | instskip(NEXT) | instid1(VALU_DEP_1)
	v_sub_nc_i16 v27, v31, v27 clamp
	v_perm_b32 v27, v27, v28, 0xc0c0105
	s_delay_alu instid0(VALU_DEP_1) | instskip(SKIP_3) | instid1(VALU_DEP_2)
	v_lshl_or_b32 v24, v27, 16, v24
	global_load_b64 v[27:28], v25, s[4:5]
	v_bfe_u32 v25, v26, 21, 8
	v_lshrrev_b32_e32 v26, 27, v26
	v_bcnt_u32_b32 v31, v25, 0
	s_delay_alu instid0(VALU_DEP_1) | instskip(NEXT) | instid1(VALU_DEP_1)
	v_and_b32_e32 v31, 1, v31
	v_lshlrev_b32_e32 v31, 7, v31
	s_delay_alu instid0(VALU_DEP_1) | instskip(NEXT) | instid1(VALU_DEP_1)
	v_xor_b32_e32 v25, v31, v25
	v_mul_lo_u32 v31, 0x1010101, v25
	s_delay_alu instid0(VALU_DEP_1) | instskip(NEXT) | instid1(VALU_DEP_1)
	v_and_b32_e32 v25, 0x8040201, v31
	v_lshrrev_b16 v32, 8, v25
	v_lshrrev_b32_e32 v25, 24, v25
	s_delay_alu instid0(VALU_DEP_2) | instskip(NEXT) | instid1(VALU_DEP_2)
	v_cmp_ne_u16_e64 s2, 0, v32
	v_cmp_ne_u16_e32 vcc_lo, 0, v25
	v_lshrrev_b32_e32 v25, 18, v31
	v_bfe_i32 v32, v31, 0, 1
	s_wait_alu 0xf1ff
	v_cndmask_b32_e64 v34, 0, -1, s2
	s_wait_alu 0xfffd
	v_cndmask_b32_e64 v36, 0, -1, vcc_lo
	v_bfe_i32 v25, v25, 0, 1
	v_and_b32_e32 v33, 0xff, v32
	v_lshlrev_b16 v32, 8, v32
	v_lshlrev_b16 v34, 8, v34
	;; [unrolled: 1-line block ×3, first 2 shown]
	v_and_b32_e32 v35, 0xff, v25
	v_lshlrev_b16 v25, 8, v25
	s_delay_alu instid0(VALU_DEP_4) | instskip(NEXT) | instid1(VALU_DEP_3)
	v_or_b32_e32 v33, v33, v34
	v_or_b32_e32 v35, v35, v36
	s_delay_alu instid0(VALU_DEP_2) | instskip(NEXT) | instid1(VALU_DEP_2)
	v_and_b32_e32 v33, 0xffff, v33
	v_lshlrev_b32_e32 v35, 16, v35
	s_delay_alu instid0(VALU_DEP_1) | instskip(SKIP_1) | instid1(VALU_DEP_1)
	v_or_b32_e32 v33, v33, v35
	s_wait_loadcnt 0x0
	v_xor_b32_e32 v27, v27, v33
	s_delay_alu instid0(VALU_DEP_1) | instskip(SKIP_2) | instid1(VALU_DEP_2)
	v_lshrrev_b32_e32 v33, 16, v27
	v_and_b32_e32 v35, 0xffffff00, v27
	v_lshlrev_b16 v27, 8, v27
	v_sub_nc_i16 v34, v35, v34 clamp
	s_delay_alu instid0(VALU_DEP_2) | instskip(SKIP_2) | instid1(VALU_DEP_3)
	v_sub_nc_i16 v27, v27, v32 clamp
	v_and_b32_e32 v32, 0xffffff00, v33
	v_lshlrev_b16 v33, 8, v33
	v_perm_b32 v27, v27, v34, 0xc0c0105
	s_delay_alu instid0(VALU_DEP_3) | instskip(NEXT) | instid1(VALU_DEP_3)
	v_sub_nc_i16 v32, v32, v36 clamp
	v_sub_nc_i16 v25, v33, v25 clamp
	s_delay_alu instid0(VALU_DEP_1) | instskip(NEXT) | instid1(VALU_DEP_1)
	v_perm_b32 v25, v25, v32, 0xc0c0105
	v_lshl_or_b32 v25, v25, 16, v27
	v_and_b32_e32 v27, 0x80402010, v31
	v_lshrrev_b32_e32 v31, 22, v31
	s_delay_alu instid0(VALU_DEP_2) | instskip(SKIP_2) | instid1(VALU_DEP_4)
	v_lshrrev_b16 v32, 8, v27
	v_lshrrev_b32_e32 v33, 24, v27
	v_lshrrev_b16 v27, 4, v27
	v_bfe_i32 v31, v31, 0, 1
	s_delay_alu instid0(VALU_DEP_4) | instskip(NEXT) | instid1(VALU_DEP_4)
	v_cmp_ne_u16_e64 s2, 0, v32
	v_cmp_ne_u16_e32 vcc_lo, 0, v33
	s_delay_alu instid0(VALU_DEP_4) | instskip(NEXT) | instid1(VALU_DEP_4)
	v_bfe_i32 v27, v27, 0, 1
	v_and_b32_e32 v34, 0xff, v31
	v_lshlrev_b16 v31, 8, v31
	s_wait_alu 0xf1ff
	v_cndmask_b32_e64 v33, 0, -1, s2
	s_wait_alu 0xfffd
	v_cndmask_b32_e64 v35, 0, -1, vcc_lo
	v_and_b32_e32 v32, 0xff, v27
	v_lshlrev_b16 v27, 8, v27
	v_lshlrev_b16 v33, 8, v33
	s_delay_alu instid0(VALU_DEP_4) | instskip(NEXT) | instid1(VALU_DEP_2)
	v_lshlrev_b16 v35, 8, v35
	v_or_b32_e32 v32, v32, v33
	s_delay_alu instid0(VALU_DEP_2) | instskip(NEXT) | instid1(VALU_DEP_2)
	v_or_b32_e32 v34, v34, v35
	v_and_b32_e32 v32, 0xffff, v32
	s_delay_alu instid0(VALU_DEP_2) | instskip(NEXT) | instid1(VALU_DEP_1)
	v_lshlrev_b32_e32 v34, 16, v34
	v_or_b32_e32 v32, v32, v34
	s_delay_alu instid0(VALU_DEP_1) | instskip(NEXT) | instid1(VALU_DEP_1)
	v_xor_b32_e32 v28, v28, v32
	v_lshrrev_b32_e32 v32, 16, v28
	v_and_b32_e32 v34, 0xffffff00, v28
	v_lshlrev_b16 v28, 8, v28
	s_delay_alu instid0(VALU_DEP_2) | instskip(NEXT) | instid1(VALU_DEP_2)
	v_sub_nc_i16 v33, v34, v33 clamp
	v_sub_nc_i16 v27, v28, v27 clamp
	v_and_b32_e32 v28, 0xffffff00, v32
	v_lshlrev_b16 v32, 8, v32
	s_delay_alu instid0(VALU_DEP_3) | instskip(NEXT) | instid1(VALU_DEP_3)
	v_perm_b32 v27, v27, v33, 0xc0c0105
	v_sub_nc_i16 v28, v28, v35 clamp
	s_delay_alu instid0(VALU_DEP_3) | instskip(NEXT) | instid1(VALU_DEP_1)
	v_sub_nc_i16 v31, v32, v31 clamp
	v_perm_b32 v28, v31, v28, 0xc0c0105
	s_delay_alu instid0(VALU_DEP_1)
	v_lshl_or_b32 v27, v28, 16, v27
	v_or_b32_e32 v28, 1, v26
	global_load_u16 v26, v[29:30], off
	s_clause 0x2
	global_load_b128 v[29:32], v[4:5], off offset:-16
	global_load_b32 v37, v[4:5], off offset:16
	global_load_b128 v[33:36], v[4:5], off
	v_add_co_u32 v4, vcc_lo, 0x480, v4
	s_wait_alu 0xfffd
	v_add_co_ci_u32_e64 v5, null, 0, v5, vcc_lo
	v_cmp_le_u32_e32 vcc_lo, s22, v13
	s_or_b32 s3, vcc_lo, s3
	s_wait_loadcnt 0x2
	v_dot4_i32_iu8 v30, v19, v30, 0 neg_lo:[1,1,0]
	v_cvt_f32_f16_e32 v26, v26
	v_cvt_f32_f16_e32 v29, v29
	s_delay_alu instid0(VALU_DEP_3) | instskip(NEXT) | instid1(VALU_DEP_2)
	v_dot4_i32_iu8 v30, v20, v31, v30 neg_lo:[1,1,0]
	v_mul_f32_e32 v29, v26, v29
	s_delay_alu instid0(VALU_DEP_2) | instskip(SKIP_1) | instid1(VALU_DEP_1)
	v_dot4_i32_iu8 v30, v21, v32, v30 neg_lo:[1,1,0]
	s_wait_loadcnt 0x0
	v_dot4_i32_iu8 v30, v22, v33, v30 neg_lo:[1,1,0]
	s_delay_alu instid0(VALU_DEP_1) | instskip(SKIP_2) | instid1(VALU_DEP_3)
	v_dot4_i32_iu8 v30, v23, v34, v30 neg_lo:[1,1,0]
	v_mad_co_u64_u32 v[33:34], null, v15, 36, v[0:1]
	v_add_nc_u32_e32 v15, 32, v15
	v_dot4_i32_iu8 v30, v24, v35, v30 neg_lo:[1,1,0]
	s_delay_alu instid0(VALU_DEP_1) | instskip(NEXT) | instid1(VALU_DEP_1)
	v_dot4_i32_iu8 v30, v25, v36, v30 neg_lo:[1,1,0]
	v_dot4_i32_iu8 v30, v27, v37, v30 neg_lo:[1,1,0]
	s_delay_alu instid0(VALU_DEP_1) | instskip(NEXT) | instid1(VALU_DEP_1)
	v_mul_lo_u32 v30, v30, v28
	v_ashrrev_i32_e32 v31, 31, v30
	s_delay_alu instid0(VALU_DEP_1) | instskip(NEXT) | instid1(VALU_DEP_1)
	v_lshrrev_b32_e32 v31, 29, v31
	v_add_nc_u32_e32 v30, v30, v31
	s_delay_alu instid0(VALU_DEP_1) | instskip(NEXT) | instid1(VALU_DEP_1)
	v_ashrrev_i32_e32 v30, 3, v30
	v_cvt_f32_i32_e32 v30, v30
	s_delay_alu instid0(VALU_DEP_1)
	v_fmac_f32_e32 v14, v29, v30
	s_clause 0x2
	global_load_b128 v[29:32], v[33:34], off
	global_load_b32 v37, v[33:34], off offset:32
	global_load_b128 v[33:36], v[33:34], off offset:16
	s_wait_loadcnt 0x2
	v_dot4_i32_iu8 v30, v19, v30, 0 neg_lo:[1,1,0]
	v_cvt_f32_f16_e32 v29, v29
	s_delay_alu instid0(VALU_DEP_2) | instskip(NEXT) | instid1(VALU_DEP_2)
	v_dot4_i32_iu8 v30, v20, v31, v30 neg_lo:[1,1,0]
	v_mul_f32_e32 v29, v26, v29
	s_delay_alu instid0(VALU_DEP_2) | instskip(SKIP_1) | instid1(VALU_DEP_1)
	v_dot4_i32_iu8 v30, v21, v32, v30 neg_lo:[1,1,0]
	s_wait_loadcnt 0x0
	v_dot4_i32_iu8 v30, v22, v33, v30 neg_lo:[1,1,0]
	s_delay_alu instid0(VALU_DEP_1) | instskip(SKIP_2) | instid1(VALU_DEP_3)
	v_dot4_i32_iu8 v30, v23, v34, v30 neg_lo:[1,1,0]
	v_mad_co_u64_u32 v[33:34], null, v17, 36, v[0:1]
	v_add_nc_u32_e32 v17, 32, v17
	v_dot4_i32_iu8 v30, v24, v35, v30 neg_lo:[1,1,0]
	s_delay_alu instid0(VALU_DEP_1) | instskip(NEXT) | instid1(VALU_DEP_1)
	v_dot4_i32_iu8 v30, v25, v36, v30 neg_lo:[1,1,0]
	v_dot4_i32_iu8 v30, v27, v37, v30 neg_lo:[1,1,0]
	s_delay_alu instid0(VALU_DEP_1) | instskip(NEXT) | instid1(VALU_DEP_1)
	v_mul_lo_u32 v30, v30, v28
	v_ashrrev_i32_e32 v31, 31, v30
	s_delay_alu instid0(VALU_DEP_1) | instskip(NEXT) | instid1(VALU_DEP_1)
	v_lshrrev_b32_e32 v31, 29, v31
	v_add_nc_u32_e32 v30, v30, v31
	s_delay_alu instid0(VALU_DEP_1) | instskip(NEXT) | instid1(VALU_DEP_1)
	v_ashrrev_i32_e32 v30, 3, v30
	v_cvt_f32_i32_e32 v30, v30
	s_delay_alu instid0(VALU_DEP_1)
	v_fmac_f32_e32 v12, v29, v30
	s_clause 0x2
	global_load_b128 v[29:32], v[33:34], off
	global_load_b32 v37, v[33:34], off offset:32
	global_load_b128 v[33:36], v[33:34], off offset:16
	s_wait_loadcnt 0x2
	v_dot4_i32_iu8 v30, v19, v30, 0 neg_lo:[1,1,0]
	v_cvt_f32_f16_e32 v29, v29
	s_delay_alu instid0(VALU_DEP_2) | instskip(NEXT) | instid1(VALU_DEP_2)
	;; [unrolled: 33-line block ×4, first 2 shown]
	v_dot4_i32_iu8 v30, v20, v31, v30 neg_lo:[1,1,0]
	v_mul_f32_e32 v29, v26, v29
	s_delay_alu instid0(VALU_DEP_2) | instskip(SKIP_1) | instid1(VALU_DEP_1)
	v_dot4_i32_iu8 v30, v21, v32, v30 neg_lo:[1,1,0]
	s_wait_loadcnt 0x0
	v_dot4_i32_iu8 v30, v22, v33, v30 neg_lo:[1,1,0]
	s_delay_alu instid0(VALU_DEP_1) | instskip(SKIP_2) | instid1(VALU_DEP_3)
	v_dot4_i32_iu8 v30, v23, v34, v30 neg_lo:[1,1,0]
	v_mad_co_u64_u32 v[33:34], null, v2, 36, v[0:1]
	v_add_nc_u32_e32 v2, 32, v2
	v_dot4_i32_iu8 v30, v24, v35, v30 neg_lo:[1,1,0]
	s_delay_alu instid0(VALU_DEP_1) | instskip(NEXT) | instid1(VALU_DEP_1)
	v_dot4_i32_iu8 v30, v25, v36, v30 neg_lo:[1,1,0]
	v_dot4_i32_iu8 v30, v27, v37, v30 neg_lo:[1,1,0]
	s_delay_alu instid0(VALU_DEP_1) | instskip(NEXT) | instid1(VALU_DEP_1)
	v_mul_lo_u32 v30, v30, v28
	v_ashrrev_i32_e32 v31, 31, v30
	s_delay_alu instid0(VALU_DEP_1) | instskip(NEXT) | instid1(VALU_DEP_1)
	v_lshrrev_b32_e32 v31, 29, v31
	v_add_nc_u32_e32 v30, v30, v31
	s_delay_alu instid0(VALU_DEP_1) | instskip(NEXT) | instid1(VALU_DEP_1)
	v_ashrrev_i32_e32 v30, 3, v30
	v_cvt_f32_i32_e32 v30, v30
	s_delay_alu instid0(VALU_DEP_1)
	v_fmac_f32_e32 v8, v29, v30
	s_clause 0x2
	global_load_b128 v[29:32], v[33:34], off
	global_load_b32 v37, v[33:34], off offset:32
	global_load_b128 v[33:36], v[33:34], off offset:16
	s_wait_loadcnt 0x2
	v_dot4_i32_iu8 v19, v19, v30, 0 neg_lo:[1,1,0]
	s_delay_alu instid0(VALU_DEP_1) | instskip(NEXT) | instid1(VALU_DEP_1)
	v_dot4_i32_iu8 v19, v20, v31, v19 neg_lo:[1,1,0]
	v_dot4_i32_iu8 v19, v21, v32, v19 neg_lo:[1,1,0]
	s_wait_loadcnt 0x0
	s_delay_alu instid0(VALU_DEP_1) | instskip(NEXT) | instid1(VALU_DEP_1)
	v_dot4_i32_iu8 v19, v22, v33, v19 neg_lo:[1,1,0]
	v_dot4_i32_iu8 v19, v23, v34, v19 neg_lo:[1,1,0]
	s_delay_alu instid0(VALU_DEP_1) | instskip(NEXT) | instid1(VALU_DEP_1)
	v_dot4_i32_iu8 v19, v24, v35, v19 neg_lo:[1,1,0]
	v_dot4_i32_iu8 v19, v25, v36, v19 neg_lo:[1,1,0]
	s_delay_alu instid0(VALU_DEP_1) | instskip(NEXT) | instid1(VALU_DEP_1)
	v_dot4_i32_iu8 v19, v27, v37, v19 neg_lo:[1,1,0]
	v_mul_lo_u32 v19, v19, v28
	s_delay_alu instid0(VALU_DEP_1) | instskip(NEXT) | instid1(VALU_DEP_1)
	v_ashrrev_i32_e32 v20, 31, v19
	v_lshrrev_b32_e32 v20, 29, v20
	s_delay_alu instid0(VALU_DEP_1) | instskip(SKIP_1) | instid1(VALU_DEP_2)
	v_add_nc_u32_e32 v19, v19, v20
	v_cvt_f32_f16_e32 v20, v29
	v_ashrrev_i32_e32 v19, 3, v19
	s_delay_alu instid0(VALU_DEP_2) | instskip(NEXT) | instid1(VALU_DEP_2)
	v_mul_f32_e32 v20, v26, v20
	v_cvt_f32_i32_e32 v19, v19
	s_delay_alu instid0(VALU_DEP_1)
	v_fmac_f32_e32 v6, v20, v19
	s_wait_alu 0xfffe
	s_and_not1_b32 exec_lo, exec_lo, s3
	s_cbranch_execnz .LBB165_2
; %bb.3:
	s_or_b32 exec_lo, exec_lo, s3
.LBB165_4:
	s_delay_alu instid0(SALU_CYCLE_1)
	s_or_b32 exec_lo, exec_lo, s21
	s_mov_b32 s3, 0
	; wave barrier
	global_inv scope:SCOPE_SE
	s_mov_b32 s2, exec_lo
	v_cmpx_eq_u32_e32 0, v11
	s_cbranch_execz .LBB165_17
; %bb.5:
	v_mbcnt_lo_u32_b32 v4, -1, 0
	s_load_b64 s[0:1], s[0:1], 0x38
	s_mul_i32 s2, s10, s19
	s_mul_i32 s4, s18, s20
	s_wait_alu 0xfffe
	s_add_co_i32 s2, s2, ttmp9
	v_xor_b32_e32 v0, 16, v4
	v_xor_b32_e32 v1, 8, v4
	;; [unrolled: 1-line block ×3, first 2 shown]
	s_wait_alu 0xfffe
	s_add_co_i32 s2, s2, s4
	s_wait_alu 0xfffe
	s_lshl_b64 s[2:3], s[2:3], 2
	v_cmp_gt_i32_e32 vcc_lo, 32, v0
	s_wait_alu 0xfffd
	v_cndmask_b32_e32 v0, v4, v0, vcc_lo
	v_cmp_gt_i32_e32 vcc_lo, 32, v1
	s_wait_kmcnt 0x0
	s_wait_alu 0xfffe
	s_add_nc_u64 s[0:1], s[0:1], s[2:3]
	s_wait_alu 0xfffd
	v_cndmask_b32_e32 v1, v4, v1, vcc_lo
	s_delay_alu instid0(VALU_DEP_1)
	v_lshlrev_b32_e32 v1, 2, v1
	v_lshlrev_b32_e32 v0, 2, v0
	ds_bpermute_b32 v2, v0, v14
	s_wait_dscnt 0x0
	v_add_f32_e32 v3, v14, v2
	v_xor_b32_e32 v2, 4, v4
	ds_bpermute_b32 v5, v1, v3
	v_cmp_gt_i32_e32 vcc_lo, 32, v2
	s_wait_dscnt 0x0
	s_wait_alu 0xfffd
	v_dual_cndmask_b32 v2, v4, v2 :: v_dual_add_f32 v5, v3, v5
	s_delay_alu instid0(VALU_DEP_1)
	v_lshlrev_b32_e32 v2, 2, v2
	v_xor_b32_e32 v3, 2, v4
	ds_bpermute_b32 v11, v2, v5
	v_cmp_gt_i32_e32 vcc_lo, 32, v3
	s_wait_alu 0xfffd
	v_cndmask_b32_e32 v3, v4, v3, vcc_lo
	v_cmp_gt_i32_e32 vcc_lo, 32, v13
	s_wait_alu 0xfffd
	v_cndmask_b32_e32 v4, v4, v13, vcc_lo
	v_cmp_eq_u32_e32 vcc_lo, 0, v7
	s_delay_alu instid0(VALU_DEP_2)
	v_lshlrev_b32_e32 v4, 2, v4
	v_lshlrev_b32_e32 v3, 2, v3
	s_wait_dscnt 0x0
	v_add_f32_e32 v5, v5, v11
	ds_bpermute_b32 v11, v3, v5
	s_wait_dscnt 0x0
	v_add_f32_e32 v5, v5, v11
	ds_bpermute_b32 v11, v4, v5
	s_and_saveexec_b32 s2, vcc_lo
	s_cbranch_execz .LBB165_7
; %bb.6:
	s_wait_dscnt 0x0
	v_add_f32_e32 v5, v5, v11
	v_mov_b32_e32 v7, 0
	global_store_b32 v7, v5, s[0:1]
.LBB165_7:
	s_wait_alu 0xfffe
	s_or_b32 exec_lo, exec_lo, s2
	ds_bpermute_b32 v5, v0, v12
	s_wait_dscnt 0x0
	v_add_f32_e32 v5, v12, v5
	ds_bpermute_b32 v7, v1, v5
	s_wait_dscnt 0x0
	v_add_f32_e32 v5, v5, v7
	;; [unrolled: 3-line block ×4, first 2 shown]
	ds_bpermute_b32 v7, v4, v5
	s_and_saveexec_b32 s2, vcc_lo
	s_cbranch_execz .LBB165_9
; %bb.8:
	s_mov_b32 s7, 0
	s_wait_dscnt 0x0
	v_add_f32_e32 v5, v5, v7
	v_mov_b32_e32 v7, 0
	s_wait_alu 0xfffe
	s_lshl_b64 s[4:5], s[6:7], 2
	s_wait_alu 0xfffe
	s_add_nc_u64 s[4:5], s[0:1], s[4:5]
	global_store_b32 v7, v5, s[4:5]
.LBB165_9:
	s_wait_alu 0xfffe
	s_or_b32 exec_lo, exec_lo, s2
	ds_bpermute_b32 v5, v0, v10
	s_wait_dscnt 0x0
	v_add_f32_e32 v5, v10, v5
	ds_bpermute_b32 v7, v1, v5
	s_wait_dscnt 0x0
	v_add_f32_e32 v5, v5, v7
	;; [unrolled: 3-line block ×4, first 2 shown]
	ds_bpermute_b32 v7, v4, v5
	s_and_saveexec_b32 s2, vcc_lo
	s_cbranch_execz .LBB165_11
; %bb.10:
	s_lshl_b32 s4, s6, 1
	s_mov_b32 s5, 0
	s_wait_dscnt 0x0
	v_add_f32_e32 v5, v5, v7
	v_mov_b32_e32 v7, 0
	s_wait_alu 0xfffe
	s_lshl_b64 s[4:5], s[4:5], 2
	s_wait_alu 0xfffe
	s_add_nc_u64 s[4:5], s[0:1], s[4:5]
	global_store_b32 v7, v5, s[4:5]
.LBB165_11:
	s_wait_alu 0xfffe
	s_or_b32 exec_lo, exec_lo, s2
	ds_bpermute_b32 v5, v0, v9
	s_wait_dscnt 0x0
	v_add_f32_e32 v5, v9, v5
	ds_bpermute_b32 v7, v1, v5
	s_wait_dscnt 0x0
	v_add_f32_e32 v5, v5, v7
	ds_bpermute_b32 v7, v2, v5
	s_wait_dscnt 0x0
	v_add_f32_e32 v5, v5, v7
	ds_bpermute_b32 v7, v3, v5
	s_wait_dscnt 0x0
	v_add_f32_e32 v5, v5, v7
	ds_bpermute_b32 v7, v4, v5
	s_and_saveexec_b32 s2, vcc_lo
	s_cbranch_execz .LBB165_13
; %bb.12:
	s_mul_i32 s4, s6, 3
	s_mov_b32 s5, 0
	s_wait_dscnt 0x0
	v_add_f32_e32 v5, v5, v7
	v_mov_b32_e32 v7, 0
	s_wait_alu 0xfffe
	s_lshl_b64 s[4:5], s[4:5], 2
	s_wait_alu 0xfffe
	s_add_nc_u64 s[4:5], s[0:1], s[4:5]
	global_store_b32 v7, v5, s[4:5]
.LBB165_13:
	s_wait_alu 0xfffe
	s_or_b32 exec_lo, exec_lo, s2
	ds_bpermute_b32 v5, v0, v8
	s_wait_dscnt 0x0
	v_add_f32_e32 v5, v8, v5
	ds_bpermute_b32 v7, v1, v5
	s_wait_dscnt 0x0
	v_add_f32_e32 v5, v5, v7
	;; [unrolled: 3-line block ×4, first 2 shown]
	ds_bpermute_b32 v7, v4, v5
	s_and_saveexec_b32 s2, vcc_lo
	s_cbranch_execz .LBB165_15
; %bb.14:
	s_lshl_b32 s4, s6, 2
	s_mov_b32 s5, 0
	s_wait_dscnt 0x0
	v_add_f32_e32 v5, v5, v7
	v_mov_b32_e32 v7, 0
	s_wait_alu 0xfffe
	s_lshl_b64 s[4:5], s[4:5], 2
	s_wait_alu 0xfffe
	s_add_nc_u64 s[4:5], s[0:1], s[4:5]
	global_store_b32 v7, v5, s[4:5]
.LBB165_15:
	s_wait_alu 0xfffe
	s_or_b32 exec_lo, exec_lo, s2
	ds_bpermute_b32 v0, v0, v6
	s_wait_dscnt 0x0
	v_add_f32_e32 v0, v6, v0
	ds_bpermute_b32 v1, v1, v0
	s_wait_dscnt 0x0
	v_add_f32_e32 v0, v0, v1
	;; [unrolled: 3-line block ×4, first 2 shown]
	ds_bpermute_b32 v1, v4, v0
	s_and_b32 exec_lo, exec_lo, vcc_lo
	s_cbranch_execz .LBB165_17
; %bb.16:
	s_mul_i32 s2, s6, 5
	s_mov_b32 s3, 0
	s_wait_dscnt 0x0
	v_dual_add_f32 v0, v0, v1 :: v_dual_mov_b32 v1, 0
	s_wait_alu 0xfffe
	s_lshl_b64 s[2:3], s[2:3], 2
	s_wait_alu 0xfffe
	s_add_nc_u64 s[0:1], s[0:1], s[2:3]
	global_store_b32 v1, v0, s[0:1]
.LBB165_17:
	s_endpgm
	.section	.rodata,"a",@progbits
	.p2align	6, 0x0
	.amdhsa_kernel _ZL13mul_mat_vec_qIL9ggml_type16ELi6ELb0ELb0EEvPKvS2_PKi31ggml_cuda_mm_fusion_args_devicePfj15HIP_vector_typeIjLj3EEjjjS8_jjjS8_jjjj
		.amdhsa_group_segment_fixed_size 0
		.amdhsa_private_segment_fixed_size 0
		.amdhsa_kernarg_size 144
		.amdhsa_user_sgpr_count 2
		.amdhsa_user_sgpr_dispatch_ptr 0
		.amdhsa_user_sgpr_queue_ptr 0
		.amdhsa_user_sgpr_kernarg_segment_ptr 1
		.amdhsa_user_sgpr_dispatch_id 0
		.amdhsa_user_sgpr_private_segment_size 0
		.amdhsa_wavefront_size32 1
		.amdhsa_uses_dynamic_stack 0
		.amdhsa_enable_private_segment 0
		.amdhsa_system_sgpr_workgroup_id_x 1
		.amdhsa_system_sgpr_workgroup_id_y 1
		.amdhsa_system_sgpr_workgroup_id_z 1
		.amdhsa_system_sgpr_workgroup_info 0
		.amdhsa_system_vgpr_workitem_id 1
		.amdhsa_next_free_vgpr 38
		.amdhsa_next_free_sgpr 28
		.amdhsa_reserve_vcc 1
		.amdhsa_float_round_mode_32 0
		.amdhsa_float_round_mode_16_64 0
		.amdhsa_float_denorm_mode_32 3
		.amdhsa_float_denorm_mode_16_64 3
		.amdhsa_fp16_overflow 0
		.amdhsa_workgroup_processor_mode 1
		.amdhsa_memory_ordered 1
		.amdhsa_forward_progress 1
		.amdhsa_inst_pref_size 43
		.amdhsa_round_robin_scheduling 0
		.amdhsa_exception_fp_ieee_invalid_op 0
		.amdhsa_exception_fp_denorm_src 0
		.amdhsa_exception_fp_ieee_div_zero 0
		.amdhsa_exception_fp_ieee_overflow 0
		.amdhsa_exception_fp_ieee_underflow 0
		.amdhsa_exception_fp_ieee_inexact 0
		.amdhsa_exception_int_div_zero 0
	.end_amdhsa_kernel
	.section	.text._ZL13mul_mat_vec_qIL9ggml_type16ELi6ELb0ELb0EEvPKvS2_PKi31ggml_cuda_mm_fusion_args_devicePfj15HIP_vector_typeIjLj3EEjjjS8_jjjS8_jjjj,"axG",@progbits,_ZL13mul_mat_vec_qIL9ggml_type16ELi6ELb0ELb0EEvPKvS2_PKi31ggml_cuda_mm_fusion_args_devicePfj15HIP_vector_typeIjLj3EEjjjS8_jjjS8_jjjj,comdat
.Lfunc_end165:
	.size	_ZL13mul_mat_vec_qIL9ggml_type16ELi6ELb0ELb0EEvPKvS2_PKi31ggml_cuda_mm_fusion_args_devicePfj15HIP_vector_typeIjLj3EEjjjS8_jjjS8_jjjj, .Lfunc_end165-_ZL13mul_mat_vec_qIL9ggml_type16ELi6ELb0ELb0EEvPKvS2_PKi31ggml_cuda_mm_fusion_args_devicePfj15HIP_vector_typeIjLj3EEjjjS8_jjjS8_jjjj
                                        ; -- End function
	.set _ZL13mul_mat_vec_qIL9ggml_type16ELi6ELb0ELb0EEvPKvS2_PKi31ggml_cuda_mm_fusion_args_devicePfj15HIP_vector_typeIjLj3EEjjjS8_jjjS8_jjjj.num_vgpr, 38
	.set _ZL13mul_mat_vec_qIL9ggml_type16ELi6ELb0ELb0EEvPKvS2_PKi31ggml_cuda_mm_fusion_args_devicePfj15HIP_vector_typeIjLj3EEjjjS8_jjjS8_jjjj.num_agpr, 0
	.set _ZL13mul_mat_vec_qIL9ggml_type16ELi6ELb0ELb0EEvPKvS2_PKi31ggml_cuda_mm_fusion_args_devicePfj15HIP_vector_typeIjLj3EEjjjS8_jjjS8_jjjj.numbered_sgpr, 28
	.set _ZL13mul_mat_vec_qIL9ggml_type16ELi6ELb0ELb0EEvPKvS2_PKi31ggml_cuda_mm_fusion_args_devicePfj15HIP_vector_typeIjLj3EEjjjS8_jjjS8_jjjj.num_named_barrier, 0
	.set _ZL13mul_mat_vec_qIL9ggml_type16ELi6ELb0ELb0EEvPKvS2_PKi31ggml_cuda_mm_fusion_args_devicePfj15HIP_vector_typeIjLj3EEjjjS8_jjjS8_jjjj.private_seg_size, 0
	.set _ZL13mul_mat_vec_qIL9ggml_type16ELi6ELb0ELb0EEvPKvS2_PKi31ggml_cuda_mm_fusion_args_devicePfj15HIP_vector_typeIjLj3EEjjjS8_jjjS8_jjjj.uses_vcc, 1
	.set _ZL13mul_mat_vec_qIL9ggml_type16ELi6ELb0ELb0EEvPKvS2_PKi31ggml_cuda_mm_fusion_args_devicePfj15HIP_vector_typeIjLj3EEjjjS8_jjjS8_jjjj.uses_flat_scratch, 0
	.set _ZL13mul_mat_vec_qIL9ggml_type16ELi6ELb0ELb0EEvPKvS2_PKi31ggml_cuda_mm_fusion_args_devicePfj15HIP_vector_typeIjLj3EEjjjS8_jjjS8_jjjj.has_dyn_sized_stack, 0
	.set _ZL13mul_mat_vec_qIL9ggml_type16ELi6ELb0ELb0EEvPKvS2_PKi31ggml_cuda_mm_fusion_args_devicePfj15HIP_vector_typeIjLj3EEjjjS8_jjjS8_jjjj.has_recursion, 0
	.set _ZL13mul_mat_vec_qIL9ggml_type16ELi6ELb0ELb0EEvPKvS2_PKi31ggml_cuda_mm_fusion_args_devicePfj15HIP_vector_typeIjLj3EEjjjS8_jjjS8_jjjj.has_indirect_call, 0
	.section	.AMDGPU.csdata,"",@progbits
; Kernel info:
; codeLenInByte = 5424
; TotalNumSgprs: 30
; NumVgprs: 38
; ScratchSize: 0
; MemoryBound: 0
; FloatMode: 240
; IeeeMode: 1
; LDSByteSize: 0 bytes/workgroup (compile time only)
; SGPRBlocks: 0
; VGPRBlocks: 4
; NumSGPRsForWavesPerEU: 30
; NumVGPRsForWavesPerEU: 38
; Occupancy: 16
; WaveLimiterHint : 0
; COMPUTE_PGM_RSRC2:SCRATCH_EN: 0
; COMPUTE_PGM_RSRC2:USER_SGPR: 2
; COMPUTE_PGM_RSRC2:TRAP_HANDLER: 0
; COMPUTE_PGM_RSRC2:TGID_X_EN: 1
; COMPUTE_PGM_RSRC2:TGID_Y_EN: 1
; COMPUTE_PGM_RSRC2:TGID_Z_EN: 1
; COMPUTE_PGM_RSRC2:TIDIG_COMP_CNT: 1
	.section	.text._ZL13mul_mat_vec_qIL9ggml_type16ELi7ELb0ELb0EEvPKvS2_PKi31ggml_cuda_mm_fusion_args_devicePfj15HIP_vector_typeIjLj3EEjjjS8_jjjS8_jjjj,"axG",@progbits,_ZL13mul_mat_vec_qIL9ggml_type16ELi7ELb0ELb0EEvPKvS2_PKi31ggml_cuda_mm_fusion_args_devicePfj15HIP_vector_typeIjLj3EEjjjS8_jjjS8_jjjj,comdat
	.globl	_ZL13mul_mat_vec_qIL9ggml_type16ELi7ELb0ELb0EEvPKvS2_PKi31ggml_cuda_mm_fusion_args_devicePfj15HIP_vector_typeIjLj3EEjjjS8_jjjS8_jjjj ; -- Begin function _ZL13mul_mat_vec_qIL9ggml_type16ELi7ELb0ELb0EEvPKvS2_PKi31ggml_cuda_mm_fusion_args_devicePfj15HIP_vector_typeIjLj3EEjjjS8_jjjS8_jjjj
	.p2align	8
	.type	_ZL13mul_mat_vec_qIL9ggml_type16ELi7ELb0ELb0EEvPKvS2_PKi31ggml_cuda_mm_fusion_args_devicePfj15HIP_vector_typeIjLj3EEjjjS8_jjjS8_jjjj,@function
_ZL13mul_mat_vec_qIL9ggml_type16ELi7ELb0ELb0EEvPKvS2_PKi31ggml_cuda_mm_fusion_args_devicePfj15HIP_vector_typeIjLj3EEjjjS8_jjjS8_jjjj: ; @_ZL13mul_mat_vec_qIL9ggml_type16ELi7ELb0ELb0EEvPKvS2_PKi31ggml_cuda_mm_fusion_args_devicePfj15HIP_vector_typeIjLj3EEjjjS8_jjjS8_jjjj
; %bb.0:
	s_clause 0x5
	s_load_b96 s[16:18], s[0:1], 0x80
	s_load_b32 s2, s[0:1], 0x40
	s_load_b128 s[4:7], s[0:1], 0x50
	s_load_b32 s23, s[0:1], 0x60
	s_load_b128 s[8:11], s[0:1], 0x68
	s_load_b32 s24, s[0:1], 0x78
	v_bfe_u32 v13, v0, 10, 10
	v_dual_mov_b32 v8, 0 :: v_dual_and_b32 v9, 0x3ff, v0
	v_dual_mov_b32 v7, 0 :: v_dual_mov_b32 v10, 0
	v_dual_mov_b32 v11, 0 :: v_dual_mov_b32 v12, 0
	s_delay_alu instid0(VALU_DEP_3)
	v_lshl_or_b32 v0, v13, 5, v9
	v_mov_b32_e32 v14, 0
	v_mov_b32_e32 v16, 0
	s_and_b32 s19, ttmp7, 0xffff
	s_lshr_b32 s20, ttmp7, 16
	v_lshrrev_b32_e32 v15, 3, v0
	s_mov_b32 s21, exec_lo
	s_wait_kmcnt 0x0
	s_lshr_b32 s22, s2, 8
	s_delay_alu instid0(VALU_DEP_1) | instid1(SALU_CYCLE_1)
	v_cmpx_gt_u32_e64 s22, v15
	s_cbranch_execz .LBB166_4
; %bb.1:
	v_lshl_add_u32 v0, v13, 5, v9
	s_mov_b32 s3, 0
	s_mul_i32 s26, s9, s19
	s_mov_b32 s27, s3
	s_load_b128 s[12:15], s[0:1], 0x0
	v_lshrrev_b32_e32 v0, 3, v0
	s_mul_u64 s[26:27], s[26:27], 36
	v_dual_mov_b32 v7, 0 :: v_dual_lshlrev_b32 v2, 1, v9
	s_mul_i32 s2, s17, s20
	s_delay_alu instid0(VALU_DEP_2) | instskip(NEXT) | instid1(VALU_DEP_2)
	v_mad_co_u64_u32 v[0:1], null, 0x120, v0, s[26:27]
	v_and_b32_e32 v4, 14, v2
	v_and_b32_e32 v5, 7, v9
	s_mul_hi_u32 s7, s7, s19
	s_mul_hi_u32 s11, s11, s20
	s_add_co_i32 s7, s19, s7
	v_lshlrev_b32_e32 v8, 1, v4
	s_delay_alu instid0(VALU_DEP_4) | instskip(SKIP_2) | instid1(VALU_DEP_3)
	v_mad_co_u64_u32 v[2:3], null, s2, 36, v[0:1]
	v_lshlrev_b32_e32 v6, 3, v15
	s_add_co_i32 s9, s20, s11
	v_lshlrev_b32_e32 v20, 1, v8
	v_mov_b32_e32 v8, 0
	s_mul_u64 s[28:29], s[2:3], 36
	s_lshr_b32 s7, s7, s23
	s_delay_alu instid0(VALU_DEP_4)
	v_mad_co_u64_u32 v[10:11], null, v5, 36, v[2:3]
	s_lshr_b32 s11, s9, s24
	s_mul_i32 s7, s7, s8
	s_wait_kmcnt 0x0
	s_add_nc_u64 s[8:9], s[14:15], s[28:29]
	v_mad_co_u64_u32 v[2:3], null, s5, 6, v[6:7]
	s_add_nc_u64 s[8:9], s[8:9], s[26:27]
	v_mad_co_u64_u32 v[3:4], null, s5, 5, v[6:7]
	v_mad_co_u64_u32 v[0:1], null, v5, 36, s[8:9]
	v_mad_co_u64_u32 v[4:5], null, s5, 3, v[6:7]
	v_add_co_u32 v5, vcc_lo, s14, v10
	s_delay_alu instid0(VALU_DEP_1)
	v_add_co_ci_u32_e64 v10, null, s15, v11, vcc_lo
	s_mul_i32 s4, s4, ttmp9
	v_add_co_u32 v5, vcc_lo, v5, 16
	v_add_nc_u32_e32 v17, s5, v6
	v_lshl_add_u32 v18, s5, 2, v6
	v_lshl_add_u32 v19, s5, 1, v6
	s_wait_alu 0xfffd
	v_add_co_ci_u32_e64 v6, null, 0, v10, vcc_lo
	v_dual_mov_b32 v10, 0 :: v_dual_mov_b32 v11, 0
	v_mov_b32_e32 v12, 0
	v_mov_b32_e32 v14, 0
	;; [unrolled: 1-line block ×3, first 2 shown]
	s_mul_i32 s11, s11, s16
	s_wait_alu 0xfffe
	s_add_co_i32 s7, s7, s4
	s_delay_alu instid0(SALU_CYCLE_1)
	s_add_co_i32 s7, s11, s7
.LBB166_2:                              ; =>This Inner Loop Header: Depth=1
	s_delay_alu instid0(SALU_CYCLE_1)
	v_add_nc_u32_e32 v21, s7, v15
	s_getpc_b64 s[4:5]
	s_wait_alu 0xfffe
	s_sext_i32_i16 s5, s5
	s_add_co_u32 s4, s4, _ZL11iq2xxs_grid@rel32@lo+12
	s_wait_alu 0xfffe
	s_add_co_ci_u32 s5, s5, _ZL11iq2xxs_grid@rel32@hi+24
	v_add_nc_u32_e32 v15, 4, v15
	v_mad_co_i64_i32 v[31:32], null, 0x42, v21, s[12:13]
	s_delay_alu instid0(VALU_DEP_1) | instskip(SKIP_1) | instid1(VALU_DEP_2)
	v_add_co_u32 v21, vcc_lo, v31, v20
	s_wait_alu 0xfffd
	v_add_co_ci_u32_e64 v22, null, 0, v32, vcc_lo
	global_load_b64 v[27:28], v[21:22], off offset:2
	s_wait_loadcnt 0x0
	v_and_b32_e32 v21, 0xff, v27
	v_and_b32_e32 v23, 0xff, v28
	s_delay_alu instid0(VALU_DEP_2) | instskip(NEXT) | instid1(VALU_DEP_2)
	v_lshlrev_b32_e32 v21, 3, v21
	v_bcnt_u32_b32 v24, v23, 0
	global_load_b64 v[21:22], v21, s[4:5]
	v_and_b32_e32 v24, 1, v24
	s_delay_alu instid0(VALU_DEP_1) | instskip(NEXT) | instid1(VALU_DEP_1)
	v_lshlrev_b32_e32 v24, 7, v24
	v_xor_b32_e32 v23, v24, v23
	s_delay_alu instid0(VALU_DEP_1) | instskip(NEXT) | instid1(VALU_DEP_1)
	v_mul_lo_u32 v23, 0x1010101, v23
	v_and_b32_e32 v24, 0x8040201, v23
	s_delay_alu instid0(VALU_DEP_1) | instskip(SKIP_1) | instid1(VALU_DEP_2)
	v_lshrrev_b16 v25, 8, v24
	v_lshrrev_b32_e32 v24, 24, v24
	v_cmp_ne_u16_e64 s2, 0, v25
	s_delay_alu instid0(VALU_DEP_2)
	v_cmp_ne_u16_e32 vcc_lo, 0, v24
	v_lshrrev_b32_e32 v24, 18, v23
	v_bfe_i32 v25, v23, 0, 1
	s_wait_alu 0xf1ff
	v_cndmask_b32_e64 v29, 0, -1, s2
	s_wait_alu 0xfffd
	v_cndmask_b32_e64 v33, 0, -1, vcc_lo
	v_bfe_i32 v24, v24, 0, 1
	v_and_b32_e32 v26, 0xff, v25
	v_lshlrev_b16 v25, 8, v25
	v_lshlrev_b16 v29, 8, v29
	;; [unrolled: 1-line block ×3, first 2 shown]
	v_and_b32_e32 v30, 0xff, v24
	v_lshlrev_b16 v24, 8, v24
	s_delay_alu instid0(VALU_DEP_4) | instskip(NEXT) | instid1(VALU_DEP_3)
	v_or_b32_e32 v26, v26, v29
	v_or_b32_e32 v30, v30, v33
	s_delay_alu instid0(VALU_DEP_2) | instskip(NEXT) | instid1(VALU_DEP_2)
	v_and_b32_e32 v26, 0xffff, v26
	v_lshlrev_b32_e32 v30, 16, v30
	s_delay_alu instid0(VALU_DEP_1) | instskip(SKIP_1) | instid1(VALU_DEP_1)
	v_or_b32_e32 v26, v26, v30
	s_wait_loadcnt 0x0
	v_xor_b32_e32 v21, v21, v26
	s_delay_alu instid0(VALU_DEP_1) | instskip(SKIP_2) | instid1(VALU_DEP_2)
	v_lshrrev_b32_e32 v26, 16, v21
	v_and_b32_e32 v30, 0xffffff00, v21
	v_lshlrev_b16 v21, 8, v21
	v_sub_nc_i16 v29, v30, v29 clamp
	s_delay_alu instid0(VALU_DEP_2) | instskip(SKIP_2) | instid1(VALU_DEP_3)
	v_sub_nc_i16 v21, v21, v25 clamp
	v_and_b32_e32 v25, 0xffffff00, v26
	v_lshlrev_b16 v26, 8, v26
	v_perm_b32 v21, v21, v29, 0xc0c0105
	s_delay_alu instid0(VALU_DEP_3) | instskip(NEXT) | instid1(VALU_DEP_3)
	v_sub_nc_i16 v25, v25, v33 clamp
	v_sub_nc_i16 v24, v26, v24 clamp
	s_delay_alu instid0(VALU_DEP_1) | instskip(NEXT) | instid1(VALU_DEP_1)
	v_perm_b32 v24, v24, v25, 0xc0c0105
	v_lshl_or_b32 v21, v24, 16, v21
	v_and_b32_e32 v24, 0x80402010, v23
	v_lshrrev_b32_e32 v23, 22, v23
	s_delay_alu instid0(VALU_DEP_2) | instskip(SKIP_2) | instid1(VALU_DEP_4)
	v_lshrrev_b16 v25, 8, v24
	v_lshrrev_b32_e32 v26, 24, v24
	v_lshrrev_b16 v24, 4, v24
	v_bfe_i32 v23, v23, 0, 1
	s_delay_alu instid0(VALU_DEP_4) | instskip(NEXT) | instid1(VALU_DEP_4)
	v_cmp_ne_u16_e64 s2, 0, v25
	v_cmp_ne_u16_e32 vcc_lo, 0, v26
	s_delay_alu instid0(VALU_DEP_4) | instskip(NEXT) | instid1(VALU_DEP_4)
	v_bfe_i32 v24, v24, 0, 1
	v_and_b32_e32 v29, 0xff, v23
	v_lshlrev_b16 v23, 8, v23
	s_wait_alu 0xf1ff
	v_cndmask_b32_e64 v26, 0, -1, s2
	s_wait_alu 0xfffd
	v_cndmask_b32_e64 v30, 0, -1, vcc_lo
	v_and_b32_e32 v25, 0xff, v24
	v_lshlrev_b16 v24, 8, v24
	v_lshlrev_b16 v26, 8, v26
	s_delay_alu instid0(VALU_DEP_4) | instskip(NEXT) | instid1(VALU_DEP_2)
	v_lshlrev_b16 v30, 8, v30
	v_or_b32_e32 v25, v25, v26
	s_delay_alu instid0(VALU_DEP_2) | instskip(NEXT) | instid1(VALU_DEP_2)
	v_or_b32_e32 v29, v29, v30
	v_and_b32_e32 v25, 0xffff, v25
	s_delay_alu instid0(VALU_DEP_2) | instskip(NEXT) | instid1(VALU_DEP_1)
	v_lshlrev_b32_e32 v29, 16, v29
	v_or_b32_e32 v25, v25, v29
	s_delay_alu instid0(VALU_DEP_1) | instskip(NEXT) | instid1(VALU_DEP_1)
	v_xor_b32_e32 v22, v22, v25
	v_lshrrev_b32_e32 v25, 16, v22
	v_and_b32_e32 v29, 0xffffff00, v22
	v_lshlrev_b16 v22, 8, v22
	s_delay_alu instid0(VALU_DEP_2) | instskip(NEXT) | instid1(VALU_DEP_2)
	v_sub_nc_i16 v26, v29, v26 clamp
	v_sub_nc_i16 v22, v22, v24 clamp
	v_and_b32_e32 v24, 0xffffff00, v25
	v_lshlrev_b16 v25, 8, v25
	s_delay_alu instid0(VALU_DEP_3) | instskip(NEXT) | instid1(VALU_DEP_3)
	v_perm_b32 v22, v22, v26, 0xc0c0105
	v_sub_nc_i16 v24, v24, v30 clamp
	s_delay_alu instid0(VALU_DEP_3) | instskip(SKIP_1) | instid1(VALU_DEP_2)
	v_sub_nc_i16 v23, v25, v23 clamp
	v_bfe_u32 v25, v28, 7, 8
	v_perm_b32 v23, v23, v24, 0xc0c0105
	s_delay_alu instid0(VALU_DEP_2) | instskip(NEXT) | instid1(VALU_DEP_2)
	v_bcnt_u32_b32 v26, v25, 0
	v_lshl_or_b32 v22, v23, 16, v22
	v_lshrrev_b32_e32 v23, 5, v27
	s_delay_alu instid0(VALU_DEP_3) | instskip(NEXT) | instid1(VALU_DEP_2)
	v_and_b32_e32 v26, 1, v26
	v_and_b32_e32 v23, 0x7f8, v23
	s_delay_alu instid0(VALU_DEP_2) | instskip(SKIP_2) | instid1(VALU_DEP_1)
	v_lshlrev_b32_e32 v26, 7, v26
	global_load_b64 v[23:24], v23, s[4:5]
	v_xor_b32_e32 v25, v26, v25
	v_mul_lo_u32 v25, 0x1010101, v25
	s_delay_alu instid0(VALU_DEP_1) | instskip(NEXT) | instid1(VALU_DEP_1)
	v_and_b32_e32 v26, 0x8040201, v25
	v_lshrrev_b16 v29, 8, v26
	v_lshrrev_b32_e32 v26, 24, v26
	s_delay_alu instid0(VALU_DEP_2) | instskip(NEXT) | instid1(VALU_DEP_2)
	v_cmp_ne_u16_e64 s2, 0, v29
	v_cmp_ne_u16_e32 vcc_lo, 0, v26
	v_lshrrev_b32_e32 v26, 18, v25
	v_bfe_i32 v29, v25, 0, 1
	s_wait_alu 0xf1ff
	v_cndmask_b32_e64 v33, 0, -1, s2
	s_wait_alu 0xfffd
	v_cndmask_b32_e64 v35, 0, -1, vcc_lo
	v_bfe_i32 v26, v26, 0, 1
	v_and_b32_e32 v30, 0xff, v29
	v_lshlrev_b16 v29, 8, v29
	v_lshlrev_b16 v33, 8, v33
	;; [unrolled: 1-line block ×3, first 2 shown]
	v_and_b32_e32 v34, 0xff, v26
	v_lshlrev_b16 v26, 8, v26
	s_delay_alu instid0(VALU_DEP_4) | instskip(NEXT) | instid1(VALU_DEP_3)
	v_or_b32_e32 v30, v30, v33
	v_or_b32_e32 v34, v34, v35
	s_delay_alu instid0(VALU_DEP_2) | instskip(NEXT) | instid1(VALU_DEP_2)
	v_and_b32_e32 v30, 0xffff, v30
	v_lshlrev_b32_e32 v34, 16, v34
	s_delay_alu instid0(VALU_DEP_1) | instskip(SKIP_1) | instid1(VALU_DEP_1)
	v_or_b32_e32 v30, v30, v34
	s_wait_loadcnt 0x0
	v_xor_b32_e32 v23, v23, v30
	s_delay_alu instid0(VALU_DEP_1) | instskip(SKIP_2) | instid1(VALU_DEP_2)
	v_lshrrev_b32_e32 v30, 16, v23
	v_and_b32_e32 v34, 0xffffff00, v23
	v_lshlrev_b16 v23, 8, v23
	v_sub_nc_i16 v33, v34, v33 clamp
	s_delay_alu instid0(VALU_DEP_2) | instskip(SKIP_2) | instid1(VALU_DEP_3)
	v_sub_nc_i16 v23, v23, v29 clamp
	v_and_b32_e32 v29, 0xffffff00, v30
	v_lshlrev_b16 v30, 8, v30
	v_perm_b32 v23, v23, v33, 0xc0c0105
	s_delay_alu instid0(VALU_DEP_3) | instskip(NEXT) | instid1(VALU_DEP_3)
	v_sub_nc_i16 v29, v29, v35 clamp
	v_sub_nc_i16 v26, v30, v26 clamp
	s_delay_alu instid0(VALU_DEP_1) | instskip(NEXT) | instid1(VALU_DEP_1)
	v_perm_b32 v26, v26, v29, 0xc0c0105
	v_lshl_or_b32 v23, v26, 16, v23
	v_and_b32_e32 v26, 0x80402010, v25
	v_lshrrev_b32_e32 v25, 22, v25
	s_delay_alu instid0(VALU_DEP_2) | instskip(SKIP_2) | instid1(VALU_DEP_4)
	v_lshrrev_b16 v29, 8, v26
	v_lshrrev_b32_e32 v30, 24, v26
	v_lshrrev_b16 v26, 4, v26
	v_bfe_i32 v25, v25, 0, 1
	s_delay_alu instid0(VALU_DEP_4) | instskip(NEXT) | instid1(VALU_DEP_4)
	v_cmp_ne_u16_e64 s2, 0, v29
	v_cmp_ne_u16_e32 vcc_lo, 0, v30
	s_delay_alu instid0(VALU_DEP_4) | instskip(NEXT) | instid1(VALU_DEP_4)
	v_bfe_i32 v26, v26, 0, 1
	v_and_b32_e32 v33, 0xff, v25
	v_lshlrev_b16 v25, 8, v25
	s_wait_alu 0xf1ff
	v_cndmask_b32_e64 v30, 0, -1, s2
	s_wait_alu 0xfffd
	v_cndmask_b32_e64 v34, 0, -1, vcc_lo
	v_and_b32_e32 v29, 0xff, v26
	v_lshlrev_b16 v26, 8, v26
	v_lshlrev_b16 v30, 8, v30
	s_delay_alu instid0(VALU_DEP_4) | instskip(NEXT) | instid1(VALU_DEP_2)
	v_lshlrev_b16 v34, 8, v34
	v_or_b32_e32 v29, v29, v30
	s_delay_alu instid0(VALU_DEP_2) | instskip(NEXT) | instid1(VALU_DEP_2)
	v_or_b32_e32 v33, v33, v34
	v_and_b32_e32 v29, 0xffff, v29
	s_delay_alu instid0(VALU_DEP_2) | instskip(NEXT) | instid1(VALU_DEP_1)
	v_lshlrev_b32_e32 v33, 16, v33
	v_or_b32_e32 v29, v29, v33
	s_delay_alu instid0(VALU_DEP_1) | instskip(NEXT) | instid1(VALU_DEP_1)
	v_xor_b32_e32 v24, v24, v29
	v_lshrrev_b32_e32 v29, 16, v24
	v_and_b32_e32 v33, 0xffffff00, v24
	v_lshlrev_b16 v24, 8, v24
	s_delay_alu instid0(VALU_DEP_2) | instskip(NEXT) | instid1(VALU_DEP_2)
	v_sub_nc_i16 v30, v33, v30 clamp
	v_sub_nc_i16 v24, v24, v26 clamp
	v_and_b32_e32 v26, 0xffffff00, v29
	v_lshlrev_b16 v29, 8, v29
	s_delay_alu instid0(VALU_DEP_3) | instskip(NEXT) | instid1(VALU_DEP_3)
	v_perm_b32 v24, v24, v30, 0xc0c0105
	v_sub_nc_i16 v26, v26, v34 clamp
	s_delay_alu instid0(VALU_DEP_3) | instskip(SKIP_1) | instid1(VALU_DEP_2)
	v_sub_nc_i16 v25, v29, v25 clamp
	v_bfe_u32 v29, v28, 14, 8
	v_perm_b32 v25, v25, v26, 0xc0c0105
	s_delay_alu instid0(VALU_DEP_2) | instskip(NEXT) | instid1(VALU_DEP_2)
	v_bcnt_u32_b32 v30, v29, 0
	v_lshl_or_b32 v24, v25, 16, v24
	v_lshrrev_b32_e32 v25, 13, v27
	s_delay_alu instid0(VALU_DEP_3) | instskip(SKIP_1) | instid1(VALU_DEP_3)
	v_and_b32_e32 v30, 1, v30
	v_lshrrev_b32_e32 v27, 21, v27
	v_and_b32_e32 v25, 0x7f8, v25
	s_delay_alu instid0(VALU_DEP_3) | instskip(NEXT) | instid1(VALU_DEP_3)
	v_lshlrev_b32_e32 v30, 7, v30
	v_and_b32_e32 v27, 0x7f8, v27
	global_load_b64 v[25:26], v25, s[4:5]
	v_xor_b32_e32 v29, v30, v29
	s_delay_alu instid0(VALU_DEP_1) | instskip(NEXT) | instid1(VALU_DEP_1)
	v_mul_lo_u32 v29, 0x1010101, v29
	v_and_b32_e32 v30, 0x8040201, v29
	s_delay_alu instid0(VALU_DEP_1) | instskip(SKIP_1) | instid1(VALU_DEP_2)
	v_lshrrev_b16 v33, 8, v30
	v_lshrrev_b32_e32 v30, 24, v30
	v_cmp_ne_u16_e64 s2, 0, v33
	s_delay_alu instid0(VALU_DEP_2)
	v_cmp_ne_u16_e32 vcc_lo, 0, v30
	v_lshrrev_b32_e32 v30, 18, v29
	v_bfe_i32 v33, v29, 0, 1
	s_wait_alu 0xf1ff
	v_cndmask_b32_e64 v35, 0, -1, s2
	s_wait_alu 0xfffd
	v_cndmask_b32_e64 v37, 0, -1, vcc_lo
	v_bfe_i32 v30, v30, 0, 1
	v_and_b32_e32 v34, 0xff, v33
	v_lshlrev_b16 v33, 8, v33
	v_lshlrev_b16 v35, 8, v35
	;; [unrolled: 1-line block ×3, first 2 shown]
	v_and_b32_e32 v36, 0xff, v30
	v_lshlrev_b16 v30, 8, v30
	s_delay_alu instid0(VALU_DEP_4) | instskip(NEXT) | instid1(VALU_DEP_3)
	v_or_b32_e32 v34, v34, v35
	v_or_b32_e32 v36, v36, v37
	s_delay_alu instid0(VALU_DEP_2) | instskip(NEXT) | instid1(VALU_DEP_2)
	v_and_b32_e32 v34, 0xffff, v34
	v_lshlrev_b32_e32 v36, 16, v36
	s_delay_alu instid0(VALU_DEP_1) | instskip(SKIP_1) | instid1(VALU_DEP_1)
	v_or_b32_e32 v34, v34, v36
	s_wait_loadcnt 0x0
	v_xor_b32_e32 v25, v25, v34
	s_delay_alu instid0(VALU_DEP_1) | instskip(SKIP_2) | instid1(VALU_DEP_2)
	v_lshrrev_b32_e32 v34, 16, v25
	v_and_b32_e32 v36, 0xffffff00, v25
	v_lshlrev_b16 v25, 8, v25
	v_sub_nc_i16 v35, v36, v35 clamp
	s_delay_alu instid0(VALU_DEP_2) | instskip(SKIP_2) | instid1(VALU_DEP_3)
	v_sub_nc_i16 v25, v25, v33 clamp
	v_and_b32_e32 v33, 0xffffff00, v34
	v_lshlrev_b16 v34, 8, v34
	v_perm_b32 v25, v25, v35, 0xc0c0105
	s_delay_alu instid0(VALU_DEP_3) | instskip(NEXT) | instid1(VALU_DEP_3)
	v_sub_nc_i16 v33, v33, v37 clamp
	v_sub_nc_i16 v30, v34, v30 clamp
	s_delay_alu instid0(VALU_DEP_1) | instskip(NEXT) | instid1(VALU_DEP_1)
	v_perm_b32 v30, v30, v33, 0xc0c0105
	v_lshl_or_b32 v25, v30, 16, v25
	v_and_b32_e32 v30, 0x80402010, v29
	v_lshrrev_b32_e32 v29, 22, v29
	s_delay_alu instid0(VALU_DEP_2) | instskip(SKIP_2) | instid1(VALU_DEP_4)
	v_lshrrev_b16 v33, 8, v30
	v_lshrrev_b32_e32 v34, 24, v30
	v_lshrrev_b16 v30, 4, v30
	v_bfe_i32 v29, v29, 0, 1
	s_delay_alu instid0(VALU_DEP_4) | instskip(NEXT) | instid1(VALU_DEP_4)
	v_cmp_ne_u16_e64 s2, 0, v33
	v_cmp_ne_u16_e32 vcc_lo, 0, v34
	s_delay_alu instid0(VALU_DEP_4) | instskip(NEXT) | instid1(VALU_DEP_4)
	v_bfe_i32 v30, v30, 0, 1
	v_and_b32_e32 v35, 0xff, v29
	v_lshlrev_b16 v29, 8, v29
	s_wait_alu 0xf1ff
	v_cndmask_b32_e64 v34, 0, -1, s2
	s_wait_alu 0xfffd
	v_cndmask_b32_e64 v36, 0, -1, vcc_lo
	v_and_b32_e32 v33, 0xff, v30
	v_lshlrev_b16 v30, 8, v30
	v_lshlrev_b16 v34, 8, v34
	s_delay_alu instid0(VALU_DEP_4) | instskip(NEXT) | instid1(VALU_DEP_2)
	v_lshlrev_b16 v36, 8, v36
	v_or_b32_e32 v33, v33, v34
	s_delay_alu instid0(VALU_DEP_2) | instskip(NEXT) | instid1(VALU_DEP_2)
	v_or_b32_e32 v35, v35, v36
	v_and_b32_e32 v33, 0xffff, v33
	s_delay_alu instid0(VALU_DEP_2) | instskip(NEXT) | instid1(VALU_DEP_1)
	v_lshlrev_b32_e32 v35, 16, v35
	v_or_b32_e32 v33, v33, v35
	s_delay_alu instid0(VALU_DEP_1) | instskip(NEXT) | instid1(VALU_DEP_1)
	v_xor_b32_e32 v26, v26, v33
	v_lshrrev_b32_e32 v33, 16, v26
	v_and_b32_e32 v35, 0xffffff00, v26
	v_lshlrev_b16 v26, 8, v26
	s_delay_alu instid0(VALU_DEP_2) | instskip(NEXT) | instid1(VALU_DEP_2)
	v_sub_nc_i16 v34, v35, v34 clamp
	v_sub_nc_i16 v26, v26, v30 clamp
	v_and_b32_e32 v30, 0xffffff00, v33
	v_lshlrev_b16 v33, 8, v33
	s_delay_alu instid0(VALU_DEP_3) | instskip(NEXT) | instid1(VALU_DEP_3)
	v_perm_b32 v26, v26, v34, 0xc0c0105
	v_sub_nc_i16 v30, v30, v36 clamp
	s_delay_alu instid0(VALU_DEP_3) | instskip(NEXT) | instid1(VALU_DEP_1)
	v_sub_nc_i16 v29, v33, v29 clamp
	v_perm_b32 v29, v29, v30, 0xc0c0105
	s_delay_alu instid0(VALU_DEP_1) | instskip(SKIP_3) | instid1(VALU_DEP_2)
	v_lshl_or_b32 v26, v29, 16, v26
	global_load_b64 v[29:30], v27, s[4:5]
	v_bfe_u32 v27, v28, 21, 8
	v_lshrrev_b32_e32 v28, 27, v28
	v_bcnt_u32_b32 v33, v27, 0
	s_delay_alu instid0(VALU_DEP_1) | instskip(NEXT) | instid1(VALU_DEP_1)
	v_and_b32_e32 v33, 1, v33
	v_lshlrev_b32_e32 v33, 7, v33
	s_delay_alu instid0(VALU_DEP_1) | instskip(NEXT) | instid1(VALU_DEP_1)
	v_xor_b32_e32 v27, v33, v27
	v_mul_lo_u32 v33, 0x1010101, v27
	s_delay_alu instid0(VALU_DEP_1) | instskip(NEXT) | instid1(VALU_DEP_1)
	v_and_b32_e32 v27, 0x8040201, v33
	v_lshrrev_b16 v34, 8, v27
	v_lshrrev_b32_e32 v27, 24, v27
	s_delay_alu instid0(VALU_DEP_2) | instskip(NEXT) | instid1(VALU_DEP_2)
	v_cmp_ne_u16_e64 s2, 0, v34
	v_cmp_ne_u16_e32 vcc_lo, 0, v27
	v_lshrrev_b32_e32 v27, 18, v33
	v_bfe_i32 v34, v33, 0, 1
	s_wait_alu 0xf1ff
	v_cndmask_b32_e64 v36, 0, -1, s2
	s_wait_alu 0xfffd
	v_cndmask_b32_e64 v38, 0, -1, vcc_lo
	v_bfe_i32 v27, v27, 0, 1
	v_and_b32_e32 v35, 0xff, v34
	v_lshlrev_b16 v34, 8, v34
	v_lshlrev_b16 v36, 8, v36
	;; [unrolled: 1-line block ×3, first 2 shown]
	v_and_b32_e32 v37, 0xff, v27
	v_lshlrev_b16 v27, 8, v27
	s_delay_alu instid0(VALU_DEP_4) | instskip(NEXT) | instid1(VALU_DEP_3)
	v_or_b32_e32 v35, v35, v36
	v_or_b32_e32 v37, v37, v38
	s_delay_alu instid0(VALU_DEP_2) | instskip(NEXT) | instid1(VALU_DEP_2)
	v_and_b32_e32 v35, 0xffff, v35
	v_lshlrev_b32_e32 v37, 16, v37
	s_delay_alu instid0(VALU_DEP_1) | instskip(SKIP_1) | instid1(VALU_DEP_1)
	v_or_b32_e32 v35, v35, v37
	s_wait_loadcnt 0x0
	v_xor_b32_e32 v29, v29, v35
	s_delay_alu instid0(VALU_DEP_1) | instskip(SKIP_2) | instid1(VALU_DEP_2)
	v_lshrrev_b32_e32 v35, 16, v29
	v_and_b32_e32 v37, 0xffffff00, v29
	v_lshlrev_b16 v29, 8, v29
	v_sub_nc_i16 v36, v37, v36 clamp
	s_delay_alu instid0(VALU_DEP_2) | instskip(SKIP_2) | instid1(VALU_DEP_3)
	v_sub_nc_i16 v29, v29, v34 clamp
	v_and_b32_e32 v34, 0xffffff00, v35
	v_lshlrev_b16 v35, 8, v35
	v_perm_b32 v29, v29, v36, 0xc0c0105
	s_delay_alu instid0(VALU_DEP_3) | instskip(NEXT) | instid1(VALU_DEP_3)
	v_sub_nc_i16 v34, v34, v38 clamp
	v_sub_nc_i16 v27, v35, v27 clamp
	s_delay_alu instid0(VALU_DEP_1) | instskip(NEXT) | instid1(VALU_DEP_1)
	v_perm_b32 v27, v27, v34, 0xc0c0105
	v_lshl_or_b32 v27, v27, 16, v29
	v_and_b32_e32 v29, 0x80402010, v33
	v_lshrrev_b32_e32 v33, 22, v33
	s_delay_alu instid0(VALU_DEP_2) | instskip(SKIP_2) | instid1(VALU_DEP_4)
	v_lshrrev_b16 v34, 8, v29
	v_lshrrev_b32_e32 v35, 24, v29
	v_lshrrev_b16 v29, 4, v29
	v_bfe_i32 v33, v33, 0, 1
	s_delay_alu instid0(VALU_DEP_4) | instskip(NEXT) | instid1(VALU_DEP_4)
	v_cmp_ne_u16_e64 s2, 0, v34
	v_cmp_ne_u16_e32 vcc_lo, 0, v35
	s_delay_alu instid0(VALU_DEP_4) | instskip(NEXT) | instid1(VALU_DEP_4)
	v_bfe_i32 v29, v29, 0, 1
	v_and_b32_e32 v36, 0xff, v33
	v_lshlrev_b16 v33, 8, v33
	s_wait_alu 0xf1ff
	v_cndmask_b32_e64 v35, 0, -1, s2
	s_wait_alu 0xfffd
	v_cndmask_b32_e64 v37, 0, -1, vcc_lo
	v_and_b32_e32 v34, 0xff, v29
	v_lshlrev_b16 v29, 8, v29
	v_lshlrev_b16 v35, 8, v35
	s_delay_alu instid0(VALU_DEP_4) | instskip(NEXT) | instid1(VALU_DEP_2)
	v_lshlrev_b16 v37, 8, v37
	v_or_b32_e32 v34, v34, v35
	s_delay_alu instid0(VALU_DEP_2) | instskip(NEXT) | instid1(VALU_DEP_2)
	v_or_b32_e32 v36, v36, v37
	v_and_b32_e32 v34, 0xffff, v34
	s_delay_alu instid0(VALU_DEP_2) | instskip(NEXT) | instid1(VALU_DEP_1)
	v_lshlrev_b32_e32 v36, 16, v36
	v_or_b32_e32 v34, v34, v36
	s_delay_alu instid0(VALU_DEP_1) | instskip(NEXT) | instid1(VALU_DEP_1)
	v_xor_b32_e32 v30, v30, v34
	v_lshrrev_b32_e32 v34, 16, v30
	v_and_b32_e32 v36, 0xffffff00, v30
	v_lshlrev_b16 v30, 8, v30
	s_delay_alu instid0(VALU_DEP_2) | instskip(NEXT) | instid1(VALU_DEP_2)
	v_sub_nc_i16 v35, v36, v35 clamp
	v_sub_nc_i16 v29, v30, v29 clamp
	v_and_b32_e32 v30, 0xffffff00, v34
	v_lshlrev_b16 v34, 8, v34
	s_delay_alu instid0(VALU_DEP_3) | instskip(NEXT) | instid1(VALU_DEP_3)
	v_perm_b32 v29, v29, v35, 0xc0c0105
	v_sub_nc_i16 v30, v30, v37 clamp
	s_delay_alu instid0(VALU_DEP_3) | instskip(NEXT) | instid1(VALU_DEP_1)
	v_sub_nc_i16 v33, v34, v33 clamp
	v_perm_b32 v30, v33, v30, 0xc0c0105
	s_delay_alu instid0(VALU_DEP_1)
	v_lshl_or_b32 v29, v30, 16, v29
	v_or_b32_e32 v30, 1, v28
	global_load_u16 v28, v[31:32], off
	s_clause 0x2
	global_load_b128 v[31:34], v[5:6], off offset:-16
	global_load_b32 v39, v[5:6], off offset:16
	global_load_b128 v[35:38], v[5:6], off
	v_add_co_u32 v5, vcc_lo, 0x480, v5
	s_wait_alu 0xfffd
	v_add_co_ci_u32_e64 v6, null, 0, v6, vcc_lo
	v_cmp_le_u32_e32 vcc_lo, s22, v15
	s_or_b32 s3, vcc_lo, s3
	s_wait_loadcnt 0x2
	v_dot4_i32_iu8 v32, v21, v32, 0 neg_lo:[1,1,0]
	v_cvt_f32_f16_e32 v28, v28
	v_cvt_f32_f16_e32 v31, v31
	s_delay_alu instid0(VALU_DEP_3) | instskip(NEXT) | instid1(VALU_DEP_2)
	v_dot4_i32_iu8 v32, v22, v33, v32 neg_lo:[1,1,0]
	v_mul_f32_e32 v31, v28, v31
	s_delay_alu instid0(VALU_DEP_2) | instskip(SKIP_1) | instid1(VALU_DEP_1)
	v_dot4_i32_iu8 v32, v23, v34, v32 neg_lo:[1,1,0]
	s_wait_loadcnt 0x0
	v_dot4_i32_iu8 v32, v24, v35, v32 neg_lo:[1,1,0]
	s_delay_alu instid0(VALU_DEP_1) | instskip(SKIP_2) | instid1(VALU_DEP_3)
	v_dot4_i32_iu8 v32, v25, v36, v32 neg_lo:[1,1,0]
	v_mad_co_u64_u32 v[35:36], null, v17, 36, v[0:1]
	v_add_nc_u32_e32 v17, 32, v17
	v_dot4_i32_iu8 v32, v26, v37, v32 neg_lo:[1,1,0]
	s_delay_alu instid0(VALU_DEP_1) | instskip(NEXT) | instid1(VALU_DEP_1)
	v_dot4_i32_iu8 v32, v27, v38, v32 neg_lo:[1,1,0]
	v_dot4_i32_iu8 v32, v29, v39, v32 neg_lo:[1,1,0]
	s_delay_alu instid0(VALU_DEP_1) | instskip(NEXT) | instid1(VALU_DEP_1)
	v_mul_lo_u32 v32, v32, v30
	v_ashrrev_i32_e32 v33, 31, v32
	s_delay_alu instid0(VALU_DEP_1) | instskip(NEXT) | instid1(VALU_DEP_1)
	v_lshrrev_b32_e32 v33, 29, v33
	v_add_nc_u32_e32 v32, v32, v33
	s_delay_alu instid0(VALU_DEP_1) | instskip(NEXT) | instid1(VALU_DEP_1)
	v_ashrrev_i32_e32 v32, 3, v32
	v_cvt_f32_i32_e32 v32, v32
	s_delay_alu instid0(VALU_DEP_1)
	v_fmac_f32_e32 v16, v31, v32
	s_clause 0x2
	global_load_b128 v[31:34], v[35:36], off
	global_load_b32 v39, v[35:36], off offset:32
	global_load_b128 v[35:38], v[35:36], off offset:16
	s_wait_loadcnt 0x2
	v_dot4_i32_iu8 v32, v21, v32, 0 neg_lo:[1,1,0]
	v_cvt_f32_f16_e32 v31, v31
	s_delay_alu instid0(VALU_DEP_2) | instskip(NEXT) | instid1(VALU_DEP_2)
	v_dot4_i32_iu8 v32, v22, v33, v32 neg_lo:[1,1,0]
	v_mul_f32_e32 v31, v28, v31
	s_delay_alu instid0(VALU_DEP_2) | instskip(SKIP_1) | instid1(VALU_DEP_1)
	v_dot4_i32_iu8 v32, v23, v34, v32 neg_lo:[1,1,0]
	s_wait_loadcnt 0x0
	v_dot4_i32_iu8 v32, v24, v35, v32 neg_lo:[1,1,0]
	s_delay_alu instid0(VALU_DEP_1) | instskip(SKIP_2) | instid1(VALU_DEP_3)
	v_dot4_i32_iu8 v32, v25, v36, v32 neg_lo:[1,1,0]
	v_mad_co_u64_u32 v[35:36], null, v19, 36, v[0:1]
	v_add_nc_u32_e32 v19, 32, v19
	v_dot4_i32_iu8 v32, v26, v37, v32 neg_lo:[1,1,0]
	s_delay_alu instid0(VALU_DEP_1) | instskip(NEXT) | instid1(VALU_DEP_1)
	v_dot4_i32_iu8 v32, v27, v38, v32 neg_lo:[1,1,0]
	v_dot4_i32_iu8 v32, v29, v39, v32 neg_lo:[1,1,0]
	s_delay_alu instid0(VALU_DEP_1) | instskip(NEXT) | instid1(VALU_DEP_1)
	v_mul_lo_u32 v32, v32, v30
	v_ashrrev_i32_e32 v33, 31, v32
	s_delay_alu instid0(VALU_DEP_1) | instskip(NEXT) | instid1(VALU_DEP_1)
	v_lshrrev_b32_e32 v33, 29, v33
	v_add_nc_u32_e32 v32, v32, v33
	s_delay_alu instid0(VALU_DEP_1) | instskip(NEXT) | instid1(VALU_DEP_1)
	v_ashrrev_i32_e32 v32, 3, v32
	v_cvt_f32_i32_e32 v32, v32
	s_delay_alu instid0(VALU_DEP_1)
	v_fmac_f32_e32 v14, v31, v32
	s_clause 0x2
	global_load_b128 v[31:34], v[35:36], off
	global_load_b32 v39, v[35:36], off offset:32
	global_load_b128 v[35:38], v[35:36], off offset:16
	s_wait_loadcnt 0x2
	v_dot4_i32_iu8 v32, v21, v32, 0 neg_lo:[1,1,0]
	v_cvt_f32_f16_e32 v31, v31
	s_delay_alu instid0(VALU_DEP_2) | instskip(NEXT) | instid1(VALU_DEP_2)
	;; [unrolled: 33-line block ×5, first 2 shown]
	v_dot4_i32_iu8 v32, v22, v33, v32 neg_lo:[1,1,0]
	v_mul_f32_e32 v31, v28, v31
	s_delay_alu instid0(VALU_DEP_2) | instskip(SKIP_1) | instid1(VALU_DEP_1)
	v_dot4_i32_iu8 v32, v23, v34, v32 neg_lo:[1,1,0]
	s_wait_loadcnt 0x0
	v_dot4_i32_iu8 v32, v24, v35, v32 neg_lo:[1,1,0]
	s_delay_alu instid0(VALU_DEP_1) | instskip(SKIP_2) | instid1(VALU_DEP_3)
	v_dot4_i32_iu8 v32, v25, v36, v32 neg_lo:[1,1,0]
	v_mad_co_u64_u32 v[35:36], null, v2, 36, v[0:1]
	v_add_nc_u32_e32 v2, 32, v2
	v_dot4_i32_iu8 v32, v26, v37, v32 neg_lo:[1,1,0]
	s_delay_alu instid0(VALU_DEP_1) | instskip(NEXT) | instid1(VALU_DEP_1)
	v_dot4_i32_iu8 v32, v27, v38, v32 neg_lo:[1,1,0]
	v_dot4_i32_iu8 v32, v29, v39, v32 neg_lo:[1,1,0]
	s_delay_alu instid0(VALU_DEP_1) | instskip(NEXT) | instid1(VALU_DEP_1)
	v_mul_lo_u32 v32, v32, v30
	v_ashrrev_i32_e32 v33, 31, v32
	s_delay_alu instid0(VALU_DEP_1) | instskip(NEXT) | instid1(VALU_DEP_1)
	v_lshrrev_b32_e32 v33, 29, v33
	v_add_nc_u32_e32 v32, v32, v33
	s_delay_alu instid0(VALU_DEP_1) | instskip(NEXT) | instid1(VALU_DEP_1)
	v_ashrrev_i32_e32 v32, 3, v32
	v_cvt_f32_i32_e32 v32, v32
	s_delay_alu instid0(VALU_DEP_1)
	v_fmac_f32_e32 v8, v31, v32
	s_clause 0x2
	global_load_b128 v[31:34], v[35:36], off
	global_load_b32 v39, v[35:36], off offset:32
	global_load_b128 v[35:38], v[35:36], off offset:16
	s_wait_loadcnt 0x2
	v_dot4_i32_iu8 v21, v21, v32, 0 neg_lo:[1,1,0]
	s_delay_alu instid0(VALU_DEP_1) | instskip(NEXT) | instid1(VALU_DEP_1)
	v_dot4_i32_iu8 v21, v22, v33, v21 neg_lo:[1,1,0]
	v_dot4_i32_iu8 v21, v23, v34, v21 neg_lo:[1,1,0]
	s_wait_loadcnt 0x0
	s_delay_alu instid0(VALU_DEP_1) | instskip(NEXT) | instid1(VALU_DEP_1)
	v_dot4_i32_iu8 v21, v24, v35, v21 neg_lo:[1,1,0]
	v_dot4_i32_iu8 v21, v25, v36, v21 neg_lo:[1,1,0]
	s_delay_alu instid0(VALU_DEP_1) | instskip(NEXT) | instid1(VALU_DEP_1)
	v_dot4_i32_iu8 v21, v26, v37, v21 neg_lo:[1,1,0]
	v_dot4_i32_iu8 v21, v27, v38, v21 neg_lo:[1,1,0]
	s_delay_alu instid0(VALU_DEP_1) | instskip(NEXT) | instid1(VALU_DEP_1)
	v_dot4_i32_iu8 v21, v29, v39, v21 neg_lo:[1,1,0]
	v_mul_lo_u32 v21, v21, v30
	s_delay_alu instid0(VALU_DEP_1) | instskip(NEXT) | instid1(VALU_DEP_1)
	v_ashrrev_i32_e32 v22, 31, v21
	v_lshrrev_b32_e32 v22, 29, v22
	s_delay_alu instid0(VALU_DEP_1) | instskip(SKIP_1) | instid1(VALU_DEP_2)
	v_add_nc_u32_e32 v21, v21, v22
	v_cvt_f32_f16_e32 v22, v31
	v_ashrrev_i32_e32 v21, 3, v21
	s_delay_alu instid0(VALU_DEP_2) | instskip(NEXT) | instid1(VALU_DEP_2)
	v_mul_f32_e32 v22, v28, v22
	v_cvt_f32_i32_e32 v21, v21
	s_delay_alu instid0(VALU_DEP_1)
	v_fmac_f32_e32 v7, v22, v21
	s_wait_alu 0xfffe
	s_and_not1_b32 exec_lo, exec_lo, s3
	s_cbranch_execnz .LBB166_2
; %bb.3:
	s_or_b32 exec_lo, exec_lo, s3
.LBB166_4:
	s_delay_alu instid0(SALU_CYCLE_1)
	s_or_b32 exec_lo, exec_lo, s21
	s_mov_b32 s3, 0
	; wave barrier
	global_inv scope:SCOPE_SE
	s_mov_b32 s2, exec_lo
	v_cmpx_eq_u32_e32 0, v13
	s_cbranch_execz .LBB166_19
; %bb.5:
	v_mbcnt_lo_u32_b32 v4, -1, 0
	s_load_b64 s[0:1], s[0:1], 0x38
	s_mul_i32 s2, s10, s19
	s_mul_i32 s4, s18, s20
	s_wait_alu 0xfffe
	s_add_co_i32 s2, s2, ttmp9
	v_xor_b32_e32 v0, 16, v4
	v_xor_b32_e32 v1, 8, v4
	;; [unrolled: 1-line block ×3, first 2 shown]
	s_wait_alu 0xfffe
	s_add_co_i32 s2, s2, s4
	s_wait_alu 0xfffe
	s_lshl_b64 s[2:3], s[2:3], 2
	v_cmp_gt_i32_e32 vcc_lo, 32, v0
	s_wait_alu 0xfffd
	v_cndmask_b32_e32 v0, v4, v0, vcc_lo
	v_cmp_gt_i32_e32 vcc_lo, 32, v1
	s_wait_kmcnt 0x0
	s_wait_alu 0xfffe
	s_add_nc_u64 s[0:1], s[0:1], s[2:3]
	s_wait_alu 0xfffd
	v_cndmask_b32_e32 v1, v4, v1, vcc_lo
	s_delay_alu instid0(VALU_DEP_1)
	v_lshlrev_b32_e32 v1, 2, v1
	v_lshlrev_b32_e32 v0, 2, v0
	ds_bpermute_b32 v2, v0, v16
	s_wait_dscnt 0x0
	v_add_f32_e32 v3, v16, v2
	v_xor_b32_e32 v2, 4, v4
	ds_bpermute_b32 v5, v1, v3
	v_cmp_gt_i32_e32 vcc_lo, 32, v2
	s_wait_dscnt 0x0
	s_wait_alu 0xfffd
	v_dual_cndmask_b32 v2, v4, v2 :: v_dual_add_f32 v5, v3, v5
	s_delay_alu instid0(VALU_DEP_1)
	v_lshlrev_b32_e32 v2, 2, v2
	v_xor_b32_e32 v3, 2, v4
	ds_bpermute_b32 v6, v2, v5
	v_cmp_gt_i32_e32 vcc_lo, 32, v3
	s_wait_alu 0xfffd
	v_cndmask_b32_e32 v3, v4, v3, vcc_lo
	v_cmp_gt_i32_e32 vcc_lo, 32, v13
	s_wait_alu 0xfffd
	v_cndmask_b32_e32 v4, v4, v13, vcc_lo
	v_cmp_eq_u32_e32 vcc_lo, 0, v9
	s_delay_alu instid0(VALU_DEP_2)
	v_lshlrev_b32_e32 v4, 2, v4
	v_lshlrev_b32_e32 v3, 2, v3
	s_wait_dscnt 0x0
	v_add_f32_e32 v5, v5, v6
	ds_bpermute_b32 v6, v3, v5
	s_wait_dscnt 0x0
	v_add_f32_e32 v5, v5, v6
	ds_bpermute_b32 v6, v4, v5
	s_and_saveexec_b32 s2, vcc_lo
	s_cbranch_execz .LBB166_7
; %bb.6:
	s_wait_dscnt 0x0
	v_dual_add_f32 v5, v5, v6 :: v_dual_mov_b32 v6, 0
	global_store_b32 v6, v5, s[0:1]
.LBB166_7:
	s_wait_alu 0xfffe
	s_or_b32 exec_lo, exec_lo, s2
	ds_bpermute_b32 v5, v0, v14
	s_wait_dscnt 0x0
	v_add_f32_e32 v5, v14, v5
	ds_bpermute_b32 v6, v1, v5
	s_wait_dscnt 0x0
	v_add_f32_e32 v5, v5, v6
	;; [unrolled: 3-line block ×4, first 2 shown]
	ds_bpermute_b32 v6, v4, v5
	s_and_saveexec_b32 s2, vcc_lo
	s_cbranch_execz .LBB166_9
; %bb.8:
	s_mov_b32 s7, 0
	s_wait_dscnt 0x0
	v_dual_add_f32 v5, v5, v6 :: v_dual_mov_b32 v6, 0
	s_wait_alu 0xfffe
	s_lshl_b64 s[4:5], s[6:7], 2
	s_wait_alu 0xfffe
	s_add_nc_u64 s[4:5], s[0:1], s[4:5]
	global_store_b32 v6, v5, s[4:5]
.LBB166_9:
	s_wait_alu 0xfffe
	s_or_b32 exec_lo, exec_lo, s2
	ds_bpermute_b32 v5, v0, v12
	s_wait_dscnt 0x0
	v_add_f32_e32 v5, v12, v5
	ds_bpermute_b32 v6, v1, v5
	s_wait_dscnt 0x0
	v_add_f32_e32 v5, v5, v6
	;; [unrolled: 3-line block ×4, first 2 shown]
	ds_bpermute_b32 v6, v4, v5
	s_and_saveexec_b32 s2, vcc_lo
	s_cbranch_execz .LBB166_11
; %bb.10:
	s_lshl_b32 s4, s6, 1
	s_mov_b32 s5, 0
	s_wait_dscnt 0x0
	v_dual_add_f32 v5, v5, v6 :: v_dual_mov_b32 v6, 0
	s_wait_alu 0xfffe
	s_lshl_b64 s[4:5], s[4:5], 2
	s_wait_alu 0xfffe
	s_add_nc_u64 s[4:5], s[0:1], s[4:5]
	global_store_b32 v6, v5, s[4:5]
.LBB166_11:
	s_wait_alu 0xfffe
	s_or_b32 exec_lo, exec_lo, s2
	ds_bpermute_b32 v5, v0, v11
	s_wait_dscnt 0x0
	v_add_f32_e32 v5, v11, v5
	ds_bpermute_b32 v6, v1, v5
	s_wait_dscnt 0x0
	v_add_f32_e32 v5, v5, v6
	;; [unrolled: 3-line block ×4, first 2 shown]
	ds_bpermute_b32 v6, v4, v5
	s_and_saveexec_b32 s2, vcc_lo
	s_cbranch_execz .LBB166_13
; %bb.12:
	s_mul_i32 s4, s6, 3
	s_mov_b32 s5, 0
	s_wait_dscnt 0x0
	v_dual_add_f32 v5, v5, v6 :: v_dual_mov_b32 v6, 0
	s_wait_alu 0xfffe
	s_lshl_b64 s[4:5], s[4:5], 2
	s_wait_alu 0xfffe
	s_add_nc_u64 s[4:5], s[0:1], s[4:5]
	global_store_b32 v6, v5, s[4:5]
.LBB166_13:
	s_wait_alu 0xfffe
	s_or_b32 exec_lo, exec_lo, s2
	ds_bpermute_b32 v5, v0, v10
	s_wait_dscnt 0x0
	v_add_f32_e32 v5, v10, v5
	ds_bpermute_b32 v6, v1, v5
	s_wait_dscnt 0x0
	v_add_f32_e32 v5, v5, v6
	;; [unrolled: 3-line block ×4, first 2 shown]
	ds_bpermute_b32 v6, v4, v5
	s_and_saveexec_b32 s2, vcc_lo
	s_cbranch_execz .LBB166_15
; %bb.14:
	s_lshl_b32 s4, s6, 2
	s_mov_b32 s5, 0
	s_wait_dscnt 0x0
	v_dual_add_f32 v5, v5, v6 :: v_dual_mov_b32 v6, 0
	s_wait_alu 0xfffe
	s_lshl_b64 s[4:5], s[4:5], 2
	s_wait_alu 0xfffe
	s_add_nc_u64 s[4:5], s[0:1], s[4:5]
	global_store_b32 v6, v5, s[4:5]
.LBB166_15:
	s_wait_alu 0xfffe
	s_or_b32 exec_lo, exec_lo, s2
	ds_bpermute_b32 v5, v0, v8
	s_wait_dscnt 0x0
	v_add_f32_e32 v5, v8, v5
	ds_bpermute_b32 v6, v1, v5
	s_wait_dscnt 0x0
	v_add_f32_e32 v5, v5, v6
	;; [unrolled: 3-line block ×4, first 2 shown]
	ds_bpermute_b32 v6, v4, v5
	s_and_saveexec_b32 s2, vcc_lo
	s_cbranch_execz .LBB166_17
; %bb.16:
	s_mul_i32 s4, s6, 5
	s_mov_b32 s5, 0
	s_wait_dscnt 0x0
	v_dual_add_f32 v5, v5, v6 :: v_dual_mov_b32 v6, 0
	s_wait_alu 0xfffe
	s_lshl_b64 s[4:5], s[4:5], 2
	s_wait_alu 0xfffe
	s_add_nc_u64 s[4:5], s[0:1], s[4:5]
	global_store_b32 v6, v5, s[4:5]
.LBB166_17:
	s_wait_alu 0xfffe
	s_or_b32 exec_lo, exec_lo, s2
	ds_bpermute_b32 v0, v0, v7
	s_wait_dscnt 0x0
	v_add_f32_e32 v0, v7, v0
	ds_bpermute_b32 v1, v1, v0
	s_wait_dscnt 0x0
	v_add_f32_e32 v0, v0, v1
	;; [unrolled: 3-line block ×4, first 2 shown]
	ds_bpermute_b32 v1, v4, v0
	s_and_b32 exec_lo, exec_lo, vcc_lo
	s_cbranch_execz .LBB166_19
; %bb.18:
	s_mul_i32 s2, s6, 6
	s_mov_b32 s3, 0
	s_wait_dscnt 0x0
	v_dual_add_f32 v0, v0, v1 :: v_dual_mov_b32 v1, 0
	s_wait_alu 0xfffe
	s_lshl_b64 s[2:3], s[2:3], 2
	s_wait_alu 0xfffe
	s_add_nc_u64 s[0:1], s[0:1], s[2:3]
	global_store_b32 v1, v0, s[0:1]
.LBB166_19:
	s_endpgm
	.section	.rodata,"a",@progbits
	.p2align	6, 0x0
	.amdhsa_kernel _ZL13mul_mat_vec_qIL9ggml_type16ELi7ELb0ELb0EEvPKvS2_PKi31ggml_cuda_mm_fusion_args_devicePfj15HIP_vector_typeIjLj3EEjjjS8_jjjS8_jjjj
		.amdhsa_group_segment_fixed_size 0
		.amdhsa_private_segment_fixed_size 0
		.amdhsa_kernarg_size 144
		.amdhsa_user_sgpr_count 2
		.amdhsa_user_sgpr_dispatch_ptr 0
		.amdhsa_user_sgpr_queue_ptr 0
		.amdhsa_user_sgpr_kernarg_segment_ptr 1
		.amdhsa_user_sgpr_dispatch_id 0
		.amdhsa_user_sgpr_private_segment_size 0
		.amdhsa_wavefront_size32 1
		.amdhsa_uses_dynamic_stack 0
		.amdhsa_enable_private_segment 0
		.amdhsa_system_sgpr_workgroup_id_x 1
		.amdhsa_system_sgpr_workgroup_id_y 1
		.amdhsa_system_sgpr_workgroup_id_z 1
		.amdhsa_system_sgpr_workgroup_info 0
		.amdhsa_system_vgpr_workitem_id 1
		.amdhsa_next_free_vgpr 40
		.amdhsa_next_free_sgpr 30
		.amdhsa_reserve_vcc 1
		.amdhsa_float_round_mode_32 0
		.amdhsa_float_round_mode_16_64 0
		.amdhsa_float_denorm_mode_32 3
		.amdhsa_float_denorm_mode_16_64 3
		.amdhsa_fp16_overflow 0
		.amdhsa_workgroup_processor_mode 1
		.amdhsa_memory_ordered 1
		.amdhsa_forward_progress 1
		.amdhsa_inst_pref_size 46
		.amdhsa_round_robin_scheduling 0
		.amdhsa_exception_fp_ieee_invalid_op 0
		.amdhsa_exception_fp_denorm_src 0
		.amdhsa_exception_fp_ieee_div_zero 0
		.amdhsa_exception_fp_ieee_overflow 0
		.amdhsa_exception_fp_ieee_underflow 0
		.amdhsa_exception_fp_ieee_inexact 0
		.amdhsa_exception_int_div_zero 0
	.end_amdhsa_kernel
	.section	.text._ZL13mul_mat_vec_qIL9ggml_type16ELi7ELb0ELb0EEvPKvS2_PKi31ggml_cuda_mm_fusion_args_devicePfj15HIP_vector_typeIjLj3EEjjjS8_jjjS8_jjjj,"axG",@progbits,_ZL13mul_mat_vec_qIL9ggml_type16ELi7ELb0ELb0EEvPKvS2_PKi31ggml_cuda_mm_fusion_args_devicePfj15HIP_vector_typeIjLj3EEjjjS8_jjjS8_jjjj,comdat
.Lfunc_end166:
	.size	_ZL13mul_mat_vec_qIL9ggml_type16ELi7ELb0ELb0EEvPKvS2_PKi31ggml_cuda_mm_fusion_args_devicePfj15HIP_vector_typeIjLj3EEjjjS8_jjjS8_jjjj, .Lfunc_end166-_ZL13mul_mat_vec_qIL9ggml_type16ELi7ELb0ELb0EEvPKvS2_PKi31ggml_cuda_mm_fusion_args_devicePfj15HIP_vector_typeIjLj3EEjjjS8_jjjS8_jjjj
                                        ; -- End function
	.set _ZL13mul_mat_vec_qIL9ggml_type16ELi7ELb0ELb0EEvPKvS2_PKi31ggml_cuda_mm_fusion_args_devicePfj15HIP_vector_typeIjLj3EEjjjS8_jjjS8_jjjj.num_vgpr, 40
	.set _ZL13mul_mat_vec_qIL9ggml_type16ELi7ELb0ELb0EEvPKvS2_PKi31ggml_cuda_mm_fusion_args_devicePfj15HIP_vector_typeIjLj3EEjjjS8_jjjS8_jjjj.num_agpr, 0
	.set _ZL13mul_mat_vec_qIL9ggml_type16ELi7ELb0ELb0EEvPKvS2_PKi31ggml_cuda_mm_fusion_args_devicePfj15HIP_vector_typeIjLj3EEjjjS8_jjjS8_jjjj.numbered_sgpr, 30
	.set _ZL13mul_mat_vec_qIL9ggml_type16ELi7ELb0ELb0EEvPKvS2_PKi31ggml_cuda_mm_fusion_args_devicePfj15HIP_vector_typeIjLj3EEjjjS8_jjjS8_jjjj.num_named_barrier, 0
	.set _ZL13mul_mat_vec_qIL9ggml_type16ELi7ELb0ELb0EEvPKvS2_PKi31ggml_cuda_mm_fusion_args_devicePfj15HIP_vector_typeIjLj3EEjjjS8_jjjS8_jjjj.private_seg_size, 0
	.set _ZL13mul_mat_vec_qIL9ggml_type16ELi7ELb0ELb0EEvPKvS2_PKi31ggml_cuda_mm_fusion_args_devicePfj15HIP_vector_typeIjLj3EEjjjS8_jjjS8_jjjj.uses_vcc, 1
	.set _ZL13mul_mat_vec_qIL9ggml_type16ELi7ELb0ELb0EEvPKvS2_PKi31ggml_cuda_mm_fusion_args_devicePfj15HIP_vector_typeIjLj3EEjjjS8_jjjS8_jjjj.uses_flat_scratch, 0
	.set _ZL13mul_mat_vec_qIL9ggml_type16ELi7ELb0ELb0EEvPKvS2_PKi31ggml_cuda_mm_fusion_args_devicePfj15HIP_vector_typeIjLj3EEjjjS8_jjjS8_jjjj.has_dyn_sized_stack, 0
	.set _ZL13mul_mat_vec_qIL9ggml_type16ELi7ELb0ELb0EEvPKvS2_PKi31ggml_cuda_mm_fusion_args_devicePfj15HIP_vector_typeIjLj3EEjjjS8_jjjS8_jjjj.has_recursion, 0
	.set _ZL13mul_mat_vec_qIL9ggml_type16ELi7ELb0ELb0EEvPKvS2_PKi31ggml_cuda_mm_fusion_args_devicePfj15HIP_vector_typeIjLj3EEjjjS8_jjjS8_jjjj.has_indirect_call, 0
	.section	.AMDGPU.csdata,"",@progbits
; Kernel info:
; codeLenInByte = 5784
; TotalNumSgprs: 32
; NumVgprs: 40
; ScratchSize: 0
; MemoryBound: 0
; FloatMode: 240
; IeeeMode: 1
; LDSByteSize: 0 bytes/workgroup (compile time only)
; SGPRBlocks: 0
; VGPRBlocks: 4
; NumSGPRsForWavesPerEU: 32
; NumVGPRsForWavesPerEU: 40
; Occupancy: 16
; WaveLimiterHint : 0
; COMPUTE_PGM_RSRC2:SCRATCH_EN: 0
; COMPUTE_PGM_RSRC2:USER_SGPR: 2
; COMPUTE_PGM_RSRC2:TRAP_HANDLER: 0
; COMPUTE_PGM_RSRC2:TGID_X_EN: 1
; COMPUTE_PGM_RSRC2:TGID_Y_EN: 1
; COMPUTE_PGM_RSRC2:TGID_Z_EN: 1
; COMPUTE_PGM_RSRC2:TIDIG_COMP_CNT: 1
	.section	.text._ZL13mul_mat_vec_qIL9ggml_type16ELi8ELb0ELb0EEvPKvS2_PKi31ggml_cuda_mm_fusion_args_devicePfj15HIP_vector_typeIjLj3EEjjjS8_jjjS8_jjjj,"axG",@progbits,_ZL13mul_mat_vec_qIL9ggml_type16ELi8ELb0ELb0EEvPKvS2_PKi31ggml_cuda_mm_fusion_args_devicePfj15HIP_vector_typeIjLj3EEjjjS8_jjjS8_jjjj,comdat
	.globl	_ZL13mul_mat_vec_qIL9ggml_type16ELi8ELb0ELb0EEvPKvS2_PKi31ggml_cuda_mm_fusion_args_devicePfj15HIP_vector_typeIjLj3EEjjjS8_jjjS8_jjjj ; -- Begin function _ZL13mul_mat_vec_qIL9ggml_type16ELi8ELb0ELb0EEvPKvS2_PKi31ggml_cuda_mm_fusion_args_devicePfj15HIP_vector_typeIjLj3EEjjjS8_jjjS8_jjjj
	.p2align	8
	.type	_ZL13mul_mat_vec_qIL9ggml_type16ELi8ELb0ELb0EEvPKvS2_PKi31ggml_cuda_mm_fusion_args_devicePfj15HIP_vector_typeIjLj3EEjjjS8_jjjS8_jjjj,@function
_ZL13mul_mat_vec_qIL9ggml_type16ELi8ELb0ELb0EEvPKvS2_PKi31ggml_cuda_mm_fusion_args_devicePfj15HIP_vector_typeIjLj3EEjjjS8_jjjS8_jjjj: ; @_ZL13mul_mat_vec_qIL9ggml_type16ELi8ELb0ELb0EEvPKvS2_PKi31ggml_cuda_mm_fusion_args_devicePfj15HIP_vector_typeIjLj3EEjjjS8_jjjS8_jjjj
; %bb.0:
	s_clause 0x5
	s_load_b96 s[16:18], s[0:1], 0x80
	s_load_b32 s3, s[0:1], 0x40
	s_load_b128 s[4:7], s[0:1], 0x50
	s_load_b32 s2, s[0:1], 0x60
	s_load_b128 s[8:11], s[0:1], 0x68
	s_load_b32 s23, s[0:1], 0x78
	v_bfe_u32 v11, v0, 10, 10
	v_dual_mov_b32 v5, 0 :: v_dual_and_b32 v8, 0x3ff, v0
	v_dual_mov_b32 v4, 0 :: v_dual_mov_b32 v7, 0
	v_dual_mov_b32 v6, 0 :: v_dual_mov_b32 v9, 0
	s_delay_alu instid0(VALU_DEP_3)
	v_lshl_or_b32 v0, v11, 5, v8
	v_mov_b32_e32 v10, 0
	v_mov_b32_e32 v12, 0
	;; [unrolled: 1-line block ×3, first 2 shown]
	s_and_b32 s19, ttmp7, 0xffff
	v_lshrrev_b32_e32 v13, 3, v0
	s_lshr_b32 s20, ttmp7, 16
	s_mov_b32 s21, exec_lo
	s_wait_kmcnt 0x0
	s_lshr_b32 s22, s3, 8
	s_delay_alu instid0(SALU_CYCLE_1)
	v_cmpx_gt_u32_e64 s22, v13
	s_cbranch_execz .LBB167_4
; %bb.1:
	v_lshl_add_u32 v0, v11, 5, v8
	s_mul_hi_u32 s3, s7, s19
	s_mul_i32 s24, s9, s19
	s_add_co_i32 s7, s19, s3
	s_mov_b32 s3, 0
	v_lshrrev_b32_e32 v0, 3, v0
	s_mov_b32 s25, s3
	s_load_b128 s[12:15], s[0:1], 0x0
	s_mul_u64 s[24:25], s[24:25], 36
	s_lshr_b32 s7, s7, s2
	v_mad_co_u64_u32 v[0:1], null, 0x120, v0, s[24:25]
	s_mul_i32 s2, s17, s20
	v_lshlrev_b32_e32 v2, 1, v8
	v_dual_mov_b32 v4, 0 :: v_dual_and_b32 v5, 7, v8
	v_mov_b32_e32 v7, 0
	s_mul_hi_u32 s9, s11, s20
	v_mad_co_u64_u32 v[0:1], null, s2, 36, v[0:1]
	v_and_b32_e32 v2, 14, v2
	s_add_co_i32 s9, s20, s9
	s_mul_u64 s[26:27], s[2:3], 36
	s_mul_i32 s7, s7, s8
	s_lshr_b32 s8, s9, s23
	v_dual_mov_b32 v9, 0 :: v_dual_lshlrev_b32 v6, 1, v2
	s_delay_alu instid0(VALU_DEP_3)
	v_mad_co_u64_u32 v[2:3], null, v5, 36, v[0:1]
	s_mul_i32 s11, s8, s16
	s_wait_kmcnt 0x0
	s_add_nc_u64 s[8:9], s[14:15], s[26:27]
	s_mul_i32 s4, s4, ttmp9
	s_add_nc_u64 s[8:9], s[8:9], s[24:25]
	v_lshlrev_b32_e32 v15, 3, v13
	v_mad_co_u64_u32 v[0:1], null, v5, 36, s[8:9]
	v_add_co_u32 v2, vcc_lo, s14, v2
	s_delay_alu instid0(VALU_DEP_1) | instskip(SKIP_1) | instid1(VALU_DEP_3)
	v_add_co_ci_u32_e64 v3, null, s15, v3, vcc_lo
	v_lshlrev_b32_e32 v16, 1, v6
	v_add_co_u32 v2, vcc_lo, v2, 16
	s_wait_alu 0xfffd
	s_delay_alu instid0(VALU_DEP_3)
	v_add_co_ci_u32_e64 v3, null, 0, v3, vcc_lo
	v_dual_mov_b32 v5, 0 :: v_dual_mov_b32 v6, 0
	v_mov_b32_e32 v10, 0
	v_mov_b32_e32 v12, 0
	;; [unrolled: 1-line block ×3, first 2 shown]
	s_add_co_i32 s7, s7, s4
	s_mul_i32 s14, s5, 5
	s_add_co_i32 s4, s11, s7
	s_mul_i32 s7, s5, 7
	s_mul_i32 s11, s5, 6
	s_lshl_b32 s15, s5, 2
	s_mul_i32 s16, s5, 3
	s_lshl_b32 s17, s5, 1
.LBB167_2:                              ; =>This Inner Loop Header: Depth=1
	v_add_nc_u32_e32 v17, s4, v13
	s_getpc_b64 s[8:9]
	s_wait_alu 0xfffe
	s_sext_i32_i16 s9, s9
	s_add_co_u32 s8, s8, _ZL11iq2xxs_grid@rel32@lo+12
	s_wait_alu 0xfffe
	s_add_co_ci_u32 s9, s9, _ZL11iq2xxs_grid@rel32@hi+24
	v_add_nc_u32_e32 v13, 4, v13
	v_mad_co_i64_i32 v[27:28], null, 0x42, v17, s[12:13]
	s_delay_alu instid0(VALU_DEP_1) | instskip(SKIP_1) | instid1(VALU_DEP_2)
	v_add_co_u32 v17, vcc_lo, v27, v16
	s_wait_alu 0xfffd
	v_add_co_ci_u32_e64 v18, null, 0, v28, vcc_lo
	global_load_b64 v[23:24], v[17:18], off offset:2
	s_wait_loadcnt 0x0
	v_and_b32_e32 v17, 0xff, v23
	v_and_b32_e32 v19, 0xff, v24
	s_delay_alu instid0(VALU_DEP_2) | instskip(NEXT) | instid1(VALU_DEP_2)
	v_lshlrev_b32_e32 v17, 3, v17
	v_bcnt_u32_b32 v20, v19, 0
	global_load_b64 v[17:18], v17, s[8:9]
	v_and_b32_e32 v20, 1, v20
	s_delay_alu instid0(VALU_DEP_1) | instskip(NEXT) | instid1(VALU_DEP_1)
	v_lshlrev_b32_e32 v20, 7, v20
	v_xor_b32_e32 v19, v20, v19
	s_delay_alu instid0(VALU_DEP_1) | instskip(NEXT) | instid1(VALU_DEP_1)
	v_mul_lo_u32 v19, 0x1010101, v19
	v_and_b32_e32 v20, 0x8040201, v19
	s_delay_alu instid0(VALU_DEP_1) | instskip(SKIP_1) | instid1(VALU_DEP_2)
	v_lshrrev_b16 v21, 8, v20
	v_lshrrev_b32_e32 v20, 24, v20
	v_cmp_ne_u16_e64 s2, 0, v21
	s_delay_alu instid0(VALU_DEP_2)
	v_cmp_ne_u16_e32 vcc_lo, 0, v20
	v_lshrrev_b32_e32 v20, 18, v19
	v_bfe_i32 v21, v19, 0, 1
	s_wait_alu 0xf1ff
	v_cndmask_b32_e64 v25, 0, -1, s2
	s_wait_alu 0xfffd
	v_cndmask_b32_e64 v29, 0, -1, vcc_lo
	v_bfe_i32 v20, v20, 0, 1
	v_and_b32_e32 v22, 0xff, v21
	v_lshlrev_b16 v21, 8, v21
	v_lshlrev_b16 v25, 8, v25
	;; [unrolled: 1-line block ×3, first 2 shown]
	v_and_b32_e32 v26, 0xff, v20
	v_lshlrev_b16 v20, 8, v20
	s_delay_alu instid0(VALU_DEP_4) | instskip(NEXT) | instid1(VALU_DEP_3)
	v_or_b32_e32 v22, v22, v25
	v_or_b32_e32 v26, v26, v29
	s_delay_alu instid0(VALU_DEP_2) | instskip(NEXT) | instid1(VALU_DEP_2)
	v_and_b32_e32 v22, 0xffff, v22
	v_lshlrev_b32_e32 v26, 16, v26
	s_delay_alu instid0(VALU_DEP_1) | instskip(SKIP_1) | instid1(VALU_DEP_1)
	v_or_b32_e32 v22, v22, v26
	s_wait_loadcnt 0x0
	v_xor_b32_e32 v17, v17, v22
	s_delay_alu instid0(VALU_DEP_1) | instskip(SKIP_2) | instid1(VALU_DEP_2)
	v_lshrrev_b32_e32 v22, 16, v17
	v_and_b32_e32 v26, 0xffffff00, v17
	v_lshlrev_b16 v17, 8, v17
	v_sub_nc_i16 v25, v26, v25 clamp
	s_delay_alu instid0(VALU_DEP_2) | instskip(SKIP_2) | instid1(VALU_DEP_3)
	v_sub_nc_i16 v17, v17, v21 clamp
	v_and_b32_e32 v21, 0xffffff00, v22
	v_lshlrev_b16 v22, 8, v22
	v_perm_b32 v17, v17, v25, 0xc0c0105
	s_delay_alu instid0(VALU_DEP_3) | instskip(NEXT) | instid1(VALU_DEP_3)
	v_sub_nc_i16 v21, v21, v29 clamp
	v_sub_nc_i16 v20, v22, v20 clamp
	s_delay_alu instid0(VALU_DEP_1) | instskip(NEXT) | instid1(VALU_DEP_1)
	v_perm_b32 v20, v20, v21, 0xc0c0105
	v_lshl_or_b32 v17, v20, 16, v17
	v_and_b32_e32 v20, 0x80402010, v19
	v_lshrrev_b32_e32 v19, 22, v19
	s_delay_alu instid0(VALU_DEP_2) | instskip(SKIP_2) | instid1(VALU_DEP_4)
	v_lshrrev_b16 v21, 8, v20
	v_lshrrev_b32_e32 v22, 24, v20
	v_lshrrev_b16 v20, 4, v20
	v_bfe_i32 v19, v19, 0, 1
	s_delay_alu instid0(VALU_DEP_4) | instskip(NEXT) | instid1(VALU_DEP_4)
	v_cmp_ne_u16_e64 s2, 0, v21
	v_cmp_ne_u16_e32 vcc_lo, 0, v22
	s_delay_alu instid0(VALU_DEP_4) | instskip(NEXT) | instid1(VALU_DEP_4)
	v_bfe_i32 v20, v20, 0, 1
	v_and_b32_e32 v25, 0xff, v19
	v_lshlrev_b16 v19, 8, v19
	s_wait_alu 0xf1ff
	v_cndmask_b32_e64 v22, 0, -1, s2
	s_wait_alu 0xfffd
	v_cndmask_b32_e64 v26, 0, -1, vcc_lo
	v_and_b32_e32 v21, 0xff, v20
	v_lshlrev_b16 v20, 8, v20
	v_lshlrev_b16 v22, 8, v22
	s_delay_alu instid0(VALU_DEP_4) | instskip(NEXT) | instid1(VALU_DEP_2)
	v_lshlrev_b16 v26, 8, v26
	v_or_b32_e32 v21, v21, v22
	s_delay_alu instid0(VALU_DEP_2) | instskip(NEXT) | instid1(VALU_DEP_2)
	v_or_b32_e32 v25, v25, v26
	v_and_b32_e32 v21, 0xffff, v21
	s_delay_alu instid0(VALU_DEP_2) | instskip(NEXT) | instid1(VALU_DEP_1)
	v_lshlrev_b32_e32 v25, 16, v25
	v_or_b32_e32 v21, v21, v25
	s_delay_alu instid0(VALU_DEP_1) | instskip(NEXT) | instid1(VALU_DEP_1)
	v_xor_b32_e32 v18, v18, v21
	v_lshrrev_b32_e32 v21, 16, v18
	v_and_b32_e32 v25, 0xffffff00, v18
	v_lshlrev_b16 v18, 8, v18
	s_delay_alu instid0(VALU_DEP_2) | instskip(NEXT) | instid1(VALU_DEP_2)
	v_sub_nc_i16 v22, v25, v22 clamp
	v_sub_nc_i16 v18, v18, v20 clamp
	v_and_b32_e32 v20, 0xffffff00, v21
	v_lshlrev_b16 v21, 8, v21
	s_delay_alu instid0(VALU_DEP_3) | instskip(NEXT) | instid1(VALU_DEP_3)
	v_perm_b32 v18, v18, v22, 0xc0c0105
	v_sub_nc_i16 v20, v20, v26 clamp
	s_delay_alu instid0(VALU_DEP_3) | instskip(SKIP_1) | instid1(VALU_DEP_2)
	v_sub_nc_i16 v19, v21, v19 clamp
	v_bfe_u32 v21, v24, 7, 8
	v_perm_b32 v19, v19, v20, 0xc0c0105
	s_delay_alu instid0(VALU_DEP_2) | instskip(NEXT) | instid1(VALU_DEP_2)
	v_bcnt_u32_b32 v22, v21, 0
	v_lshl_or_b32 v18, v19, 16, v18
	v_lshrrev_b32_e32 v19, 5, v23
	s_delay_alu instid0(VALU_DEP_3) | instskip(NEXT) | instid1(VALU_DEP_2)
	v_and_b32_e32 v22, 1, v22
	v_and_b32_e32 v19, 0x7f8, v19
	s_delay_alu instid0(VALU_DEP_2) | instskip(SKIP_2) | instid1(VALU_DEP_1)
	v_lshlrev_b32_e32 v22, 7, v22
	global_load_b64 v[19:20], v19, s[8:9]
	v_xor_b32_e32 v21, v22, v21
	v_mul_lo_u32 v21, 0x1010101, v21
	s_delay_alu instid0(VALU_DEP_1) | instskip(NEXT) | instid1(VALU_DEP_1)
	v_and_b32_e32 v22, 0x8040201, v21
	v_lshrrev_b16 v25, 8, v22
	v_lshrrev_b32_e32 v22, 24, v22
	s_delay_alu instid0(VALU_DEP_2) | instskip(NEXT) | instid1(VALU_DEP_2)
	v_cmp_ne_u16_e64 s2, 0, v25
	v_cmp_ne_u16_e32 vcc_lo, 0, v22
	v_lshrrev_b32_e32 v22, 18, v21
	v_bfe_i32 v25, v21, 0, 1
	s_wait_alu 0xf1ff
	v_cndmask_b32_e64 v29, 0, -1, s2
	s_wait_alu 0xfffd
	v_cndmask_b32_e64 v31, 0, -1, vcc_lo
	v_bfe_i32 v22, v22, 0, 1
	v_and_b32_e32 v26, 0xff, v25
	v_lshlrev_b16 v25, 8, v25
	v_lshlrev_b16 v29, 8, v29
	;; [unrolled: 1-line block ×3, first 2 shown]
	v_and_b32_e32 v30, 0xff, v22
	v_lshlrev_b16 v22, 8, v22
	s_delay_alu instid0(VALU_DEP_4) | instskip(NEXT) | instid1(VALU_DEP_3)
	v_or_b32_e32 v26, v26, v29
	v_or_b32_e32 v30, v30, v31
	s_delay_alu instid0(VALU_DEP_2) | instskip(NEXT) | instid1(VALU_DEP_2)
	v_and_b32_e32 v26, 0xffff, v26
	v_lshlrev_b32_e32 v30, 16, v30
	s_delay_alu instid0(VALU_DEP_1) | instskip(SKIP_1) | instid1(VALU_DEP_1)
	v_or_b32_e32 v26, v26, v30
	s_wait_loadcnt 0x0
	v_xor_b32_e32 v19, v19, v26
	s_delay_alu instid0(VALU_DEP_1) | instskip(SKIP_2) | instid1(VALU_DEP_2)
	v_lshrrev_b32_e32 v26, 16, v19
	v_and_b32_e32 v30, 0xffffff00, v19
	v_lshlrev_b16 v19, 8, v19
	v_sub_nc_i16 v29, v30, v29 clamp
	s_delay_alu instid0(VALU_DEP_2) | instskip(SKIP_2) | instid1(VALU_DEP_3)
	v_sub_nc_i16 v19, v19, v25 clamp
	v_and_b32_e32 v25, 0xffffff00, v26
	v_lshlrev_b16 v26, 8, v26
	v_perm_b32 v19, v19, v29, 0xc0c0105
	s_delay_alu instid0(VALU_DEP_3) | instskip(NEXT) | instid1(VALU_DEP_3)
	v_sub_nc_i16 v25, v25, v31 clamp
	v_sub_nc_i16 v22, v26, v22 clamp
	s_delay_alu instid0(VALU_DEP_1) | instskip(NEXT) | instid1(VALU_DEP_1)
	v_perm_b32 v22, v22, v25, 0xc0c0105
	v_lshl_or_b32 v19, v22, 16, v19
	v_and_b32_e32 v22, 0x80402010, v21
	v_lshrrev_b32_e32 v21, 22, v21
	s_delay_alu instid0(VALU_DEP_2) | instskip(SKIP_2) | instid1(VALU_DEP_4)
	v_lshrrev_b16 v25, 8, v22
	v_lshrrev_b32_e32 v26, 24, v22
	v_lshrrev_b16 v22, 4, v22
	v_bfe_i32 v21, v21, 0, 1
	s_delay_alu instid0(VALU_DEP_4) | instskip(NEXT) | instid1(VALU_DEP_4)
	v_cmp_ne_u16_e64 s2, 0, v25
	v_cmp_ne_u16_e32 vcc_lo, 0, v26
	s_delay_alu instid0(VALU_DEP_4) | instskip(NEXT) | instid1(VALU_DEP_4)
	v_bfe_i32 v22, v22, 0, 1
	v_and_b32_e32 v29, 0xff, v21
	v_lshlrev_b16 v21, 8, v21
	s_wait_alu 0xf1ff
	v_cndmask_b32_e64 v26, 0, -1, s2
	s_wait_alu 0xfffd
	v_cndmask_b32_e64 v30, 0, -1, vcc_lo
	v_and_b32_e32 v25, 0xff, v22
	v_lshlrev_b16 v22, 8, v22
	v_lshlrev_b16 v26, 8, v26
	s_delay_alu instid0(VALU_DEP_4) | instskip(NEXT) | instid1(VALU_DEP_2)
	v_lshlrev_b16 v30, 8, v30
	v_or_b32_e32 v25, v25, v26
	s_delay_alu instid0(VALU_DEP_2) | instskip(NEXT) | instid1(VALU_DEP_2)
	v_or_b32_e32 v29, v29, v30
	v_and_b32_e32 v25, 0xffff, v25
	s_delay_alu instid0(VALU_DEP_2) | instskip(NEXT) | instid1(VALU_DEP_1)
	v_lshlrev_b32_e32 v29, 16, v29
	v_or_b32_e32 v25, v25, v29
	s_delay_alu instid0(VALU_DEP_1) | instskip(NEXT) | instid1(VALU_DEP_1)
	v_xor_b32_e32 v20, v20, v25
	v_lshrrev_b32_e32 v25, 16, v20
	v_and_b32_e32 v29, 0xffffff00, v20
	v_lshlrev_b16 v20, 8, v20
	s_delay_alu instid0(VALU_DEP_2) | instskip(NEXT) | instid1(VALU_DEP_2)
	v_sub_nc_i16 v26, v29, v26 clamp
	v_sub_nc_i16 v20, v20, v22 clamp
	v_and_b32_e32 v22, 0xffffff00, v25
	v_lshlrev_b16 v25, 8, v25
	s_delay_alu instid0(VALU_DEP_3) | instskip(NEXT) | instid1(VALU_DEP_3)
	v_perm_b32 v20, v20, v26, 0xc0c0105
	v_sub_nc_i16 v22, v22, v30 clamp
	s_delay_alu instid0(VALU_DEP_3) | instskip(SKIP_1) | instid1(VALU_DEP_2)
	v_sub_nc_i16 v21, v25, v21 clamp
	v_bfe_u32 v25, v24, 14, 8
	v_perm_b32 v21, v21, v22, 0xc0c0105
	s_delay_alu instid0(VALU_DEP_2) | instskip(NEXT) | instid1(VALU_DEP_2)
	v_bcnt_u32_b32 v26, v25, 0
	v_lshl_or_b32 v20, v21, 16, v20
	v_lshrrev_b32_e32 v21, 13, v23
	s_delay_alu instid0(VALU_DEP_3) | instskip(SKIP_1) | instid1(VALU_DEP_3)
	v_and_b32_e32 v26, 1, v26
	v_lshrrev_b32_e32 v23, 21, v23
	v_and_b32_e32 v21, 0x7f8, v21
	s_delay_alu instid0(VALU_DEP_3) | instskip(NEXT) | instid1(VALU_DEP_3)
	v_lshlrev_b32_e32 v26, 7, v26
	v_and_b32_e32 v23, 0x7f8, v23
	global_load_b64 v[21:22], v21, s[8:9]
	v_xor_b32_e32 v25, v26, v25
	s_delay_alu instid0(VALU_DEP_1) | instskip(NEXT) | instid1(VALU_DEP_1)
	v_mul_lo_u32 v25, 0x1010101, v25
	v_and_b32_e32 v26, 0x8040201, v25
	s_delay_alu instid0(VALU_DEP_1) | instskip(SKIP_1) | instid1(VALU_DEP_2)
	v_lshrrev_b16 v29, 8, v26
	v_lshrrev_b32_e32 v26, 24, v26
	v_cmp_ne_u16_e64 s2, 0, v29
	s_delay_alu instid0(VALU_DEP_2)
	v_cmp_ne_u16_e32 vcc_lo, 0, v26
	v_lshrrev_b32_e32 v26, 18, v25
	v_bfe_i32 v29, v25, 0, 1
	s_wait_alu 0xf1ff
	v_cndmask_b32_e64 v31, 0, -1, s2
	s_wait_alu 0xfffd
	v_cndmask_b32_e64 v33, 0, -1, vcc_lo
	v_bfe_i32 v26, v26, 0, 1
	v_and_b32_e32 v30, 0xff, v29
	v_lshlrev_b16 v29, 8, v29
	v_lshlrev_b16 v31, 8, v31
	v_lshlrev_b16 v33, 8, v33
	v_and_b32_e32 v32, 0xff, v26
	v_lshlrev_b16 v26, 8, v26
	s_delay_alu instid0(VALU_DEP_4) | instskip(NEXT) | instid1(VALU_DEP_3)
	v_or_b32_e32 v30, v30, v31
	v_or_b32_e32 v32, v32, v33
	s_delay_alu instid0(VALU_DEP_2) | instskip(NEXT) | instid1(VALU_DEP_2)
	v_and_b32_e32 v30, 0xffff, v30
	v_lshlrev_b32_e32 v32, 16, v32
	s_delay_alu instid0(VALU_DEP_1) | instskip(SKIP_1) | instid1(VALU_DEP_1)
	v_or_b32_e32 v30, v30, v32
	s_wait_loadcnt 0x0
	v_xor_b32_e32 v21, v21, v30
	s_delay_alu instid0(VALU_DEP_1) | instskip(SKIP_2) | instid1(VALU_DEP_2)
	v_lshrrev_b32_e32 v30, 16, v21
	v_and_b32_e32 v32, 0xffffff00, v21
	v_lshlrev_b16 v21, 8, v21
	v_sub_nc_i16 v31, v32, v31 clamp
	s_delay_alu instid0(VALU_DEP_2) | instskip(SKIP_2) | instid1(VALU_DEP_3)
	v_sub_nc_i16 v21, v21, v29 clamp
	v_and_b32_e32 v29, 0xffffff00, v30
	v_lshlrev_b16 v30, 8, v30
	v_perm_b32 v21, v21, v31, 0xc0c0105
	s_delay_alu instid0(VALU_DEP_3) | instskip(NEXT) | instid1(VALU_DEP_3)
	v_sub_nc_i16 v29, v29, v33 clamp
	v_sub_nc_i16 v26, v30, v26 clamp
	s_delay_alu instid0(VALU_DEP_1) | instskip(NEXT) | instid1(VALU_DEP_1)
	v_perm_b32 v26, v26, v29, 0xc0c0105
	v_lshl_or_b32 v21, v26, 16, v21
	v_and_b32_e32 v26, 0x80402010, v25
	v_lshrrev_b32_e32 v25, 22, v25
	s_delay_alu instid0(VALU_DEP_2) | instskip(SKIP_2) | instid1(VALU_DEP_4)
	v_lshrrev_b16 v29, 8, v26
	v_lshrrev_b32_e32 v30, 24, v26
	v_lshrrev_b16 v26, 4, v26
	v_bfe_i32 v25, v25, 0, 1
	s_delay_alu instid0(VALU_DEP_4) | instskip(NEXT) | instid1(VALU_DEP_4)
	v_cmp_ne_u16_e64 s2, 0, v29
	v_cmp_ne_u16_e32 vcc_lo, 0, v30
	s_delay_alu instid0(VALU_DEP_4) | instskip(NEXT) | instid1(VALU_DEP_4)
	v_bfe_i32 v26, v26, 0, 1
	v_and_b32_e32 v31, 0xff, v25
	v_lshlrev_b16 v25, 8, v25
	s_wait_alu 0xf1ff
	v_cndmask_b32_e64 v30, 0, -1, s2
	s_wait_alu 0xfffd
	v_cndmask_b32_e64 v32, 0, -1, vcc_lo
	v_and_b32_e32 v29, 0xff, v26
	v_lshlrev_b16 v26, 8, v26
	v_lshlrev_b16 v30, 8, v30
	s_delay_alu instid0(VALU_DEP_4) | instskip(NEXT) | instid1(VALU_DEP_2)
	v_lshlrev_b16 v32, 8, v32
	v_or_b32_e32 v29, v29, v30
	s_delay_alu instid0(VALU_DEP_2) | instskip(NEXT) | instid1(VALU_DEP_2)
	v_or_b32_e32 v31, v31, v32
	v_and_b32_e32 v29, 0xffff, v29
	s_delay_alu instid0(VALU_DEP_2) | instskip(NEXT) | instid1(VALU_DEP_1)
	v_lshlrev_b32_e32 v31, 16, v31
	v_or_b32_e32 v29, v29, v31
	s_delay_alu instid0(VALU_DEP_1) | instskip(NEXT) | instid1(VALU_DEP_1)
	v_xor_b32_e32 v22, v22, v29
	v_lshrrev_b32_e32 v29, 16, v22
	v_and_b32_e32 v31, 0xffffff00, v22
	v_lshlrev_b16 v22, 8, v22
	s_delay_alu instid0(VALU_DEP_2) | instskip(NEXT) | instid1(VALU_DEP_2)
	v_sub_nc_i16 v30, v31, v30 clamp
	v_sub_nc_i16 v22, v22, v26 clamp
	v_and_b32_e32 v26, 0xffffff00, v29
	v_lshlrev_b16 v29, 8, v29
	s_delay_alu instid0(VALU_DEP_3) | instskip(NEXT) | instid1(VALU_DEP_3)
	v_perm_b32 v22, v22, v30, 0xc0c0105
	v_sub_nc_i16 v26, v26, v32 clamp
	s_delay_alu instid0(VALU_DEP_3) | instskip(NEXT) | instid1(VALU_DEP_1)
	v_sub_nc_i16 v25, v29, v25 clamp
	v_perm_b32 v25, v25, v26, 0xc0c0105
	s_delay_alu instid0(VALU_DEP_1) | instskip(SKIP_3) | instid1(VALU_DEP_2)
	v_lshl_or_b32 v22, v25, 16, v22
	global_load_b64 v[25:26], v23, s[8:9]
	v_bfe_u32 v23, v24, 21, 8
	v_lshrrev_b32_e32 v24, 27, v24
	v_bcnt_u32_b32 v29, v23, 0
	s_delay_alu instid0(VALU_DEP_1) | instskip(NEXT) | instid1(VALU_DEP_1)
	v_and_b32_e32 v29, 1, v29
	v_lshlrev_b32_e32 v29, 7, v29
	s_delay_alu instid0(VALU_DEP_1) | instskip(NEXT) | instid1(VALU_DEP_1)
	v_xor_b32_e32 v23, v29, v23
	v_mul_lo_u32 v29, 0x1010101, v23
	s_delay_alu instid0(VALU_DEP_1) | instskip(NEXT) | instid1(VALU_DEP_1)
	v_and_b32_e32 v23, 0x8040201, v29
	v_lshrrev_b16 v30, 8, v23
	v_lshrrev_b32_e32 v23, 24, v23
	s_delay_alu instid0(VALU_DEP_2) | instskip(NEXT) | instid1(VALU_DEP_2)
	v_cmp_ne_u16_e64 s2, 0, v30
	v_cmp_ne_u16_e32 vcc_lo, 0, v23
	v_lshrrev_b32_e32 v23, 18, v29
	v_bfe_i32 v30, v29, 0, 1
	s_wait_alu 0xf1ff
	v_cndmask_b32_e64 v32, 0, -1, s2
	s_wait_alu 0xfffd
	v_cndmask_b32_e64 v34, 0, -1, vcc_lo
	v_bfe_i32 v23, v23, 0, 1
	v_and_b32_e32 v31, 0xff, v30
	v_lshlrev_b16 v30, 8, v30
	v_lshlrev_b16 v32, 8, v32
	;; [unrolled: 1-line block ×3, first 2 shown]
	v_and_b32_e32 v33, 0xff, v23
	v_lshlrev_b16 v23, 8, v23
	s_delay_alu instid0(VALU_DEP_4) | instskip(NEXT) | instid1(VALU_DEP_3)
	v_or_b32_e32 v31, v31, v32
	v_or_b32_e32 v33, v33, v34
	s_delay_alu instid0(VALU_DEP_2) | instskip(NEXT) | instid1(VALU_DEP_2)
	v_and_b32_e32 v31, 0xffff, v31
	v_lshlrev_b32_e32 v33, 16, v33
	s_delay_alu instid0(VALU_DEP_1) | instskip(SKIP_1) | instid1(VALU_DEP_1)
	v_or_b32_e32 v31, v31, v33
	s_wait_loadcnt 0x0
	v_xor_b32_e32 v25, v25, v31
	s_delay_alu instid0(VALU_DEP_1) | instskip(SKIP_2) | instid1(VALU_DEP_2)
	v_lshrrev_b32_e32 v31, 16, v25
	v_and_b32_e32 v33, 0xffffff00, v25
	v_lshlrev_b16 v25, 8, v25
	v_sub_nc_i16 v32, v33, v32 clamp
	s_delay_alu instid0(VALU_DEP_2) | instskip(SKIP_2) | instid1(VALU_DEP_3)
	v_sub_nc_i16 v25, v25, v30 clamp
	v_and_b32_e32 v30, 0xffffff00, v31
	v_lshlrev_b16 v31, 8, v31
	v_perm_b32 v25, v25, v32, 0xc0c0105
	s_delay_alu instid0(VALU_DEP_3) | instskip(NEXT) | instid1(VALU_DEP_3)
	v_sub_nc_i16 v30, v30, v34 clamp
	v_sub_nc_i16 v23, v31, v23 clamp
	s_delay_alu instid0(VALU_DEP_1) | instskip(NEXT) | instid1(VALU_DEP_1)
	v_perm_b32 v23, v23, v30, 0xc0c0105
	v_lshl_or_b32 v23, v23, 16, v25
	v_and_b32_e32 v25, 0x80402010, v29
	v_lshrrev_b32_e32 v29, 22, v29
	s_delay_alu instid0(VALU_DEP_2) | instskip(SKIP_2) | instid1(VALU_DEP_4)
	v_lshrrev_b16 v30, 8, v25
	v_lshrrev_b32_e32 v31, 24, v25
	v_lshrrev_b16 v25, 4, v25
	v_bfe_i32 v29, v29, 0, 1
	s_delay_alu instid0(VALU_DEP_4) | instskip(NEXT) | instid1(VALU_DEP_4)
	v_cmp_ne_u16_e64 s2, 0, v30
	v_cmp_ne_u16_e32 vcc_lo, 0, v31
	s_delay_alu instid0(VALU_DEP_4) | instskip(NEXT) | instid1(VALU_DEP_4)
	v_bfe_i32 v25, v25, 0, 1
	v_and_b32_e32 v32, 0xff, v29
	v_lshlrev_b16 v29, 8, v29
	s_wait_alu 0xf1ff
	v_cndmask_b32_e64 v31, 0, -1, s2
	s_wait_alu 0xfffd
	v_cndmask_b32_e64 v33, 0, -1, vcc_lo
	v_and_b32_e32 v30, 0xff, v25
	v_lshlrev_b16 v25, 8, v25
	v_lshlrev_b16 v31, 8, v31
	s_delay_alu instid0(VALU_DEP_4) | instskip(NEXT) | instid1(VALU_DEP_2)
	v_lshlrev_b16 v33, 8, v33
	v_or_b32_e32 v30, v30, v31
	s_delay_alu instid0(VALU_DEP_2) | instskip(NEXT) | instid1(VALU_DEP_2)
	v_or_b32_e32 v32, v32, v33
	v_and_b32_e32 v30, 0xffff, v30
	s_delay_alu instid0(VALU_DEP_2) | instskip(NEXT) | instid1(VALU_DEP_1)
	v_lshlrev_b32_e32 v32, 16, v32
	v_or_b32_e32 v30, v30, v32
	s_delay_alu instid0(VALU_DEP_1) | instskip(NEXT) | instid1(VALU_DEP_1)
	v_xor_b32_e32 v26, v26, v30
	v_lshrrev_b32_e32 v30, 16, v26
	v_and_b32_e32 v32, 0xffffff00, v26
	v_lshlrev_b16 v26, 8, v26
	s_delay_alu instid0(VALU_DEP_2) | instskip(NEXT) | instid1(VALU_DEP_2)
	v_sub_nc_i16 v31, v32, v31 clamp
	v_sub_nc_i16 v25, v26, v25 clamp
	v_and_b32_e32 v26, 0xffffff00, v30
	v_lshlrev_b16 v30, 8, v30
	s_delay_alu instid0(VALU_DEP_3) | instskip(NEXT) | instid1(VALU_DEP_3)
	v_perm_b32 v25, v25, v31, 0xc0c0105
	v_sub_nc_i16 v26, v26, v33 clamp
	s_delay_alu instid0(VALU_DEP_3) | instskip(NEXT) | instid1(VALU_DEP_1)
	v_sub_nc_i16 v29, v30, v29 clamp
	v_perm_b32 v26, v29, v26, 0xc0c0105
	s_delay_alu instid0(VALU_DEP_1)
	v_lshl_or_b32 v25, v26, 16, v25
	v_or_b32_e32 v26, 1, v24
	global_load_u16 v24, v[27:28], off
	s_clause 0x2
	global_load_b128 v[27:30], v[2:3], off offset:-16
	global_load_b32 v35, v[2:3], off offset:16
	global_load_b128 v[31:34], v[2:3], off
	v_add_co_u32 v2, vcc_lo, 0x480, v2
	s_wait_alu 0xfffd
	v_add_co_ci_u32_e64 v3, null, 0, v3, vcc_lo
	v_cmp_le_u32_e32 vcc_lo, s22, v13
	s_or_b32 s3, vcc_lo, s3
	s_wait_loadcnt 0x2
	v_dot4_i32_iu8 v28, v17, v28, 0 neg_lo:[1,1,0]
	v_cvt_f32_f16_e32 v24, v24
	v_cvt_f32_f16_e32 v27, v27
	s_delay_alu instid0(VALU_DEP_3) | instskip(NEXT) | instid1(VALU_DEP_2)
	v_dot4_i32_iu8 v28, v18, v29, v28 neg_lo:[1,1,0]
	v_mul_f32_e32 v27, v24, v27
	s_delay_alu instid0(VALU_DEP_2) | instskip(SKIP_1) | instid1(VALU_DEP_1)
	v_dot4_i32_iu8 v28, v19, v30, v28 neg_lo:[1,1,0]
	s_wait_loadcnt 0x0
	v_dot4_i32_iu8 v28, v20, v31, v28 neg_lo:[1,1,0]
	s_delay_alu instid0(VALU_DEP_1) | instskip(NEXT) | instid1(VALU_DEP_1)
	v_dot4_i32_iu8 v28, v21, v32, v28 neg_lo:[1,1,0]
	v_dot4_i32_iu8 v28, v22, v33, v28 neg_lo:[1,1,0]
	s_delay_alu instid0(VALU_DEP_1) | instskip(NEXT) | instid1(VALU_DEP_1)
	v_dot4_i32_iu8 v28, v23, v34, v28 neg_lo:[1,1,0]
	v_dot4_i32_iu8 v28, v25, v35, v28 neg_lo:[1,1,0]
	s_delay_alu instid0(VALU_DEP_1) | instskip(NEXT) | instid1(VALU_DEP_1)
	v_mul_lo_u32 v28, v28, v26
	v_ashrrev_i32_e32 v29, 31, v28
	s_delay_alu instid0(VALU_DEP_1) | instskip(NEXT) | instid1(VALU_DEP_1)
	v_lshrrev_b32_e32 v29, 29, v29
	v_add_nc_u32_e32 v28, v28, v29
	s_delay_alu instid0(VALU_DEP_1) | instskip(NEXT) | instid1(VALU_DEP_1)
	v_ashrrev_i32_e32 v28, 3, v28
	v_cvt_f32_i32_e32 v28, v28
	s_delay_alu instid0(VALU_DEP_1) | instskip(NEXT) | instid1(VALU_DEP_1)
	v_dual_fmac_f32 v14, v27, v28 :: v_dual_add_nc_u32 v27, s5, v15
	v_mad_co_u64_u32 v[31:32], null, v27, 36, v[0:1]
	s_clause 0x2
	global_load_b128 v[27:30], v[31:32], off
	global_load_b32 v35, v[31:32], off offset:32
	global_load_b128 v[31:34], v[31:32], off offset:16
	s_wait_loadcnt 0x2
	v_dot4_i32_iu8 v28, v17, v28, 0 neg_lo:[1,1,0]
	v_cvt_f32_f16_e32 v27, v27
	s_delay_alu instid0(VALU_DEP_2) | instskip(NEXT) | instid1(VALU_DEP_2)
	v_dot4_i32_iu8 v28, v18, v29, v28 neg_lo:[1,1,0]
	v_mul_f32_e32 v27, v24, v27
	s_delay_alu instid0(VALU_DEP_2) | instskip(SKIP_1) | instid1(VALU_DEP_1)
	v_dot4_i32_iu8 v28, v19, v30, v28 neg_lo:[1,1,0]
	s_wait_loadcnt 0x0
	v_dot4_i32_iu8 v28, v20, v31, v28 neg_lo:[1,1,0]
	s_delay_alu instid0(VALU_DEP_1) | instskip(NEXT) | instid1(VALU_DEP_1)
	v_dot4_i32_iu8 v28, v21, v32, v28 neg_lo:[1,1,0]
	v_dot4_i32_iu8 v28, v22, v33, v28 neg_lo:[1,1,0]
	s_delay_alu instid0(VALU_DEP_1) | instskip(NEXT) | instid1(VALU_DEP_1)
	v_dot4_i32_iu8 v28, v23, v34, v28 neg_lo:[1,1,0]
	v_dot4_i32_iu8 v28, v25, v35, v28 neg_lo:[1,1,0]
	s_delay_alu instid0(VALU_DEP_1) | instskip(NEXT) | instid1(VALU_DEP_1)
	v_mul_lo_u32 v28, v28, v26
	v_ashrrev_i32_e32 v29, 31, v28
	s_delay_alu instid0(VALU_DEP_1) | instskip(NEXT) | instid1(VALU_DEP_1)
	v_lshrrev_b32_e32 v29, 29, v29
	v_add_nc_u32_e32 v28, v28, v29
	s_delay_alu instid0(VALU_DEP_1) | instskip(NEXT) | instid1(VALU_DEP_1)
	v_ashrrev_i32_e32 v28, 3, v28
	v_cvt_f32_i32_e32 v28, v28
	s_delay_alu instid0(VALU_DEP_1) | instskip(NEXT) | instid1(VALU_DEP_1)
	v_dual_fmac_f32 v12, v27, v28 :: v_dual_add_nc_u32 v27, s17, v15
	v_mad_co_u64_u32 v[31:32], null, v27, 36, v[0:1]
	s_clause 0x2
	global_load_b128 v[27:30], v[31:32], off
	global_load_b32 v35, v[31:32], off offset:32
	global_load_b128 v[31:34], v[31:32], off offset:16
	s_wait_loadcnt 0x2
	v_dot4_i32_iu8 v28, v17, v28, 0 neg_lo:[1,1,0]
	v_cvt_f32_f16_e32 v27, v27
	s_delay_alu instid0(VALU_DEP_2) | instskip(NEXT) | instid1(VALU_DEP_2)
	v_dot4_i32_iu8 v28, v18, v29, v28 neg_lo:[1,1,0]
	v_mul_f32_e32 v27, v24, v27
	s_delay_alu instid0(VALU_DEP_2) | instskip(SKIP_1) | instid1(VALU_DEP_1)
	v_dot4_i32_iu8 v28, v19, v30, v28 neg_lo:[1,1,0]
	s_wait_loadcnt 0x0
	v_dot4_i32_iu8 v28, v20, v31, v28 neg_lo:[1,1,0]
	s_delay_alu instid0(VALU_DEP_1) | instskip(NEXT) | instid1(VALU_DEP_1)
	v_dot4_i32_iu8 v28, v21, v32, v28 neg_lo:[1,1,0]
	v_dot4_i32_iu8 v28, v22, v33, v28 neg_lo:[1,1,0]
	s_delay_alu instid0(VALU_DEP_1) | instskip(NEXT) | instid1(VALU_DEP_1)
	v_dot4_i32_iu8 v28, v23, v34, v28 neg_lo:[1,1,0]
	v_dot4_i32_iu8 v28, v25, v35, v28 neg_lo:[1,1,0]
	s_delay_alu instid0(VALU_DEP_1) | instskip(NEXT) | instid1(VALU_DEP_1)
	v_mul_lo_u32 v28, v28, v26
	v_ashrrev_i32_e32 v29, 31, v28
	s_delay_alu instid0(VALU_DEP_1) | instskip(NEXT) | instid1(VALU_DEP_1)
	v_lshrrev_b32_e32 v29, 29, v29
	v_add_nc_u32_e32 v28, v28, v29
	s_delay_alu instid0(VALU_DEP_1) | instskip(NEXT) | instid1(VALU_DEP_1)
	v_ashrrev_i32_e32 v28, 3, v28
	v_cvt_f32_i32_e32 v28, v28
	s_delay_alu instid0(VALU_DEP_1) | instskip(NEXT) | instid1(VALU_DEP_1)
	v_dual_fmac_f32 v10, v27, v28 :: v_dual_add_nc_u32 v27, s16, v15
	v_mad_co_u64_u32 v[31:32], null, v27, 36, v[0:1]
	s_clause 0x2
	global_load_b128 v[27:30], v[31:32], off
	global_load_b32 v35, v[31:32], off offset:32
	global_load_b128 v[31:34], v[31:32], off offset:16
	s_wait_loadcnt 0x2
	v_dot4_i32_iu8 v28, v17, v28, 0 neg_lo:[1,1,0]
	v_cvt_f32_f16_e32 v27, v27
	s_delay_alu instid0(VALU_DEP_2) | instskip(NEXT) | instid1(VALU_DEP_2)
	v_dot4_i32_iu8 v28, v18, v29, v28 neg_lo:[1,1,0]
	v_mul_f32_e32 v27, v24, v27
	s_delay_alu instid0(VALU_DEP_2) | instskip(SKIP_1) | instid1(VALU_DEP_1)
	v_dot4_i32_iu8 v28, v19, v30, v28 neg_lo:[1,1,0]
	s_wait_loadcnt 0x0
	v_dot4_i32_iu8 v28, v20, v31, v28 neg_lo:[1,1,0]
	s_delay_alu instid0(VALU_DEP_1) | instskip(NEXT) | instid1(VALU_DEP_1)
	v_dot4_i32_iu8 v28, v21, v32, v28 neg_lo:[1,1,0]
	v_dot4_i32_iu8 v28, v22, v33, v28 neg_lo:[1,1,0]
	s_delay_alu instid0(VALU_DEP_1) | instskip(NEXT) | instid1(VALU_DEP_1)
	v_dot4_i32_iu8 v28, v23, v34, v28 neg_lo:[1,1,0]
	v_dot4_i32_iu8 v28, v25, v35, v28 neg_lo:[1,1,0]
	s_delay_alu instid0(VALU_DEP_1) | instskip(NEXT) | instid1(VALU_DEP_1)
	v_mul_lo_u32 v28, v28, v26
	v_ashrrev_i32_e32 v29, 31, v28
	s_delay_alu instid0(VALU_DEP_1) | instskip(NEXT) | instid1(VALU_DEP_1)
	v_lshrrev_b32_e32 v29, 29, v29
	v_add_nc_u32_e32 v28, v28, v29
	s_delay_alu instid0(VALU_DEP_1) | instskip(NEXT) | instid1(VALU_DEP_1)
	v_ashrrev_i32_e32 v28, 3, v28
	v_cvt_f32_i32_e32 v28, v28
	s_delay_alu instid0(VALU_DEP_1) | instskip(SKIP_1) | instid1(VALU_DEP_1)
	v_fmac_f32_e32 v9, v27, v28
	v_add_nc_u32_e32 v27, s15, v15
	v_mad_co_u64_u32 v[31:32], null, v27, 36, v[0:1]
	s_clause 0x2
	global_load_b128 v[27:30], v[31:32], off
	global_load_b32 v35, v[31:32], off offset:32
	global_load_b128 v[31:34], v[31:32], off offset:16
	s_wait_loadcnt 0x2
	v_dot4_i32_iu8 v28, v17, v28, 0 neg_lo:[1,1,0]
	v_cvt_f32_f16_e32 v27, v27
	s_delay_alu instid0(VALU_DEP_2) | instskip(NEXT) | instid1(VALU_DEP_2)
	v_dot4_i32_iu8 v28, v18, v29, v28 neg_lo:[1,1,0]
	v_mul_f32_e32 v27, v24, v27
	s_delay_alu instid0(VALU_DEP_2) | instskip(SKIP_1) | instid1(VALU_DEP_1)
	v_dot4_i32_iu8 v28, v19, v30, v28 neg_lo:[1,1,0]
	s_wait_loadcnt 0x0
	v_dot4_i32_iu8 v28, v20, v31, v28 neg_lo:[1,1,0]
	s_delay_alu instid0(VALU_DEP_1) | instskip(NEXT) | instid1(VALU_DEP_1)
	v_dot4_i32_iu8 v28, v21, v32, v28 neg_lo:[1,1,0]
	v_dot4_i32_iu8 v28, v22, v33, v28 neg_lo:[1,1,0]
	s_delay_alu instid0(VALU_DEP_1) | instskip(NEXT) | instid1(VALU_DEP_1)
	v_dot4_i32_iu8 v28, v23, v34, v28 neg_lo:[1,1,0]
	v_dot4_i32_iu8 v28, v25, v35, v28 neg_lo:[1,1,0]
	s_delay_alu instid0(VALU_DEP_1) | instskip(NEXT) | instid1(VALU_DEP_1)
	v_mul_lo_u32 v28, v28, v26
	v_ashrrev_i32_e32 v29, 31, v28
	s_delay_alu instid0(VALU_DEP_1) | instskip(NEXT) | instid1(VALU_DEP_1)
	v_lshrrev_b32_e32 v29, 29, v29
	v_add_nc_u32_e32 v28, v28, v29
	s_delay_alu instid0(VALU_DEP_1) | instskip(NEXT) | instid1(VALU_DEP_1)
	v_ashrrev_i32_e32 v28, 3, v28
	v_cvt_f32_i32_e32 v28, v28
	s_delay_alu instid0(VALU_DEP_1) | instskip(SKIP_1) | instid1(VALU_DEP_1)
	v_fmac_f32_e32 v7, v27, v28
	v_add_nc_u32_e32 v27, s14, v15
	v_mad_co_u64_u32 v[31:32], null, v27, 36, v[0:1]
	s_clause 0x2
	global_load_b128 v[27:30], v[31:32], off
	global_load_b32 v35, v[31:32], off offset:32
	global_load_b128 v[31:34], v[31:32], off offset:16
	s_wait_loadcnt 0x2
	v_dot4_i32_iu8 v28, v17, v28, 0 neg_lo:[1,1,0]
	v_cvt_f32_f16_e32 v27, v27
	s_delay_alu instid0(VALU_DEP_2) | instskip(NEXT) | instid1(VALU_DEP_2)
	v_dot4_i32_iu8 v28, v18, v29, v28 neg_lo:[1,1,0]
	v_mul_f32_e32 v27, v24, v27
	s_delay_alu instid0(VALU_DEP_2) | instskip(SKIP_1) | instid1(VALU_DEP_1)
	v_dot4_i32_iu8 v28, v19, v30, v28 neg_lo:[1,1,0]
	s_wait_loadcnt 0x0
	v_dot4_i32_iu8 v28, v20, v31, v28 neg_lo:[1,1,0]
	s_delay_alu instid0(VALU_DEP_1) | instskip(NEXT) | instid1(VALU_DEP_1)
	v_dot4_i32_iu8 v28, v21, v32, v28 neg_lo:[1,1,0]
	v_dot4_i32_iu8 v28, v22, v33, v28 neg_lo:[1,1,0]
	s_delay_alu instid0(VALU_DEP_1) | instskip(NEXT) | instid1(VALU_DEP_1)
	v_dot4_i32_iu8 v28, v23, v34, v28 neg_lo:[1,1,0]
	v_dot4_i32_iu8 v28, v25, v35, v28 neg_lo:[1,1,0]
	s_delay_alu instid0(VALU_DEP_1) | instskip(NEXT) | instid1(VALU_DEP_1)
	v_mul_lo_u32 v28, v28, v26
	v_ashrrev_i32_e32 v29, 31, v28
	s_delay_alu instid0(VALU_DEP_1) | instskip(NEXT) | instid1(VALU_DEP_1)
	v_lshrrev_b32_e32 v29, 29, v29
	v_add_nc_u32_e32 v28, v28, v29
	s_delay_alu instid0(VALU_DEP_1) | instskip(NEXT) | instid1(VALU_DEP_1)
	v_ashrrev_i32_e32 v28, 3, v28
	v_cvt_f32_i32_e32 v28, v28
	s_delay_alu instid0(VALU_DEP_1) | instskip(NEXT) | instid1(VALU_DEP_1)
	v_dual_fmac_f32 v6, v27, v28 :: v_dual_add_nc_u32 v27, s11, v15
	v_mad_co_u64_u32 v[31:32], null, v27, 36, v[0:1]
	s_clause 0x2
	global_load_b128 v[27:30], v[31:32], off
	global_load_b32 v35, v[31:32], off offset:32
	global_load_b128 v[31:34], v[31:32], off offset:16
	s_wait_loadcnt 0x2
	v_dot4_i32_iu8 v28, v17, v28, 0 neg_lo:[1,1,0]
	v_cvt_f32_f16_e32 v27, v27
	s_delay_alu instid0(VALU_DEP_2) | instskip(NEXT) | instid1(VALU_DEP_2)
	v_dot4_i32_iu8 v28, v18, v29, v28 neg_lo:[1,1,0]
	v_mul_f32_e32 v27, v24, v27
	s_delay_alu instid0(VALU_DEP_2) | instskip(SKIP_1) | instid1(VALU_DEP_1)
	v_dot4_i32_iu8 v28, v19, v30, v28 neg_lo:[1,1,0]
	s_wait_loadcnt 0x0
	v_dot4_i32_iu8 v28, v20, v31, v28 neg_lo:[1,1,0]
	s_delay_alu instid0(VALU_DEP_1) | instskip(NEXT) | instid1(VALU_DEP_1)
	v_dot4_i32_iu8 v28, v21, v32, v28 neg_lo:[1,1,0]
	v_dot4_i32_iu8 v28, v22, v33, v28 neg_lo:[1,1,0]
	s_delay_alu instid0(VALU_DEP_1) | instskip(NEXT) | instid1(VALU_DEP_1)
	v_dot4_i32_iu8 v28, v23, v34, v28 neg_lo:[1,1,0]
	v_dot4_i32_iu8 v28, v25, v35, v28 neg_lo:[1,1,0]
	s_delay_alu instid0(VALU_DEP_1) | instskip(NEXT) | instid1(VALU_DEP_1)
	v_mul_lo_u32 v28, v28, v26
	v_ashrrev_i32_e32 v29, 31, v28
	s_delay_alu instid0(VALU_DEP_1) | instskip(NEXT) | instid1(VALU_DEP_1)
	v_lshrrev_b32_e32 v29, 29, v29
	v_add_nc_u32_e32 v28, v28, v29
	s_delay_alu instid0(VALU_DEP_1) | instskip(NEXT) | instid1(VALU_DEP_1)
	v_ashrrev_i32_e32 v28, 3, v28
	v_cvt_f32_i32_e32 v28, v28
	s_delay_alu instid0(VALU_DEP_1) | instskip(SKIP_2) | instid1(VALU_DEP_2)
	v_fmac_f32_e32 v5, v27, v28
	v_add_nc_u32_e32 v27, s7, v15
	v_add_nc_u32_e32 v15, 32, v15
	v_mad_co_u64_u32 v[31:32], null, v27, 36, v[0:1]
	s_clause 0x2
	global_load_b128 v[27:30], v[31:32], off
	global_load_b32 v35, v[31:32], off offset:32
	global_load_b128 v[31:34], v[31:32], off offset:16
	s_wait_loadcnt 0x2
	v_dot4_i32_iu8 v17, v17, v28, 0 neg_lo:[1,1,0]
	s_delay_alu instid0(VALU_DEP_1) | instskip(NEXT) | instid1(VALU_DEP_1)
	v_dot4_i32_iu8 v17, v18, v29, v17 neg_lo:[1,1,0]
	v_dot4_i32_iu8 v17, v19, v30, v17 neg_lo:[1,1,0]
	s_wait_loadcnt 0x0
	s_delay_alu instid0(VALU_DEP_1) | instskip(NEXT) | instid1(VALU_DEP_1)
	v_dot4_i32_iu8 v17, v20, v31, v17 neg_lo:[1,1,0]
	v_dot4_i32_iu8 v17, v21, v32, v17 neg_lo:[1,1,0]
	s_delay_alu instid0(VALU_DEP_1) | instskip(NEXT) | instid1(VALU_DEP_1)
	v_dot4_i32_iu8 v17, v22, v33, v17 neg_lo:[1,1,0]
	v_dot4_i32_iu8 v17, v23, v34, v17 neg_lo:[1,1,0]
	s_delay_alu instid0(VALU_DEP_1) | instskip(NEXT) | instid1(VALU_DEP_1)
	v_dot4_i32_iu8 v17, v25, v35, v17 neg_lo:[1,1,0]
	v_mul_lo_u32 v17, v17, v26
	s_delay_alu instid0(VALU_DEP_1) | instskip(NEXT) | instid1(VALU_DEP_1)
	v_ashrrev_i32_e32 v18, 31, v17
	v_lshrrev_b32_e32 v18, 29, v18
	s_delay_alu instid0(VALU_DEP_1) | instskip(SKIP_1) | instid1(VALU_DEP_2)
	v_add_nc_u32_e32 v17, v17, v18
	v_cvt_f32_f16_e32 v18, v27
	v_ashrrev_i32_e32 v17, 3, v17
	s_delay_alu instid0(VALU_DEP_2) | instskip(NEXT) | instid1(VALU_DEP_2)
	v_mul_f32_e32 v18, v24, v18
	v_cvt_f32_i32_e32 v17, v17
	s_delay_alu instid0(VALU_DEP_1)
	v_fmac_f32_e32 v4, v18, v17
	s_wait_alu 0xfffe
	s_and_not1_b32 exec_lo, exec_lo, s3
	s_cbranch_execnz .LBB167_2
; %bb.3:
	s_or_b32 exec_lo, exec_lo, s3
.LBB167_4:
	s_delay_alu instid0(SALU_CYCLE_1)
	s_or_b32 exec_lo, exec_lo, s21
	s_mov_b32 s3, 0
	; wave barrier
	global_inv scope:SCOPE_SE
	s_mov_b32 s2, exec_lo
	v_cmpx_eq_u32_e32 0, v11
	s_cbranch_execz .LBB167_21
; %bb.5:
	v_mbcnt_lo_u32_b32 v11, -1, 0
	s_load_b64 s[0:1], s[0:1], 0x38
	s_mul_i32 s2, s10, s19
	s_mul_i32 s4, s18, s20
	s_wait_alu 0xfffe
	s_add_co_i32 s2, s2, ttmp9
	v_xor_b32_e32 v0, 16, v11
	v_xor_b32_e32 v1, 8, v11
	;; [unrolled: 1-line block ×3, first 2 shown]
	s_wait_alu 0xfffe
	s_add_co_i32 s2, s2, s4
	s_wait_alu 0xfffe
	s_lshl_b64 s[2:3], s[2:3], 2
	v_cmp_gt_i32_e32 vcc_lo, 32, v0
	s_wait_alu 0xfffd
	v_cndmask_b32_e32 v0, v11, v0, vcc_lo
	v_cmp_gt_i32_e32 vcc_lo, 32, v1
	s_wait_kmcnt 0x0
	s_wait_alu 0xfffe
	s_add_nc_u64 s[0:1], s[0:1], s[2:3]
	s_wait_alu 0xfffd
	v_cndmask_b32_e32 v1, v11, v1, vcc_lo
	s_delay_alu instid0(VALU_DEP_1)
	v_lshlrev_b32_e32 v1, 2, v1
	v_lshlrev_b32_e32 v0, 2, v0
	ds_bpermute_b32 v2, v0, v14
	s_wait_dscnt 0x0
	v_add_f32_e32 v3, v14, v2
	v_xor_b32_e32 v2, 4, v11
	ds_bpermute_b32 v13, v1, v3
	v_cmp_gt_i32_e32 vcc_lo, 32, v2
	s_wait_alu 0xfffd
	v_cndmask_b32_e32 v2, v11, v2, vcc_lo
	s_wait_dscnt 0x0
	v_add_f32_e32 v13, v3, v13
	v_xor_b32_e32 v3, 2, v11
	s_delay_alu instid0(VALU_DEP_1) | instskip(SKIP_3) | instid1(VALU_DEP_2)
	v_cmp_gt_i32_e32 vcc_lo, 32, v3
	s_wait_alu 0xfffd
	v_cndmask_b32_e32 v3, v11, v3, vcc_lo
	v_cmp_gt_i32_e32 vcc_lo, 32, v15
	v_lshlrev_b32_e32 v3, 2, v3
	s_wait_alu 0xfffd
	v_dual_cndmask_b32 v11, v11, v15 :: v_dual_lshlrev_b32 v2, 2, v2
	v_cmp_eq_u32_e32 vcc_lo, 0, v8
	ds_bpermute_b32 v14, v2, v13
	v_lshlrev_b32_e32 v11, 2, v11
	s_wait_dscnt 0x0
	v_add_f32_e32 v13, v13, v14
	ds_bpermute_b32 v14, v3, v13
	s_wait_dscnt 0x0
	v_add_f32_e32 v13, v13, v14
	ds_bpermute_b32 v14, v11, v13
	s_and_saveexec_b32 s2, vcc_lo
	s_cbranch_execz .LBB167_7
; %bb.6:
	s_wait_dscnt 0x0
	v_dual_add_f32 v8, v13, v14 :: v_dual_mov_b32 v13, 0
	global_store_b32 v13, v8, s[0:1]
.LBB167_7:
	s_wait_alu 0xfffe
	s_or_b32 exec_lo, exec_lo, s2
	ds_bpermute_b32 v8, v0, v12
	s_wait_dscnt 0x0
	v_add_f32_e32 v8, v12, v8
	ds_bpermute_b32 v12, v1, v8
	s_wait_dscnt 0x0
	v_add_f32_e32 v8, v8, v12
	;; [unrolled: 3-line block ×4, first 2 shown]
	ds_bpermute_b32 v12, v11, v8
	s_and_saveexec_b32 s2, vcc_lo
	s_cbranch_execz .LBB167_9
; %bb.8:
	s_mov_b32 s7, 0
	s_wait_dscnt 0x0
	v_add_f32_e32 v8, v8, v12
	v_mov_b32_e32 v12, 0
	s_wait_alu 0xfffe
	s_lshl_b64 s[4:5], s[6:7], 2
	s_wait_alu 0xfffe
	s_add_nc_u64 s[4:5], s[0:1], s[4:5]
	global_store_b32 v12, v8, s[4:5]
.LBB167_9:
	s_wait_alu 0xfffe
	s_or_b32 exec_lo, exec_lo, s2
	ds_bpermute_b32 v8, v0, v10
	s_wait_dscnt 0x0
	v_add_f32_e32 v8, v10, v8
	ds_bpermute_b32 v10, v1, v8
	s_wait_dscnt 0x0
	v_add_f32_e32 v8, v8, v10
	;; [unrolled: 3-line block ×4, first 2 shown]
	ds_bpermute_b32 v10, v11, v8
	s_and_saveexec_b32 s2, vcc_lo
	s_cbranch_execz .LBB167_11
; %bb.10:
	s_lshl_b32 s4, s6, 1
	s_mov_b32 s5, 0
	s_wait_dscnt 0x0
	v_add_f32_e32 v8, v8, v10
	v_mov_b32_e32 v10, 0
	s_wait_alu 0xfffe
	s_lshl_b64 s[4:5], s[4:5], 2
	s_wait_alu 0xfffe
	s_add_nc_u64 s[4:5], s[0:1], s[4:5]
	global_store_b32 v10, v8, s[4:5]
.LBB167_11:
	s_wait_alu 0xfffe
	s_or_b32 exec_lo, exec_lo, s2
	ds_bpermute_b32 v8, v0, v9
	s_wait_dscnt 0x0
	v_add_f32_e32 v8, v9, v8
	ds_bpermute_b32 v9, v1, v8
	s_wait_dscnt 0x0
	v_add_f32_e32 v8, v8, v9
	;; [unrolled: 3-line block ×4, first 2 shown]
	ds_bpermute_b32 v9, v11, v8
	s_and_saveexec_b32 s2, vcc_lo
	s_cbranch_execz .LBB167_13
; %bb.12:
	s_mul_i32 s4, s6, 3
	s_mov_b32 s5, 0
	s_wait_dscnt 0x0
	v_dual_add_f32 v8, v8, v9 :: v_dual_mov_b32 v9, 0
	s_wait_alu 0xfffe
	s_lshl_b64 s[4:5], s[4:5], 2
	s_wait_alu 0xfffe
	s_add_nc_u64 s[4:5], s[0:1], s[4:5]
	global_store_b32 v9, v8, s[4:5]
.LBB167_13:
	s_wait_alu 0xfffe
	s_or_b32 exec_lo, exec_lo, s2
	ds_bpermute_b32 v8, v0, v7
	s_wait_dscnt 0x0
	v_add_f32_e32 v7, v7, v8
	ds_bpermute_b32 v8, v1, v7
	s_wait_dscnt 0x0
	v_add_f32_e32 v7, v7, v8
	;; [unrolled: 3-line block ×4, first 2 shown]
	ds_bpermute_b32 v8, v11, v7
	s_and_saveexec_b32 s2, vcc_lo
	s_cbranch_execz .LBB167_15
; %bb.14:
	s_lshl_b32 s4, s6, 2
	s_mov_b32 s5, 0
	s_wait_dscnt 0x0
	v_dual_add_f32 v7, v7, v8 :: v_dual_mov_b32 v8, 0
	s_wait_alu 0xfffe
	s_lshl_b64 s[4:5], s[4:5], 2
	s_wait_alu 0xfffe
	s_add_nc_u64 s[4:5], s[0:1], s[4:5]
	global_store_b32 v8, v7, s[4:5]
.LBB167_15:
	s_wait_alu 0xfffe
	s_or_b32 exec_lo, exec_lo, s2
	ds_bpermute_b32 v7, v0, v6
	s_wait_dscnt 0x0
	v_add_f32_e32 v6, v6, v7
	ds_bpermute_b32 v7, v1, v6
	s_wait_dscnt 0x0
	v_add_f32_e32 v6, v6, v7
	;; [unrolled: 3-line block ×4, first 2 shown]
	ds_bpermute_b32 v7, v11, v6
	s_and_saveexec_b32 s2, vcc_lo
	s_cbranch_execz .LBB167_17
; %bb.16:
	s_mul_i32 s4, s6, 5
	s_mov_b32 s5, 0
	s_wait_dscnt 0x0
	v_dual_add_f32 v6, v6, v7 :: v_dual_mov_b32 v7, 0
	s_wait_alu 0xfffe
	s_lshl_b64 s[4:5], s[4:5], 2
	s_wait_alu 0xfffe
	s_add_nc_u64 s[4:5], s[0:1], s[4:5]
	global_store_b32 v7, v6, s[4:5]
.LBB167_17:
	s_wait_alu 0xfffe
	s_or_b32 exec_lo, exec_lo, s2
	ds_bpermute_b32 v6, v0, v5
	s_wait_dscnt 0x0
	v_add_f32_e32 v5, v5, v6
	ds_bpermute_b32 v6, v1, v5
	s_wait_dscnt 0x0
	v_add_f32_e32 v5, v5, v6
	ds_bpermute_b32 v6, v2, v5
	s_wait_dscnt 0x0
	v_add_f32_e32 v5, v5, v6
	ds_bpermute_b32 v6, v3, v5
	s_wait_dscnt 0x0
	v_add_f32_e32 v5, v5, v6
	ds_bpermute_b32 v6, v11, v5
	s_and_saveexec_b32 s2, vcc_lo
	s_cbranch_execz .LBB167_19
; %bb.18:
	s_mul_i32 s4, s6, 6
	s_mov_b32 s5, 0
	s_wait_dscnt 0x0
	v_dual_add_f32 v5, v5, v6 :: v_dual_mov_b32 v6, 0
	s_wait_alu 0xfffe
	s_lshl_b64 s[4:5], s[4:5], 2
	s_wait_alu 0xfffe
	s_add_nc_u64 s[4:5], s[0:1], s[4:5]
	global_store_b32 v6, v5, s[4:5]
.LBB167_19:
	s_wait_alu 0xfffe
	s_or_b32 exec_lo, exec_lo, s2
	ds_bpermute_b32 v0, v0, v4
	s_wait_dscnt 0x0
	v_add_f32_e32 v0, v4, v0
	ds_bpermute_b32 v1, v1, v0
	s_wait_dscnt 0x0
	v_add_f32_e32 v0, v0, v1
	;; [unrolled: 3-line block ×4, first 2 shown]
	ds_bpermute_b32 v1, v11, v0
	s_and_b32 exec_lo, exec_lo, vcc_lo
	s_cbranch_execz .LBB167_21
; %bb.20:
	s_mul_i32 s2, s6, 7
	s_mov_b32 s3, 0
	s_wait_dscnt 0x0
	v_dual_add_f32 v0, v0, v1 :: v_dual_mov_b32 v1, 0
	s_wait_alu 0xfffe
	s_lshl_b64 s[2:3], s[2:3], 2
	s_wait_alu 0xfffe
	s_add_nc_u64 s[0:1], s[0:1], s[2:3]
	global_store_b32 v1, v0, s[0:1]
.LBB167_21:
	s_endpgm
	.section	.rodata,"a",@progbits
	.p2align	6, 0x0
	.amdhsa_kernel _ZL13mul_mat_vec_qIL9ggml_type16ELi8ELb0ELb0EEvPKvS2_PKi31ggml_cuda_mm_fusion_args_devicePfj15HIP_vector_typeIjLj3EEjjjS8_jjjS8_jjjj
		.amdhsa_group_segment_fixed_size 0
		.amdhsa_private_segment_fixed_size 0
		.amdhsa_kernarg_size 144
		.amdhsa_user_sgpr_count 2
		.amdhsa_user_sgpr_dispatch_ptr 0
		.amdhsa_user_sgpr_queue_ptr 0
		.amdhsa_user_sgpr_kernarg_segment_ptr 1
		.amdhsa_user_sgpr_dispatch_id 0
		.amdhsa_user_sgpr_private_segment_size 0
		.amdhsa_wavefront_size32 1
		.amdhsa_uses_dynamic_stack 0
		.amdhsa_enable_private_segment 0
		.amdhsa_system_sgpr_workgroup_id_x 1
		.amdhsa_system_sgpr_workgroup_id_y 1
		.amdhsa_system_sgpr_workgroup_id_z 1
		.amdhsa_system_sgpr_workgroup_info 0
		.amdhsa_system_vgpr_workitem_id 1
		.amdhsa_next_free_vgpr 36
		.amdhsa_next_free_sgpr 28
		.amdhsa_reserve_vcc 1
		.amdhsa_float_round_mode_32 0
		.amdhsa_float_round_mode_16_64 0
		.amdhsa_float_denorm_mode_32 3
		.amdhsa_float_denorm_mode_16_64 3
		.amdhsa_fp16_overflow 0
		.amdhsa_workgroup_processor_mode 1
		.amdhsa_memory_ordered 1
		.amdhsa_forward_progress 1
		.amdhsa_inst_pref_size 48
		.amdhsa_round_robin_scheduling 0
		.amdhsa_exception_fp_ieee_invalid_op 0
		.amdhsa_exception_fp_denorm_src 0
		.amdhsa_exception_fp_ieee_div_zero 0
		.amdhsa_exception_fp_ieee_overflow 0
		.amdhsa_exception_fp_ieee_underflow 0
		.amdhsa_exception_fp_ieee_inexact 0
		.amdhsa_exception_int_div_zero 0
	.end_amdhsa_kernel
	.section	.text._ZL13mul_mat_vec_qIL9ggml_type16ELi8ELb0ELb0EEvPKvS2_PKi31ggml_cuda_mm_fusion_args_devicePfj15HIP_vector_typeIjLj3EEjjjS8_jjjS8_jjjj,"axG",@progbits,_ZL13mul_mat_vec_qIL9ggml_type16ELi8ELb0ELb0EEvPKvS2_PKi31ggml_cuda_mm_fusion_args_devicePfj15HIP_vector_typeIjLj3EEjjjS8_jjjS8_jjjj,comdat
.Lfunc_end167:
	.size	_ZL13mul_mat_vec_qIL9ggml_type16ELi8ELb0ELb0EEvPKvS2_PKi31ggml_cuda_mm_fusion_args_devicePfj15HIP_vector_typeIjLj3EEjjjS8_jjjS8_jjjj, .Lfunc_end167-_ZL13mul_mat_vec_qIL9ggml_type16ELi8ELb0ELb0EEvPKvS2_PKi31ggml_cuda_mm_fusion_args_devicePfj15HIP_vector_typeIjLj3EEjjjS8_jjjS8_jjjj
                                        ; -- End function
	.set _ZL13mul_mat_vec_qIL9ggml_type16ELi8ELb0ELb0EEvPKvS2_PKi31ggml_cuda_mm_fusion_args_devicePfj15HIP_vector_typeIjLj3EEjjjS8_jjjS8_jjjj.num_vgpr, 36
	.set _ZL13mul_mat_vec_qIL9ggml_type16ELi8ELb0ELb0EEvPKvS2_PKi31ggml_cuda_mm_fusion_args_devicePfj15HIP_vector_typeIjLj3EEjjjS8_jjjS8_jjjj.num_agpr, 0
	.set _ZL13mul_mat_vec_qIL9ggml_type16ELi8ELb0ELb0EEvPKvS2_PKi31ggml_cuda_mm_fusion_args_devicePfj15HIP_vector_typeIjLj3EEjjjS8_jjjS8_jjjj.numbered_sgpr, 28
	.set _ZL13mul_mat_vec_qIL9ggml_type16ELi8ELb0ELb0EEvPKvS2_PKi31ggml_cuda_mm_fusion_args_devicePfj15HIP_vector_typeIjLj3EEjjjS8_jjjS8_jjjj.num_named_barrier, 0
	.set _ZL13mul_mat_vec_qIL9ggml_type16ELi8ELb0ELb0EEvPKvS2_PKi31ggml_cuda_mm_fusion_args_devicePfj15HIP_vector_typeIjLj3EEjjjS8_jjjS8_jjjj.private_seg_size, 0
	.set _ZL13mul_mat_vec_qIL9ggml_type16ELi8ELb0ELb0EEvPKvS2_PKi31ggml_cuda_mm_fusion_args_devicePfj15HIP_vector_typeIjLj3EEjjjS8_jjjS8_jjjj.uses_vcc, 1
	.set _ZL13mul_mat_vec_qIL9ggml_type16ELi8ELb0ELb0EEvPKvS2_PKi31ggml_cuda_mm_fusion_args_devicePfj15HIP_vector_typeIjLj3EEjjjS8_jjjS8_jjjj.uses_flat_scratch, 0
	.set _ZL13mul_mat_vec_qIL9ggml_type16ELi8ELb0ELb0EEvPKvS2_PKi31ggml_cuda_mm_fusion_args_devicePfj15HIP_vector_typeIjLj3EEjjjS8_jjjS8_jjjj.has_dyn_sized_stack, 0
	.set _ZL13mul_mat_vec_qIL9ggml_type16ELi8ELb0ELb0EEvPKvS2_PKi31ggml_cuda_mm_fusion_args_devicePfj15HIP_vector_typeIjLj3EEjjjS8_jjjS8_jjjj.has_recursion, 0
	.set _ZL13mul_mat_vec_qIL9ggml_type16ELi8ELb0ELb0EEvPKvS2_PKi31ggml_cuda_mm_fusion_args_devicePfj15HIP_vector_typeIjLj3EEjjjS8_jjjS8_jjjj.has_indirect_call, 0
	.section	.AMDGPU.csdata,"",@progbits
; Kernel info:
; codeLenInByte = 6088
; TotalNumSgprs: 30
; NumVgprs: 36
; ScratchSize: 0
; MemoryBound: 0
; FloatMode: 240
; IeeeMode: 1
; LDSByteSize: 0 bytes/workgroup (compile time only)
; SGPRBlocks: 0
; VGPRBlocks: 4
; NumSGPRsForWavesPerEU: 30
; NumVGPRsForWavesPerEU: 36
; Occupancy: 16
; WaveLimiterHint : 0
; COMPUTE_PGM_RSRC2:SCRATCH_EN: 0
; COMPUTE_PGM_RSRC2:USER_SGPR: 2
; COMPUTE_PGM_RSRC2:TRAP_HANDLER: 0
; COMPUTE_PGM_RSRC2:TGID_X_EN: 1
; COMPUTE_PGM_RSRC2:TGID_Y_EN: 1
; COMPUTE_PGM_RSRC2:TGID_Z_EN: 1
; COMPUTE_PGM_RSRC2:TIDIG_COMP_CNT: 1
	.section	.text._ZL17mul_mat_vec_q_moeIL9ggml_type17ELi2EEvPKvS2_PKiPfj15HIP_vector_typeIjLj3EEjjjjjjjjj,"axG",@progbits,_ZL17mul_mat_vec_q_moeIL9ggml_type17ELi2EEvPKvS2_PKiPfj15HIP_vector_typeIjLj3EEjjjjjjjjj,comdat
	.globl	_ZL17mul_mat_vec_q_moeIL9ggml_type17ELi2EEvPKvS2_PKiPfj15HIP_vector_typeIjLj3EEjjjjjjjjj ; -- Begin function _ZL17mul_mat_vec_q_moeIL9ggml_type17ELi2EEvPKvS2_PKiPfj15HIP_vector_typeIjLj3EEjjjjjjjjj
	.p2align	8
	.type	_ZL17mul_mat_vec_q_moeIL9ggml_type17ELi2EEvPKvS2_PKiPfj15HIP_vector_typeIjLj3EEjjjjjjjjj,@function
_ZL17mul_mat_vec_q_moeIL9ggml_type17ELi2EEvPKvS2_PKiPfj15HIP_vector_typeIjLj3EEjjjjjjjjj: ; @_ZL17mul_mat_vec_q_moeIL9ggml_type17ELi2EEvPKvS2_PKiPfj15HIP_vector_typeIjLj3EEjjjjjjjjj
; %bb.0:
	s_load_b256 s[4:11], s[0:1], 0x30
	v_bfe_u32 v13, v0, 10, 10
	s_mov_b32 s2, exec_lo
	s_wait_kmcnt 0x0
	s_delay_alu instid0(VALU_DEP_1)
	v_cmpx_gt_u32_e64 s11, v13
	s_cbranch_execz .LBB168_7
; %bb.1:
	s_clause 0x2
	s_load_b32 s2, s[0:1], 0x20
	s_load_b32 s20, s[0:1], 0x50
	s_load_b256 s[12:19], s[0:1], 0x0
	v_bfe_u32 v15, v0, 3, 7
	v_and_b32_e32 v14, 0x3ff, v0
	v_mov_b32_e32 v16, 0
	v_mov_b32_e32 v8, 0
	s_mov_b32 s11, exec_lo
	s_wait_kmcnt 0x0
	s_lshr_b32 s3, s2, 8
	s_lshl_b32 s2, ttmp9, 1
	v_cmpx_gt_u32_e64 s3, v15
	s_cbranch_execz .LBB168_5
; %bb.2:
	s_mov_b32 s22, ttmp7
	v_lshrrev_b32_e32 v3, 3, v14
	v_mad_co_u64_u32 v[7:8], null, s20, v13, s[22:23]
	v_dual_mov_b32 v8, 0 :: v_dual_and_b32 v17, 7, v14
	s_load_b96 s[20:22], s[0:1], 0x24
	s_delay_alu instid0(VALU_DEP_1) | instskip(NEXT) | instid1(VALU_DEP_3)
	v_mov_b32_e32 v16, v8
	v_lshlrev_b64_e32 v[0:1], 2, v[7:8]
	s_delay_alu instid0(VALU_DEP_1) | instskip(NEXT) | instid1(VALU_DEP_1)
	v_add_co_u32 v0, vcc_lo, s16, v0
	v_add_co_ci_u32_e64 v1, null, s17, v1, vcc_lo
	global_load_b32 v2, v[0:1], off
	v_mul_lo_u32 v0, s6, v13
	s_wait_kmcnt 0x0
	s_mul_hi_u32 s0, s20, ttmp7
	s_delay_alu instid0(SALU_CYCLE_1) | instskip(NEXT) | instid1(SALU_CYCLE_1)
	s_add_co_i32 s0, ttmp7, s0
	s_lshr_b32 s0, s0, s21
	s_delay_alu instid0(VALU_DEP_1) | instskip(SKIP_1) | instid1(SALU_CYCLE_1)
	v_mad_co_u64_u32 v[0:1], null, v0, 36, 0
	s_mul_i32 s0, s0, s22
	s_sub_co_i32 s0, ttmp7, s0
	s_delay_alu instid0(SALU_CYCLE_1) | instskip(SKIP_2) | instid1(VALU_DEP_1)
	s_mul_i32 s0, s0, s9
	v_mad_co_u64_u32 v[0:1], null, 0x120, v3, v[0:1]
	v_lshlrev_b32_e32 v3, 1, v14
	v_and_b32_e32 v3, 14, v3
	s_delay_alu instid0(VALU_DEP_3) | instskip(SKIP_3) | instid1(VALU_DEP_2)
	v_mad_co_u64_u32 v[0:1], null, s0, 36, v[0:1]
	s_add_co_i32 s0, s2, 1
	v_lshlrev_b32_e32 v3, 1, v3
	v_mad_co_u64_u32 v[0:1], null, v17, 36, v[0:1]
	v_lshlrev_b32_e32 v18, 1, v3
	s_delay_alu instid0(VALU_DEP_2) | instskip(SKIP_1) | instid1(VALU_DEP_3)
	v_add_co_u32 v0, vcc_lo, s14, v0
	s_wait_alu 0xfffd
	v_add_co_ci_u32_e64 v1, null, s15, v1, vcc_lo
	s_wait_loadcnt 0x0
	v_mul_lo_u32 v2, v2, s8
	s_delay_alu instid0(VALU_DEP_1)
	v_mad_co_u64_u32 v[9:10], null, s2, s5, v[2:3]
	s_wait_alu 0xfffe
	v_mad_co_u64_u32 v[10:11], null, s5, s0, v[2:3]
	v_add_co_u32 v11, vcc_lo, v0, 32
	s_wait_alu 0xfffd
	v_add_co_ci_u32_e64 v12, null, 0, v1, vcc_lo
	s_mov_b32 s5, 0
.LBB168_3:                              ; =>This Inner Loop Header: Depth=1
	s_clause 0x2
	global_load_b128 v[0:3], v[11:12], off offset:-32
	global_load_b128 v[4:7], v[11:12], off offset:-16
	global_load_b32 v21, v[11:12], off
	s_getpc_b64 s[0:1]
	s_wait_alu 0xfffe
	s_sext_i32_i16 s1, s1
	s_add_co_u32 s0, s0, _ZL10iq2xs_grid@rel32@lo+12
	s_wait_alu 0xfffe
	s_add_co_ci_u32 s1, s1, _ZL10iq2xs_grid@rel32@hi+24
	s_wait_loadcnt 0x2
	v_cvt_f32_f16_e32 v0, v0
	v_add_nc_u32_e32 v19, v9, v15
	v_add_nc_u32_e32 v20, v10, v15
	v_add_nc_u32_e32 v15, 4, v15
	s_delay_alu instid0(VALU_DEP_3) | instskip(NEXT) | instid1(VALU_DEP_3)
	v_mad_co_i64_i32 v[24:25], null, 0x4a, v19, s[12:13]
	v_mad_co_i64_i32 v[19:20], null, 0x4a, v20, s[12:13]
	s_delay_alu instid0(VALU_DEP_2) | instskip(SKIP_1) | instid1(VALU_DEP_3)
	v_add_co_u32 v22, vcc_lo, v24, v18
	s_wait_alu 0xfffd
	v_add_co_ci_u32_e64 v23, null, 0, v25, vcc_lo
	s_delay_alu instid0(VALU_DEP_3) | instskip(SKIP_1) | instid1(VALU_DEP_4)
	v_add_co_u32 v26, vcc_lo, v19, v18
	s_wait_alu 0xfffd
	v_add_co_ci_u32_e64 v27, null, 0, v20, vcc_lo
	v_add_co_u32 v28, vcc_lo, v19, v17
	s_wait_alu 0xfffd
	v_add_co_ci_u32_e64 v29, null, 0, v20, vcc_lo
	v_add_co_u32 v30, vcc_lo, v24, v17
	s_wait_alu 0xfffd
	v_add_co_ci_u32_e64 v31, null, 0, v25, vcc_lo
	s_clause 0x5
	global_load_u16 v19, v[19:20], off
	global_load_b64 v[32:33], v[22:23], off offset:2
	global_load_b64 v[26:27], v[26:27], off offset:2
	global_load_u8 v23, v[30:31], off offset:66
	global_load_u16 v20, v[24:25], off
	global_load_u8 v22, v[28:29], off offset:66
	s_wait_loadcnt 0x4
	v_and_b32_e32 v24, 0x1ff, v32
	v_lshrrev_b32_e32 v25, 13, v32
	v_and_b32_e32 v29, 0x1ff, v33
	v_lshrrev_b32_e32 v30, 13, v33
	v_lshrrev_b32_e32 v28, 25, v32
	;; [unrolled: 1-line block ×3, first 2 shown]
	s_wait_loadcnt 0x3
	v_and_b32_e32 v34, 0x1ff, v26
	v_lshrrev_b32_e32 v35, 13, v26
	v_lshlrev_b32_e32 v24, 3, v24
	v_and_b32_e32 v41, 0xff8, v25
	v_lshlrev_b32_e32 v43, 3, v29
	v_and_b32_e32 v49, 0xff8, v30
	v_bcnt_u32_b32 v42, v28, 0
	v_bcnt_u32_b32 v50, v31, 0
	v_lshlrev_b32_e32 v51, 3, v34
	v_and_b32_e32 v53, 0xff8, v35
	s_clause 0x3
	global_load_b64 v[24:25], v24, s[0:1]
	global_load_b64 v[28:29], v41, s[0:1]
	global_load_b64 v[30:31], v43, s[0:1]
	global_load_b64 v[34:35], v49, s[0:1]
	v_bfe_u32 v44, v32, 9, 7
	v_lshrrev_b32_e32 v36, 25, v26
	v_and_b32_e32 v37, 0x1ff, v27
	v_lshrrev_b32_e32 v38, 25, v27
	v_lshrrev_b32_e32 v39, 13, v27
	v_bcnt_u32_b32 v40, v44, 0
	v_bcnt_u32_b32 v36, v36, 0
	v_lshlrev_b32_e32 v55, 3, v37
	v_bcnt_u32_b32 v37, v38, 0
	v_and_b32_e32 v56, 0xff8, v39
	v_and_b32_e32 v49, 1, v40
	;; [unrolled: 1-line block ×5, first 2 shown]
	s_clause 0x3
	global_load_b64 v[36:37], v51, s[0:1]
	global_load_b64 v[38:39], v53, s[0:1]
	;; [unrolled: 1-line block ×4, first 2 shown]
	v_bfe_u32 v45, v33, 9, 7
	v_lshl_or_b32 v44, v49, 7, v44
	v_bfe_u32 v46, v26, 9, 7
	v_alignbit_b32 v32, v57, v32, 25
	v_and_b32_e32 v50, 1, v50
	v_bcnt_u32_b32 v48, v45, 0
	v_mul_lo_u32 v44, 0x1010101, v44
	v_bcnt_u32_b32 v52, v46, 0
	v_mul_lo_u32 v32, 0x1010101, v32
	v_alignbit_b32 v33, v50, v33, 25
	v_and_b32_e32 v48, 1, v48
	v_bfe_u32 v47, v27, 9, 7
	v_and_b32_e32 v52, 1, v52
	v_alignbit_b32 v27, v59, v27, 25
	v_and_b32_e32 v51, 0x80402010, v44
	v_lshl_or_b32 v45, v48, 7, v45
	v_and_b32_e32 v48, 0x8040201, v44
	v_lshl_or_b32 v46, v52, 7, v46
	v_and_b32_e32 v52, 0x8040201, v32
	v_lshrrev_b16 v82, 8, v51
	v_lshrrev_b32_e32 v83, 24, v51
	v_lshrrev_b16 v80, 8, v48
	v_lshrrev_b32_e32 v48, 24, v48
	v_lshrrev_b16 v84, 8, v52
	v_and_b32_e32 v55, 0x80402010, v32
	v_lshrrev_b32_e32 v52, 24, v52
	v_cmp_ne_u16_e32 vcc_lo, 0, v80
	v_mul_lo_u32 v45, 0x1010101, v45
	v_mul_lo_u32 v33, 0x1010101, v33
	v_lshrrev_b16 v86, 8, v55
	v_lshrrev_b32_e32 v87, 24, v55
	s_wait_alu 0xfffd
	v_cndmask_b32_e64 v80, 0, -1, vcc_lo
	v_cmp_ne_u16_e32 vcc_lo, 0, v48
	v_mul_lo_u32 v46, 0x1010101, v46
	v_lshrrev_b32_e32 v49, 18, v44
	v_and_b32_e32 v56, 0x8040201, v45
	v_and_b32_e32 v59, 0x80402010, v45
	s_wait_alu 0xfffd
	v_cndmask_b32_e64 v48, 0, -1, vcc_lo
	v_cmp_ne_u16_e32 vcc_lo, 0, v82
	v_and_b32_e32 v60, 0x8040201, v33
	v_lshrrev_b16 v88, 8, v56
	v_lshrrev_b32_e32 v56, 24, v56
	v_lshrrev_b16 v90, 8, v59
	s_wait_alu 0xfffd
	v_cndmask_b32_e64 v82, 0, -1, vcc_lo
	v_cmp_ne_u16_e32 vcc_lo, 0, v83
	v_lshrrev_b32_e32 v91, 24, v59
	v_lshrrev_b16 v92, 8, v60
	v_and_b32_e32 v63, 0x80402010, v33
	v_lshrrev_b32_e32 v60, 24, v60
	s_wait_alu 0xfffd
	v_cndmask_b32_e64 v83, 0, -1, vcc_lo
	v_cmp_ne_u16_e32 vcc_lo, 0, v84
	v_bfe_i32 v50, v44, 0, 1
	v_lshrrev_b16 v94, 8, v63
	v_and_b32_e32 v64, 0x8040201, v46
	v_bfe_i32 v49, v49, 0, 1
	s_wait_alu 0xfffd
	v_cndmask_b32_e64 v84, 0, -1, vcc_lo
	v_cmp_ne_u16_e32 vcc_lo, 0, v52
	v_lshrrev_b32_e32 v95, 24, v63
	v_bcnt_u32_b32 v54, v47, 0
	v_and_b32_e32 v81, 0xff, v50
	v_lshrrev_b16 v96, 8, v64
	s_wait_alu 0xfffd
	v_cndmask_b32_e64 v52, 0, -1, vcc_lo
	v_cmp_ne_u16_e32 vcc_lo, 0, v86
	v_and_b32_e32 v112, 0xff, v49
	v_lshlrev_b16 v80, 8, v80
	v_lshlrev_b16 v48, 8, v48
	v_alignbit_b32 v26, v58, v26, 25
	s_wait_alu 0xfffd
	v_cndmask_b32_e64 v86, 0, -1, vcc_lo
	v_cmp_ne_u16_e32 vcc_lo, 0, v87
	v_and_b32_e32 v54, 1, v54
	v_lshrrev_b32_e32 v44, 22, v44
	v_lshrrev_b32_e32 v53, 18, v32
	v_and_b32_e32 v67, 0x80402010, v46
	s_wait_alu 0xfffd
	v_cndmask_b32_e64 v87, 0, -1, vcc_lo
	v_cmp_ne_u16_e32 vcc_lo, 0, v88
	v_lshrrev_b16 v51, 4, v51
	v_lshrrev_b32_e32 v64, 24, v64
	v_or_b32_e32 v81, v81, v80
	v_or_b32_e32 v112, v112, v48
	s_wait_alu 0xfffd
	v_cndmask_b32_e64 v88, 0, -1, vcc_lo
	v_cmp_ne_u16_e32 vcc_lo, 0, v56
	v_mul_lo_u32 v26, 0x1010101, v26
	v_lshl_or_b32 v47, v54, 7, v47
	v_bfe_i32 v54, v32, 0, 1
	v_bfe_i32 v44, v44, 0, 1
	s_wait_alu 0xfffd
	v_cndmask_b32_e64 v56, 0, -1, vcc_lo
	v_cmp_ne_u16_e32 vcc_lo, 0, v90
	v_bfe_i32 v53, v53, 0, 1
	v_lshrrev_b16 v98, 8, v67
	v_bfe_i32 v51, v51, 0, 1
	v_and_b32_e32 v81, 0xffff, v81
	s_wait_alu 0xfffd
	v_cndmask_b32_e64 v90, 0, -1, vcc_lo
	v_cmp_ne_u16_e32 vcc_lo, 0, v91
	v_lshlrev_b32_e32 v112, 16, v112
	v_and_b32_e32 v68, 0x8040201, v26
	v_and_b32_e32 v85, 0xff, v54
	v_lshrrev_b32_e32 v99, 24, v67
	s_wait_alu 0xfffd
	v_cndmask_b32_e64 v91, 0, -1, vcc_lo
	v_cmp_ne_u16_e32 vcc_lo, 0, v92
	v_and_b32_e32 v113, 0xff, v44
	v_and_b32_e32 v114, 0xff, v53
	v_or_b32_e32 v81, v81, v112
	v_and_b32_e32 v112, 0xff, v51
	s_wait_alu 0xfffd
	v_cndmask_b32_e64 v92, 0, -1, vcc_lo
	v_cmp_ne_u16_e32 vcc_lo, 0, v60
	v_lshlrev_b16 v82, 8, v82
	v_lshlrev_b16 v83, 8, v83
	;; [unrolled: 1-line block ×4, first 2 shown]
	s_wait_alu 0xfffd
	v_cndmask_b32_e64 v60, 0, -1, vcc_lo
	v_cmp_ne_u16_e32 vcc_lo, 0, v94
	v_lshrrev_b32_e32 v32, 22, v32
	v_lshrrev_b16 v55, 4, v55
	v_lshrrev_b16 v100, 8, v68
	v_or_b32_e32 v112, v112, v82
	s_wait_alu 0xfffd
	v_cndmask_b32_e64 v94, 0, -1, vcc_lo
	v_cmp_ne_u16_e32 vcc_lo, 0, v95
	v_or_b32_e32 v113, v113, v83
	v_or_b32_e32 v85, v85, v84
	;; [unrolled: 1-line block ×3, first 2 shown]
	v_lshrrev_b32_e32 v57, 18, v45
	s_wait_alu 0xfffd
	v_cndmask_b32_e64 v95, 0, -1, vcc_lo
	v_cmp_ne_u16_e32 vcc_lo, 0, v96
	v_and_b32_e32 v71, 0x80402010, v26
	v_bfe_i32 v32, v32, 0, 1
	v_lshrrev_b32_e32 v68, 24, v68
	v_bfe_i32 v55, v55, 0, 1
	s_wait_alu 0xfffd
	v_cndmask_b32_e64 v96, 0, -1, vcc_lo
	v_cmp_ne_u16_e32 vcc_lo, 0, v64
	v_and_b32_e32 v112, 0xffff, v112
	v_lshlrev_b32_e32 v113, 16, v113
	v_and_b32_e32 v85, 0xffff, v85
	v_lshlrev_b32_e32 v114, 16, v114
	s_wait_alu 0xfffd
	v_cndmask_b32_e64 v64, 0, -1, vcc_lo
	v_cmp_ne_u16_e32 vcc_lo, 0, v98
	v_mul_lo_u32 v47, 0x1010101, v47
	v_bfe_i32 v58, v45, 0, 1
	v_bfe_i32 v57, v57, 0, 1
	v_lshrrev_b16 v102, 8, v71
	s_wait_alu 0xfffd
	v_cndmask_b32_e64 v98, 0, -1, vcc_lo
	v_cmp_ne_u16_e32 vcc_lo, 0, v99
	v_or_b32_e32 v112, v112, v113
	v_and_b32_e32 v113, 0xff, v32
	v_or_b32_e32 v85, v85, v114
	v_and_b32_e32 v114, 0xff, v55
	s_wait_alu 0xfffd
	v_cndmask_b32_e64 v99, 0, -1, vcc_lo
	v_cmp_ne_u16_e32 vcc_lo, 0, v100
	v_lshlrev_b16 v86, 8, v86
	v_lshlrev_b16 v87, 8, v87
	v_lshrrev_b32_e32 v61, 18, v33
	v_and_b32_e32 v72, 0x8040201, v47
	s_wait_alu 0xfffd
	v_cndmask_b32_e64 v100, 0, -1, vcc_lo
	v_cmp_ne_u16_e32 vcc_lo, 0, v68
	v_and_b32_e32 v89, 0xff, v58
	v_lshrrev_b32_e32 v103, 24, v71
	v_or_b32_e32 v114, v114, v86
	v_or_b32_e32 v113, v113, v87
	v_lshlrev_b16 v88, 8, v88
	v_lshlrev_b16 v56, 8, v56
	s_wait_alu 0xfffd
	v_cndmask_b32_e64 v68, 0, -1, vcc_lo
	v_cmp_ne_u16_e32 vcc_lo, 0, v102
	v_lshrrev_b32_e32 v45, 22, v45
	v_bfe_i32 v62, v33, 0, 1
	v_lshrrev_b16 v59, 4, v59
	v_bfe_i32 v61, v61, 0, 1
	v_lshrrev_b16 v104, 8, v72
	v_and_b32_e32 v114, 0xffff, v114
	v_lshlrev_b32_e32 v113, 16, v113
	v_or_b32_e32 v89, v89, v88
	s_wait_alu 0xfffd
	v_cndmask_b32_e64 v102, 0, -1, vcc_lo
	v_cmp_ne_u16_e32 vcc_lo, 0, v103
	v_mul_lo_u32 v27, 0x1010101, v27
	v_lshrrev_b32_e32 v65, 18, v46
	v_lshrrev_b32_e32 v69, 18, v26
	v_bfe_i32 v45, v45, 0, 1
	v_and_b32_e32 v93, 0xff, v62
	v_lshrrev_b32_e32 v72, 24, v72
	v_bfe_i32 v59, v59, 0, 1
	v_or_b32_e32 v113, v114, v113
	v_and_b32_e32 v114, 0xff, v61
	v_and_b32_e32 v89, 0xffff, v89
	s_wait_alu 0xfffd
	v_cndmask_b32_e64 v103, 0, -1, vcc_lo
	v_cmp_ne_u16_e32 vcc_lo, 0, v104
	v_lshlrev_b16 v92, 8, v92
	v_lshlrev_b16 v60, 8, v60
	v_lshrrev_b32_e32 v33, 22, v33
	v_bfe_i32 v66, v46, 0, 1
	v_bfe_i32 v70, v26, 0, 1
	v_lshrrev_b32_e32 v73, 18, v47
	v_and_b32_e32 v75, 0x80402010, v47
	v_and_b32_e32 v76, 0x8040201, v27
	;; [unrolled: 1-line block ×3, first 2 shown]
	v_lshrrev_b16 v63, 4, v63
	v_bfe_i32 v65, v65, 0, 1
	v_bfe_i32 v69, v69, 0, 1
	v_lshlrev_b16 v90, 8, v90
	v_lshlrev_b16 v91, 8, v91
	s_wait_alu 0xfffd
	v_cndmask_b32_e64 v104, 0, -1, vcc_lo
	v_cmp_ne_u16_e32 vcc_lo, 0, v72
	v_or_b32_e32 v93, v93, v92
	v_or_b32_e32 v114, v114, v60
	v_bfe_i32 v74, v47, 0, 1
	v_bfe_i32 v33, v33, 0, 1
	v_and_b32_e32 v97, 0xff, v66
	v_and_b32_e32 v101, 0xff, v70
	v_lshrrev_b16 v105, 8, v75
	v_bfe_i32 v73, v73, 0, 1
	v_lshrrev_b32_e32 v108, 24, v76
	v_lshrrev_b32_e32 v109, 24, v77
	v_lshrrev_b16 v76, 8, v76
	v_bfe_i32 v63, v63, 0, 1
	s_wait_alu 0xfffd
	v_cndmask_b32_e64 v72, 0, -1, vcc_lo
	v_and_b32_e32 v93, 0xffff, v93
	v_lshlrev_b32_e32 v114, 16, v114
	v_lshlrev_b16 v96, 8, v96
	v_lshlrev_b16 v64, 8, v64
	;; [unrolled: 1-line block ×4, first 2 shown]
	v_lshrrev_b32_e32 v46, 22, v46
	v_lshrrev_b32_e32 v26, 22, v26
	v_lshrrev_b16 v67, 4, v67
	v_lshrrev_b16 v71, 4, v71
	v_lshrrev_b32_e32 v106, 24, v75
	v_and_b32_e32 v107, 0xff, v74
	v_cmp_ne_u16_e32 vcc_lo, 0, v109
	v_and_b32_e32 v109, 0xff, v73
	v_cmp_ne_u16_e64 s0, 0, v105
	v_cmp_ne_u16_e64 s1, 0, v76
	v_or_b32_e32 v93, v93, v114
	v_and_b32_e32 v114, 0xff, v63
	v_lshlrev_b16 v94, 8, v94
	v_lshlrev_b16 v95, 8, v95
	v_or_b32_e32 v97, v97, v96
	v_or_b32_e32 v101, v101, v100
	v_lshlrev_b16 v104, 8, v104
	v_lshlrev_b16 v72, 8, v72
	v_lshrrev_b32_e32 v47, 22, v47
	v_lshrrev_b32_e32 v78, 18, v27
	v_bfe_i32 v46, v46, 0, 1
	v_bfe_i32 v26, v26, 0, 1
	v_lshrrev_b16 v75, 4, v75
	v_bfe_i32 v67, v67, 0, 1
	v_bfe_i32 v71, v71, 0, 1
	s_wait_alu 0xf1ff
	v_cndmask_b32_e64 v105, 0, -1, s0
	v_cmp_ne_u16_e64 s0, 0, v106
	s_wait_alu 0xfffe
	v_cndmask_b32_e64 v76, 0, -1, s1
	v_cmp_ne_u16_e64 s1, 0, v108
	v_or_b32_e32 v114, v114, v94
	v_and_b32_e32 v97, 0xffff, v97
	v_and_b32_e32 v101, 0xffff, v101
	v_or_b32_e32 v107, v107, v104
	v_or_b32_e32 v109, v109, v72
	v_bfe_i32 v79, v27, 0, 1
	v_bfe_i32 v47, v47, 0, 1
	v_lshrrev_b16 v110, 8, v77
	v_bfe_i32 v78, v78, 0, 1
	v_bfe_i32 v75, v75, 0, 1
	s_wait_alu 0xf1ff
	v_cndmask_b32_e64 v106, 0, -1, s0
	v_cndmask_b32_e64 v108, 0, -1, s1
	v_and_b32_e32 v114, 0xffff, v114
	v_lshlrev_b16 v98, 8, v98
	v_lshlrev_b16 v99, 8, v99
	;; [unrolled: 1-line block ×4, first 2 shown]
	v_and_b32_e32 v107, 0xffff, v107
	v_lshlrev_b32_e32 v109, 16, v109
	v_and_b32_e32 v111, 0xff, v79
	v_cmp_ne_u16_e64 s0, 0, v110
	v_and_b32_e32 v110, 0xff, v47
	v_lshlrev_b16 v105, 8, v105
	v_or_b32_e32 v107, v107, v109
	v_and_b32_e32 v109, 0xff, v75
	v_lshlrev_b16 v106, 8, v106
	v_lshlrev_b16 v76, 8, v76
	;; [unrolled: 1-line block ×3, first 2 shown]
	v_lshrrev_b32_e32 v27, 22, v27
	v_lshrrev_b16 v77, 4, v77
	v_or_b32_e32 v109, v109, v105
	v_or_b32_e32 v110, v110, v106
	;; [unrolled: 1-line block ×3, first 2 shown]
	v_bfe_i32 v27, v27, 0, 1
	v_bfe_i32 v77, v77, 0, 1
	v_and_b32_e32 v109, 0xffff, v109
	v_lshlrev_b32_e32 v110, 16, v110
	v_and_b32_e32 v111, 0xffff, v111
	v_lshlrev_b16 v50, 8, v50
	v_lshlrev_b16 v54, 8, v54
	;; [unrolled: 1-line block ×3, first 2 shown]
	v_or_b32_e32 v109, v109, v110
	v_and_b32_e32 v110, 0xff, v27
	v_lshlrev_b16 v70, 8, v70
	v_lshlrev_b16 v51, 8, v51
	;; [unrolled: 1-line block ×11, first 2 shown]
	s_wait_loadcnt 0x7
	v_xor_b32_e32 v24, v24, v81
	v_and_b32_e32 v81, 0xff, v57
	v_xor_b32_e32 v25, v25, v112
	v_and_b32_e32 v112, 0xff, v45
	s_wait_loadcnt 0x6
	v_xor_b32_e32 v29, v29, v113
	v_and_b32_e32 v113, 0xff, v65
	v_or_b32_e32 v81, v81, v56
	v_xor_b32_e32 v28, v28, v85
	v_or_b32_e32 v112, v112, v91
	v_and_b32_e32 v85, 0xff, v33
	v_or_b32_e32 v113, v113, v64
	v_lshlrev_b32_e32 v81, 16, v81
	s_wait_loadcnt 0x4
	v_xor_b32_e32 v34, v34, v93
	v_lshlrev_b32_e32 v112, 16, v112
	v_or_b32_e32 v85, v85, v95
	v_lshlrev_b32_e32 v113, 16, v113
	v_or_b32_e32 v81, v89, v81
	v_and_b32_e32 v89, 0xff, v59
	v_lshlrev_b16 v59, 8, v59
	v_lshlrev_b32_e32 v85, 16, v85
	v_or_b32_e32 v97, v97, v113
	v_xor_b32_e32 v30, v30, v81
	v_or_b32_e32 v89, v89, v90
	v_and_b32_e32 v81, 0xff, v69
	v_and_b32_e32 v113, 0xff, v67
	v_or_b32_e32 v85, v114, v85
	v_and_b32_e32 v114, 0xff, v78
	v_and_b32_e32 v89, 0xffff, v89
	v_or_b32_e32 v81, v81, v68
	v_or_b32_e32 v113, v113, v98
	v_xor_b32_e32 v35, v35, v85
	v_or_b32_e32 v114, v114, v108
	v_or_b32_e32 v89, v89, v112
	v_lshlrev_b32_e32 v81, 16, v81
	v_and_b32_e32 v112, 0xff, v46
	v_and_b32_e32 v113, 0xffff, v113
	v_lshlrev_b32_e32 v114, 16, v114
	v_xor_b32_e32 v31, v31, v89
	v_and_b32_e32 v89, 0xff, v26
	v_or_b32_e32 v81, v101, v81
	v_and_b32_e32 v101, 0xff, v71
	v_or_b32_e32 v112, v112, v99
	v_or_b32_e32 v111, v111, v114
	;; [unrolled: 1-line block ×3, first 2 shown]
	v_and_b32_e32 v114, 0xff, v77
	v_or_b32_e32 v101, v101, v102
	v_lshlrev_b32_e32 v112, 16, v112
	v_lshlrev_b16 v85, 8, v24
	v_lshlrev_b32_e32 v89, 16, v89
	s_wait_loadcnt 0x2
	v_xor_b32_e32 v38, v38, v81
	v_and_b32_e32 v101, 0xffff, v101
	v_or_b32_e32 v112, v113, v112
	s_wait_alu 0xf1ff
	v_cndmask_b32_e64 v113, 0, -1, s0
	v_and_b32_e32 v81, 0xffffff00, v24
	v_sub_nc_i16 v50, v85, v50 clamp
	v_or_b32_e32 v89, v101, v89
	s_wait_alu 0xfffd
	v_cndmask_b32_e64 v101, 0, -1, vcc_lo
	v_lshlrev_b16 v113, 8, v113
	v_lshlrev_b16 v85, 8, v31
	v_xor_b32_e32 v36, v36, v97
	v_xor_b32_e32 v37, v37, v112
	v_lshlrev_b16 v101, 8, v101
	v_or_b32_e32 v114, v114, v113
	s_wait_loadcnt 0x1
	v_xor_b32_e32 v40, v40, v107
	v_xor_b32_e32 v41, v41, v109
	v_lshlrev_b16 v93, 8, v25
	v_or_b32_e32 v110, v110, v101
	v_and_b32_e32 v114, 0xffff, v114
	v_and_b32_e32 v97, 0xffffff00, v28
	v_lshlrev_b16 v107, 8, v28
	v_and_b32_e32 v109, 0xffffff00, v29
	v_lshlrev_b32_e32 v110, 16, v110
	v_lshlrev_b16 v112, 8, v30
	v_sub_nc_i16 v80, v81, v80 clamp
	v_and_b32_e32 v81, 0xffffff00, v31
	v_sub_nc_i16 v59, v85, v59 clamp
	v_or_b32_e32 v110, v114, v110
	v_lshlrev_b16 v85, 8, v38
	v_lshlrev_b16 v67, 8, v67
	v_lshlrev_b16 v77, 8, v77
	v_xor_b32_e32 v39, v39, v89
	s_wait_loadcnt 0x0
	v_xor_b32_e32 v43, v43, v110
	v_lshlrev_b16 v110, 8, v29
	v_xor_b32_e32 v42, v42, v111
	v_and_b32_e32 v89, 0xffffff00, v25
	v_and_b32_e32 v111, 0xffffff00, v30
	v_sub_nc_i16 v51, v93, v51 clamp
	v_lshlrev_b16 v93, 8, v34
	v_sub_nc_i16 v84, v97, v84 clamp
	v_and_b32_e32 v97, 0xffffff00, v35
	v_sub_nc_i16 v54, v107, v54 clamp
	v_lshlrev_b16 v107, 8, v35
	v_sub_nc_i16 v86, v109, v86 clamp
	;; [unrolled: 4-line block ×3, first 2 shown]
	v_lshlrev_b16 v112, 8, v37
	v_sub_nc_i16 v81, v81, v90 clamp
	v_and_b32_e32 v90, 0xffffff00, v38
	v_sub_nc_i16 v70, v85, v70 clamp
	v_lshlrev_b16 v85, 8, v43
	v_lshrrev_b32_e32 v24, 16, v24
	v_lshlrev_b16 v71, 8, v71
	v_sub_nc_i16 v82, v89, v82 clamp
	v_and_b32_e32 v89, 0xffffff00, v34
	v_sub_nc_i16 v88, v111, v88 clamp
	v_and_b32_e32 v111, 0xffffff00, v37
	v_sub_nc_i16 v62, v93, v62 clamp
	v_lshlrev_b16 v93, 8, v39
	v_sub_nc_i16 v94, v97, v94 clamp
	v_and_b32_e32 v97, 0xffffff00, v40
	v_sub_nc_i16 v63, v107, v63 clamp
	v_lshlrev_b16 v107, 8, v40
	;; [unrolled: 4-line block ×3, first 2 shown]
	v_sub_nc_i16 v67, v112, v67 clamp
	v_lshlrev_b16 v112, 8, v42
	v_sub_nc_i16 v90, v90, v100 clamp
	v_and_b32_e32 v100, 0xffffff00, v43
	v_lshrrev_b32_e32 v30, 16, v30
	v_lshrrev_b32_e32 v31, 16, v31
	;; [unrolled: 1-line block ×6, first 2 shown]
	v_sub_nc_i16 v77, v85, v77 clamp
	v_and_b32_e32 v85, 0xffffff00, v24
	v_lshlrev_b16 v24, 8, v24
	v_lshlrev_b16 v57, 8, v57
	v_lshlrev_b16 v45, 8, v45
	v_lshlrev_b16 v65, 8, v65
	v_lshlrev_b16 v46, 8, v46
	v_lshlrev_b16 v73, 8, v73
	v_sub_nc_i16 v89, v89, v92 clamp
	v_and_b32_e32 v92, 0xffffff00, v39
	v_sub_nc_i16 v98, v111, v98 clamp
	v_and_b32_e32 v111, 0xffffff00, v42
	v_lshrrev_b32_e32 v25, 16, v25
	v_lshrrev_b32_e32 v29, 16, v29
	;; [unrolled: 1-line block ×6, first 2 shown]
	v_sub_nc_i16 v71, v93, v71 clamp
	v_sub_nc_i16 v93, v97, v104 clamp
	;; [unrolled: 1-line block ×7, first 2 shown]
	v_and_b32_e32 v107, 0xffffff00, v30
	v_lshlrev_b16 v30, 8, v30
	v_and_b32_e32 v109, 0xffffff00, v31
	v_lshlrev_b16 v31, 8, v31
	;; [unrolled: 2-line block ×5, first 2 shown]
	v_sub_nc_i16 v24, v24, v49 clamp
	v_and_b32_e32 v49, 0xffffff00, v40
	v_lshlrev_b16 v40, 8, v40
	v_lshlrev_b16 v44, 8, v44
	;; [unrolled: 1-line block ×7, first 2 shown]
	v_lshrrev_b32_e32 v28, 16, v28
	v_lshrrev_b32_e32 v42, 16, v42
	v_sub_nc_i16 v92, v92, v102 clamp
	v_sub_nc_i16 v76, v111, v76 clamp
	v_and_b32_e32 v102, 0xffffff00, v25
	v_lshlrev_b16 v25, 8, v25
	v_and_b32_e32 v105, 0xffffff00, v29
	v_lshlrev_b16 v29, 8, v29
	v_and_b32_e32 v111, 0xffffff00, v35
	v_lshlrev_b16 v35, 8, v35
	v_perm_b32 v50, v50, v80, 0xc0c0105
	v_and_b32_e32 v80, 0xffffff00, v38
	v_lshlrev_b16 v38, 8, v38
	v_sub_nc_i16 v48, v85, v48 clamp
	v_and_b32_e32 v85, 0xffffff00, v39
	v_lshlrev_b16 v39, 8, v39
	v_perm_b32 v51, v51, v82, 0xc0c0105
	v_and_b32_e32 v82, 0xffffff00, v41
	v_lshlrev_b16 v41, 8, v41
	v_sub_nc_i16 v56, v107, v56 clamp
	v_sub_nc_i16 v30, v30, v57 clamp
	v_perm_b32 v57, v59, v81, 0xc0c0105
	v_sub_nc_i16 v31, v31, v45 clamp
	v_perm_b32 v45, v62, v89, 0xc0c0105
	v_sub_nc_i16 v59, v110, v60 clamp
	v_sub_nc_i16 v34, v34, v61 clamp
	;; [unrolled: 1-line block ×8, first 2 shown]
	v_lshlrev_b16 v53, 8, v53
	v_lshlrev_b16 v78, 8, v78
	v_lshrrev_b32_e32 v43, 16, v43
	v_and_b32_e32 v104, 0xffffff00, v28
	v_lshlrev_b16 v28, 8, v28
	v_sub_nc_i16 v83, v102, v83 clamp
	v_and_b32_e32 v102, 0xffffff00, v42
	v_lshlrev_b16 v42, 8, v42
	v_sub_nc_i16 v25, v25, v44 clamp
	v_sub_nc_i16 v29, v29, v32 clamp
	v_perm_b32 v32, v58, v88, 0xc0c0105
	v_sub_nc_i16 v58, v109, v91 clamp
	v_perm_b32 v60, v63, v94, 0xc0c0105
	;; [unrolled: 2-line block ×3, first 2 shown]
	v_perm_b32 v63, v67, v98, 0xc0c0105
	v_sub_nc_i16 v65, v80, v68 clamp
	v_sub_nc_i16 v38, v38, v69 clamp
	;; [unrolled: 1-line block ×3, first 2 shown]
	v_perm_b32 v39, v74, v93, 0xc0c0105
	v_sub_nc_i16 v69, v82, v106 clamp
	v_sub_nc_i16 v41, v41, v47 clamp
	v_perm_b32 v24, v24, v48, 0xc0c0105
	v_perm_b32 v30, v30, v56, 0xc0c0105
	;; [unrolled: 1-line block ×6, first 2 shown]
	v_lshlrev_b16 v27, 8, v27
	v_and_b32_e32 v44, 0xffffff00, v43
	v_lshlrev_b16 v43, 8, v43
	v_sub_nc_i16 v52, v104, v52 clamp
	v_sub_nc_i16 v28, v28, v53 clamp
	v_perm_b32 v46, v70, v90, 0xc0c0105
	v_perm_b32 v68, v75, v97, 0xc0c0105
	v_sub_nc_i16 v70, v102, v108 clamp
	v_sub_nc_i16 v42, v42, v78 clamp
	v_perm_b32 v25, v25, v83, 0xc0c0105
	v_perm_b32 v31, v31, v58, 0xc0c0105
	v_perm_b32 v38, v38, v65, 0xc0c0105
	v_perm_b32 v41, v41, v69, 0xc0c0105
	v_lshl_or_b32 v24, v24, 16, v50
	v_lshl_or_b32 v30, v30, 16, v32
	v_lshl_or_b32 v32, v34, 16, v45
	v_lshl_or_b32 v34, v36, 16, v35
	v_lshl_or_b32 v35, v37, 16, v63
	v_lshl_or_b32 v37, v40, 16, v39
	v_perm_b32 v54, v54, v84, 0xc0c0105
	v_perm_b32 v53, v55, v86, 0xc0c0105
	v_sub_nc_i16 v55, v105, v87 clamp
	v_sub_nc_i16 v61, v111, v95 clamp
	;; [unrolled: 1-line block ×3, first 2 shown]
	v_perm_b32 v47, v79, v76, 0xc0c0105
	v_sub_nc_i16 v44, v44, v101 clamp
	v_sub_nc_i16 v27, v43, v27 clamp
	v_perm_b32 v28, v28, v52, 0xc0c0105
	v_perm_b32 v42, v42, v70, 0xc0c0105
	v_lshl_or_b32 v25, v25, 16, v51
	v_lshl_or_b32 v31, v31, 16, v57
	;; [unrolled: 1-line block ×4, first 2 shown]
	v_dot4_i32_iu8 v24, v24, v1, 0 neg_lo:[1,1,0]
	v_dot4_i32_iu8 v30, v30, v5, 0 neg_lo:[1,1,0]
	;; [unrolled: 1-line block ×4, first 2 shown]
	v_perm_b32 v66, v71, v92, 0xc0c0105
	v_perm_b32 v71, v77, v100, 0xc0c0105
	;; [unrolled: 1-line block ×6, first 2 shown]
	v_lshl_or_b32 v28, v28, 16, v54
	v_lshl_or_b32 v39, v42, 16, v47
	v_dot4_i32_iu8 v24, v25, v2, v24 neg_lo:[1,1,0]
	v_dot4_i32_iu8 v25, v31, v6, v30 neg_lo:[1,1,0]
	;; [unrolled: 1-line block ×4, first 2 shown]
	v_lshl_or_b32 v29, v29, 16, v53
	v_lshl_or_b32 v33, v33, 16, v60
	;; [unrolled: 1-line block ×4, first 2 shown]
	v_dot4_i32_iu8 v5, v28, v3, v24 neg_lo:[1,1,0]
	v_dot4_i32_iu8 v6, v32, v7, v25 neg_lo:[1,1,0]
	;; [unrolled: 1-line block ×4, first 2 shown]
	v_lshrrev_b32_e32 v114, 4, v23
	v_dot4_i32_iu8 v3, v29, v4, v5 neg_lo:[1,1,0]
	v_dot4_i32_iu8 v5, v33, v21, v6 neg_lo:[1,1,0]
	;; [unrolled: 1-line block ×4, first 2 shown]
	v_and_b32_e32 v4, 15, v23
	v_lshrrev_b32_e32 v6, 4, v22
	v_add_nc_u32_e32 v7, v5, v3
	v_and_b32_e32 v22, 15, v22
	v_add_nc_u32_e32 v21, v2, v1
	v_mul_lo_u32 v3, v3, v4
	v_mul_lo_u32 v5, v5, v114
	v_lshrrev_b32_e32 v4, 31, v7
	v_mul_lo_u32 v1, v1, v22
	v_lshrrev_b32_e32 v23, 31, v21
	v_mul_lo_u32 v2, v2, v6
	v_add_co_u32 v11, vcc_lo, 0x480, v11
	v_add_nc_u32_e32 v4, v7, v4
	s_delay_alu instid0(VALU_DEP_4)
	v_add_nc_u32_e32 v7, v21, v23
	v_cmp_le_u32_e64 s0, s3, v15
	s_wait_alu 0xfffd
	v_add_co_ci_u32_e64 v12, null, 0, v12, vcc_lo
	v_ashrrev_i32_e32 v4, 1, v4
	v_ashrrev_i32_e32 v6, 1, v7
	s_or_b32 s5, s0, s5
	s_delay_alu instid0(VALU_DEP_2) | instskip(NEXT) | instid1(VALU_DEP_2)
	v_add3_u32 v3, v5, v3, v4
	v_add3_u32 v1, v2, v1, v6
	s_delay_alu instid0(VALU_DEP_2) | instskip(NEXT) | instid1(VALU_DEP_2)
	v_ashrrev_i32_e32 v2, 31, v3
	v_ashrrev_i32_e32 v4, 31, v1
	s_delay_alu instid0(VALU_DEP_2) | instskip(NEXT) | instid1(VALU_DEP_2)
	v_lshrrev_b32_e32 v2, 30, v2
	v_lshrrev_b32_e32 v4, 30, v4
	s_delay_alu instid0(VALU_DEP_2) | instskip(NEXT) | instid1(VALU_DEP_2)
	v_add_nc_u32_e32 v2, v3, v2
	v_add_nc_u32_e32 v1, v1, v4
	v_cvt_f32_f16_e32 v3, v19
	v_cvt_f32_f16_e32 v4, v20
	s_delay_alu instid0(VALU_DEP_4) | instskip(NEXT) | instid1(VALU_DEP_4)
	v_ashrrev_i32_e32 v2, 2, v2
	v_ashrrev_i32_e32 v1, 2, v1
	s_delay_alu instid0(VALU_DEP_4) | instskip(NEXT) | instid1(VALU_DEP_4)
	v_mul_f32_e32 v3, v3, v0
	v_mul_f32_e32 v0, v4, v0
	s_delay_alu instid0(VALU_DEP_4) | instskip(NEXT) | instid1(VALU_DEP_4)
	v_cvt_f32_i32_e32 v2, v2
	v_cvt_f32_i32_e32 v1, v1
	s_delay_alu instid0(VALU_DEP_2) | instskip(NEXT) | instid1(VALU_DEP_2)
	v_fmac_f32_e32 v8, v0, v2
	v_fmac_f32_e32 v16, v3, v1
	s_wait_alu 0xfffe
	s_and_not1_b32 exec_lo, exec_lo, s5
	s_cbranch_execnz .LBB168_3
; %bb.4:
	s_or_b32 exec_lo, exec_lo, s5
.LBB168_5:
	s_wait_alu 0xfffe
	s_or_b32 exec_lo, exec_lo, s11
	v_mbcnt_lo_u32_b32 v0, -1, 0
	s_delay_alu instid0(VALU_DEP_1) | instskip(SKIP_2) | instid1(VALU_DEP_3)
	v_xor_b32_e32 v1, 16, v0
	v_xor_b32_e32 v3, 8, v0
	;; [unrolled: 1-line block ×3, first 2 shown]
	v_cmp_gt_i32_e32 vcc_lo, 32, v1
	s_wait_alu 0xfffd
	v_cndmask_b32_e32 v1, v0, v1, vcc_lo
	v_cmp_gt_i32_e32 vcc_lo, 32, v3
	s_delay_alu instid0(VALU_DEP_2)
	v_lshlrev_b32_e32 v1, 2, v1
	s_wait_alu 0xfffd
	v_cndmask_b32_e32 v3, v0, v3, vcc_lo
	v_cmp_gt_i32_e32 vcc_lo, 32, v5
	ds_bpermute_b32 v2, v1, v8
	v_lshlrev_b32_e32 v3, 2, v3
	s_wait_alu 0xfffd
	v_cndmask_b32_e32 v5, v0, v5, vcc_lo
	s_wait_dscnt 0x0
	s_delay_alu instid0(VALU_DEP_1)
	v_dual_add_f32 v2, v8, v2 :: v_dual_lshlrev_b32 v5, 2, v5
	ds_bpermute_b32 v1, v1, v16
	ds_bpermute_b32 v4, v3, v2
	s_wait_dscnt 0x0
	v_dual_add_f32 v2, v2, v4 :: v_dual_add_f32 v1, v16, v1
	ds_bpermute_b32 v3, v3, v1
	s_wait_dscnt 0x0
	v_add_f32_e32 v1, v1, v3
	ds_bpermute_b32 v3, v5, v2
	ds_bpermute_b32 v4, v5, v1
	v_xor_b32_e32 v5, 2, v0
	s_delay_alu instid0(VALU_DEP_1) | instskip(SKIP_3) | instid1(VALU_DEP_1)
	v_cmp_gt_i32_e32 vcc_lo, 32, v5
	s_wait_alu 0xfffd
	v_cndmask_b32_e32 v5, v0, v5, vcc_lo
	s_wait_dscnt 0x1
	v_dual_add_f32 v2, v2, v3 :: v_dual_lshlrev_b32 v5, 2, v5
	s_wait_dscnt 0x0
	v_add_f32_e32 v1, v1, v4
	ds_bpermute_b32 v3, v5, v2
	ds_bpermute_b32 v4, v5, v1
	v_xor_b32_e32 v5, 1, v0
	s_delay_alu instid0(VALU_DEP_1) | instskip(SKIP_4) | instid1(VALU_DEP_2)
	v_cmp_gt_i32_e32 vcc_lo, 32, v5
	s_wait_alu 0xfffd
	v_cndmask_b32_e32 v0, v0, v5, vcc_lo
	v_cmp_gt_u32_e32 vcc_lo, 2, v14
	s_wait_dscnt 0x1
	v_dual_add_f32 v0, v2, v3 :: v_dual_lshlrev_b32 v5, 2, v0
	s_wait_dscnt 0x0
	v_dual_add_f32 v1, v1, v4 :: v_dual_add_nc_u32 v4, s2, v14
	ds_bpermute_b32 v2, v5, v0
	ds_bpermute_b32 v3, v5, v1
	v_cmp_gt_u32_e64 s0, s4, v4
	s_and_b32 s0, vcc_lo, s0
	s_wait_alu 0xfffe
	s_and_b32 exec_lo, exec_lo, s0
	s_cbranch_execz .LBB168_7
; %bb.6:
	v_mul_lo_u32 v4, s7, v13
	v_or_b32_e32 v6, s2, v14
	s_mul_i32 s0, s10, ttmp7
	s_wait_dscnt 0x1
	v_dual_mov_b32 v5, 0 :: v_dual_add_f32 v2, v0, v2
	s_wait_dscnt 0x0
	v_add_f32_e32 v3, v1, v3
	v_cmp_eq_u32_e32 vcc_lo, 1, v14
	s_wait_alu 0xfffe
	v_add3_u32 v4, v6, v4, s0
	s_wait_alu 0xfffd
	v_cndmask_b32_e32 v2, v2, v3, vcc_lo
	s_delay_alu instid0(VALU_DEP_2) | instskip(NEXT) | instid1(VALU_DEP_1)
	v_lshlrev_b64_e32 v[0:1], 2, v[4:5]
	v_add_co_u32 v0, vcc_lo, s18, v0
	s_wait_alu 0xfffd
	s_delay_alu instid0(VALU_DEP_2)
	v_add_co_ci_u32_e64 v1, null, s19, v1, vcc_lo
	global_store_b32 v[0:1], v2, off
.LBB168_7:
	s_nop 0
	s_sendmsg sendmsg(MSG_DEALLOC_VGPRS)
	s_endpgm
	.section	.rodata,"a",@progbits
	.p2align	6, 0x0
	.amdhsa_kernel _ZL17mul_mat_vec_q_moeIL9ggml_type17ELi2EEvPKvS2_PKiPfj15HIP_vector_typeIjLj3EEjjjjjjjjj
		.amdhsa_group_segment_fixed_size 0
		.amdhsa_private_segment_fixed_size 0
		.amdhsa_kernarg_size 84
		.amdhsa_user_sgpr_count 2
		.amdhsa_user_sgpr_dispatch_ptr 0
		.amdhsa_user_sgpr_queue_ptr 0
		.amdhsa_user_sgpr_kernarg_segment_ptr 1
		.amdhsa_user_sgpr_dispatch_id 0
		.amdhsa_user_sgpr_private_segment_size 0
		.amdhsa_wavefront_size32 1
		.amdhsa_uses_dynamic_stack 0
		.amdhsa_enable_private_segment 0
		.amdhsa_system_sgpr_workgroup_id_x 1
		.amdhsa_system_sgpr_workgroup_id_y 1
		.amdhsa_system_sgpr_workgroup_id_z 0
		.amdhsa_system_sgpr_workgroup_info 0
		.amdhsa_system_vgpr_workitem_id 1
		.amdhsa_next_free_vgpr 115
		.amdhsa_next_free_sgpr 24
		.amdhsa_reserve_vcc 1
		.amdhsa_float_round_mode_32 0
		.amdhsa_float_round_mode_16_64 0
		.amdhsa_float_denorm_mode_32 3
		.amdhsa_float_denorm_mode_16_64 3
		.amdhsa_fp16_overflow 0
		.amdhsa_workgroup_processor_mode 1
		.amdhsa_memory_ordered 1
		.amdhsa_forward_progress 1
		.amdhsa_inst_pref_size 48
		.amdhsa_round_robin_scheduling 0
		.amdhsa_exception_fp_ieee_invalid_op 0
		.amdhsa_exception_fp_denorm_src 0
		.amdhsa_exception_fp_ieee_div_zero 0
		.amdhsa_exception_fp_ieee_overflow 0
		.amdhsa_exception_fp_ieee_underflow 0
		.amdhsa_exception_fp_ieee_inexact 0
		.amdhsa_exception_int_div_zero 0
	.end_amdhsa_kernel
	.section	.text._ZL17mul_mat_vec_q_moeIL9ggml_type17ELi2EEvPKvS2_PKiPfj15HIP_vector_typeIjLj3EEjjjjjjjjj,"axG",@progbits,_ZL17mul_mat_vec_q_moeIL9ggml_type17ELi2EEvPKvS2_PKiPfj15HIP_vector_typeIjLj3EEjjjjjjjjj,comdat
.Lfunc_end168:
	.size	_ZL17mul_mat_vec_q_moeIL9ggml_type17ELi2EEvPKvS2_PKiPfj15HIP_vector_typeIjLj3EEjjjjjjjjj, .Lfunc_end168-_ZL17mul_mat_vec_q_moeIL9ggml_type17ELi2EEvPKvS2_PKiPfj15HIP_vector_typeIjLj3EEjjjjjjjjj
                                        ; -- End function
	.set _ZL17mul_mat_vec_q_moeIL9ggml_type17ELi2EEvPKvS2_PKiPfj15HIP_vector_typeIjLj3EEjjjjjjjjj.num_vgpr, 115
	.set _ZL17mul_mat_vec_q_moeIL9ggml_type17ELi2EEvPKvS2_PKiPfj15HIP_vector_typeIjLj3EEjjjjjjjjj.num_agpr, 0
	.set _ZL17mul_mat_vec_q_moeIL9ggml_type17ELi2EEvPKvS2_PKiPfj15HIP_vector_typeIjLj3EEjjjjjjjjj.numbered_sgpr, 24
	.set _ZL17mul_mat_vec_q_moeIL9ggml_type17ELi2EEvPKvS2_PKiPfj15HIP_vector_typeIjLj3EEjjjjjjjjj.num_named_barrier, 0
	.set _ZL17mul_mat_vec_q_moeIL9ggml_type17ELi2EEvPKvS2_PKiPfj15HIP_vector_typeIjLj3EEjjjjjjjjj.private_seg_size, 0
	.set _ZL17mul_mat_vec_q_moeIL9ggml_type17ELi2EEvPKvS2_PKiPfj15HIP_vector_typeIjLj3EEjjjjjjjjj.uses_vcc, 1
	.set _ZL17mul_mat_vec_q_moeIL9ggml_type17ELi2EEvPKvS2_PKiPfj15HIP_vector_typeIjLj3EEjjjjjjjjj.uses_flat_scratch, 0
	.set _ZL17mul_mat_vec_q_moeIL9ggml_type17ELi2EEvPKvS2_PKiPfj15HIP_vector_typeIjLj3EEjjjjjjjjj.has_dyn_sized_stack, 0
	.set _ZL17mul_mat_vec_q_moeIL9ggml_type17ELi2EEvPKvS2_PKiPfj15HIP_vector_typeIjLj3EEjjjjjjjjj.has_recursion, 0
	.set _ZL17mul_mat_vec_q_moeIL9ggml_type17ELi2EEvPKvS2_PKiPfj15HIP_vector_typeIjLj3EEjjjjjjjjj.has_indirect_call, 0
	.section	.AMDGPU.csdata,"",@progbits
; Kernel info:
; codeLenInByte = 6056
; TotalNumSgprs: 26
; NumVgprs: 115
; ScratchSize: 0
; MemoryBound: 0
; FloatMode: 240
; IeeeMode: 1
; LDSByteSize: 0 bytes/workgroup (compile time only)
; SGPRBlocks: 0
; VGPRBlocks: 14
; NumSGPRsForWavesPerEU: 26
; NumVGPRsForWavesPerEU: 115
; Occupancy: 12
; WaveLimiterHint : 1
; COMPUTE_PGM_RSRC2:SCRATCH_EN: 0
; COMPUTE_PGM_RSRC2:USER_SGPR: 2
; COMPUTE_PGM_RSRC2:TRAP_HANDLER: 0
; COMPUTE_PGM_RSRC2:TGID_X_EN: 1
; COMPUTE_PGM_RSRC2:TGID_Y_EN: 1
; COMPUTE_PGM_RSRC2:TGID_Z_EN: 0
; COMPUTE_PGM_RSRC2:TIDIG_COMP_CNT: 1
	.section	.text._ZL13mul_mat_vec_qIL9ggml_type17ELi1ELb1ELb1EEvPKvS2_PKi31ggml_cuda_mm_fusion_args_devicePfj15HIP_vector_typeIjLj3EEjjjS8_jjjS8_jjjj,"axG",@progbits,_ZL13mul_mat_vec_qIL9ggml_type17ELi1ELb1ELb1EEvPKvS2_PKi31ggml_cuda_mm_fusion_args_devicePfj15HIP_vector_typeIjLj3EEjjjS8_jjjS8_jjjj,comdat
	.globl	_ZL13mul_mat_vec_qIL9ggml_type17ELi1ELb1ELb1EEvPKvS2_PKi31ggml_cuda_mm_fusion_args_devicePfj15HIP_vector_typeIjLj3EEjjjS8_jjjS8_jjjj ; -- Begin function _ZL13mul_mat_vec_qIL9ggml_type17ELi1ELb1ELb1EEvPKvS2_PKi31ggml_cuda_mm_fusion_args_devicePfj15HIP_vector_typeIjLj3EEjjjS8_jjjS8_jjjj
	.p2align	8
	.type	_ZL13mul_mat_vec_qIL9ggml_type17ELi1ELb1ELb1EEvPKvS2_PKi31ggml_cuda_mm_fusion_args_devicePfj15HIP_vector_typeIjLj3EEjjjS8_jjjS8_jjjj,@function
_ZL13mul_mat_vec_qIL9ggml_type17ELi1ELb1ELb1EEvPKvS2_PKi31ggml_cuda_mm_fusion_args_devicePfj15HIP_vector_typeIjLj3EEjjjS8_jjjS8_jjjj: ; @_ZL13mul_mat_vec_qIL9ggml_type17ELi1ELb1ELb1EEvPKvS2_PKi31ggml_cuda_mm_fusion_args_devicePfj15HIP_vector_typeIjLj3EEjjjS8_jjjS8_jjjj
; %bb.0:
	s_clause 0x3
	s_load_b256 s[8:15], s[0:1], 0x0
	s_load_b128 s[16:19], s[0:1], 0x20
	s_load_b128 s[20:23], s[0:1], 0x40
	;; [unrolled: 1-line block ×3, first 2 shown]
	s_and_b32 s27, ttmp7, 0xffff
	s_wait_kmcnt 0x0
	s_cmp_lg_u64 s[12:13], 0
	s_cselect_b32 s2, -1, 0
	s_cmp_eq_u64 s[12:13], 0
	s_cbranch_scc1 .LBB169_24
; %bb.1:
	s_lshl_b32 s3, s27, 2
	s_load_b32 s28, s[12:13], s3 offset:0x0
	s_clause 0x1
	s_load_b32 s30, s[0:1], 0x50
	s_load_b32 s29, s[0:1], 0x78
	s_cbranch_execnz .LBB169_3
.LBB169_2:
	s_load_b64 s[12:13], s[0:1], 0x5c
	s_wait_kmcnt 0x0
	s_mul_hi_u32 s3, s12, s27
	s_delay_alu instid0(SALU_CYCLE_1) | instskip(NEXT) | instid1(SALU_CYCLE_1)
	s_add_co_i32 s3, s27, s3
	s_lshr_b32 s28, s3, s13
.LBB169_3:
	s_and_not1_b32 vcc_lo, exec_lo, s2
	s_mov_b32 s3, s27
	s_mov_b32 s31, s27
	s_cbranch_vccnz .LBB169_5
; %bb.4:
	s_mul_hi_u32 s2, s21, s27
	s_wait_kmcnt 0x0
	s_mov_b32 s3, s28
	s_add_co_i32 s2, s27, s2
	s_delay_alu instid0(SALU_CYCLE_1) | instskip(NEXT) | instid1(SALU_CYCLE_1)
	s_lshr_b32 s2, s2, s22
	s_mul_i32 s2, s2, s23
	s_delay_alu instid0(SALU_CYCLE_1)
	s_sub_co_i32 s31, s27, s2
.LBB169_5:
	s_load_b96 s[24:26], s[0:1], 0x80
	v_bfe_u32 v23, v0, 10, 10
	v_dual_mov_b32 v21, 0 :: v_dual_and_b32 v20, 0x3ff, v0
	s_lshr_b32 s21, ttmp7, 16
	s_cmp_lg_u64 s[14:15], 0
	v_mov_b32_e32 v22, 0
	s_delay_alu instid0(VALU_DEP_2) | instskip(SKIP_3) | instid1(VALU_DEP_1)
	v_or_b32_e32 v0, v20, v23
	s_cselect_b32 s2, -1, 0
	s_mov_b32 s23, 0
	s_mul_i32 s12, s3, s6
	v_cmp_eq_u32_e32 vcc_lo, 0, v0
	s_and_b32 s13, s2, vcc_lo
	s_delay_alu instid0(SALU_CYCLE_1)
	s_and_saveexec_b32 s3, s13
	s_cbranch_execz .LBB169_7
; %bb.6:
	s_wait_kmcnt 0x0
	s_mul_i32 s22, s26, s21
	s_mov_b32 s13, s23
	s_lshl_b64 s[22:23], s[22:23], 2
	s_mov_b32 s34, ttmp9
	s_lshl_b64 s[36:37], s[12:13], 2
	s_add_nc_u64 s[14:15], s[14:15], s[22:23]
	s_ashr_i32 s35, ttmp9, 31
	v_lshlrev_b32_e32 v0, 2, v20
	s_add_nc_u64 s[14:15], s[14:15], s[36:37]
	s_lshl_b64 s[22:23], s[34:35], 2
	s_delay_alu instid0(SALU_CYCLE_1)
	s_add_nc_u64 s[14:15], s[14:15], s[22:23]
	global_load_b32 v22, v0, s[14:15]
.LBB169_7:
	s_or_b32 exec_lo, exec_lo, s3
	s_cmp_lg_u64 s[16:17], 0
	s_cselect_b32 s14, -1, 0
	s_cmp_lg_u64 s[18:19], 0
	s_cselect_b32 s3, -1, 0
	s_delay_alu instid0(SALU_CYCLE_1) | instskip(NEXT) | instid1(SALU_CYCLE_1)
	s_and_b32 s13, s3, s14
	s_and_b32 s13, s13, vcc_lo
	s_delay_alu instid0(SALU_CYCLE_1)
	s_and_saveexec_b32 s15, s13
	s_cbranch_execz .LBB169_9
; %bb.8:
	s_wait_kmcnt 0x0
	s_mul_i32 s34, s26, s21
	s_mov_b32 s35, 0
	s_mov_b32 s22, ttmp9
	s_lshl_b64 s[36:37], s[34:35], 2
	s_mov_b32 s13, s35
	s_add_nc_u64 s[18:19], s[18:19], s[36:37]
	s_lshl_b64 s[12:13], s[12:13], 2
	s_ashr_i32 s23, ttmp9, 31
	v_lshlrev_b32_e32 v0, 2, v20
	s_add_nc_u64 s[12:13], s[18:19], s[12:13]
	s_lshl_b64 s[18:19], s[22:23], 2
	s_delay_alu instid0(SALU_CYCLE_1)
	s_add_nc_u64 s[12:13], s[12:13], s[18:19]
	global_load_b32 v21, v0, s[12:13]
.LBB169_9:
	s_or_b32 exec_lo, exec_lo, s15
	v_lshl_add_u32 v0, v23, 5, v20
	v_dual_mov_b32 v26, 0 :: v_dual_mov_b32 v25, 0
	v_cndmask_b32_e64 v24, 0, 1, s14
	s_lshr_b32 s15, s20, 8
	s_delay_alu instid0(VALU_DEP_3) | instskip(SKIP_2) | instid1(VALU_DEP_1)
	v_lshrrev_b32_e32 v27, 3, v0
	s_mov_b32 s18, exec_lo
	s_wait_alu 0xfffe
	v_cmpx_gt_u32_e64 s15, v27
	s_cbranch_execz .LBB169_15
; %bb.10:
	v_lshrrev_b32_e32 v0, 3, v0
	s_mul_i32 s12, s31, s5
	s_mov_b32 s13, 0
	s_wait_kmcnt 0x0
	s_mul_i32 s5, s25, s21
	s_mul_u64 s[22:23], s[12:13], 36
	v_dual_mov_b32 v25, 0 :: v_dual_and_b32 v28, 7, v20
	v_mad_co_u64_u32 v[0:1], null, 0x120, v0, s[22:23]
	v_lshlrev_b32_e32 v2, 1, v20
	s_mul_i32 s30, s30, ttmp9
	s_delay_alu instid0(VALU_DEP_1) | instskip(NEXT) | instid1(VALU_DEP_3)
	v_and_b32_e32 v2, 14, v2
	v_mad_co_u64_u32 v[0:1], null, s5, 36, v[0:1]
	s_mul_hi_u32 s5, s7, s21
	s_mul_i32 s7, s28, s4
	s_wait_alu 0xfffe
	s_add_co_i32 s5, s21, s5
	v_lshlrev_b32_e32 v2, 1, v2
	s_wait_alu 0xfffe
	s_lshr_b32 s4, s5, s29
	v_mov_b32_e32 v26, 0
	v_mad_co_u64_u32 v[0:1], null, v28, 36, v[0:1]
	s_wait_alu 0xfffe
	s_mul_i32 s4, s4, s24
	v_lshlrev_b32_e32 v29, 1, v2
	s_wait_alu 0xfffe
	s_add_co_i32 s4, s4, s30
	s_wait_alu 0xfffe
	s_add_co_i32 s7, s7, s4
	v_add_co_u32 v0, vcc_lo, s10, v0
	s_delay_alu instid0(VALU_DEP_1) | instskip(NEXT) | instid1(VALU_DEP_2)
	v_add_co_ci_u32_e64 v1, null, s11, v1, vcc_lo
	v_add_co_u32 v8, vcc_lo, v0, 32
	s_wait_alu 0xfffd
	s_delay_alu instid0(VALU_DEP_2)
	v_add_co_ci_u32_e64 v9, null, 0, v1, vcc_lo
	s_branch .LBB169_12
.LBB169_11:                             ;   in Loop: Header=BB169_12 Depth=1
	v_bfe_u32 v33, v12, 9, 7
	v_lshrrev_b32_e32 v34, 25, v12
	v_add_nc_u32_e32 v27, 4, v27
	v_add_co_u32 v8, s4, 0x480, v8
	s_delay_alu instid0(VALU_DEP_4) | instskip(NEXT) | instid1(VALU_DEP_4)
	v_bcnt_u32_b32 v35, v33, 0
	v_bcnt_u32_b32 v34, v34, 0
	s_wait_alu 0xf1ff
	v_add_co_ci_u32_e64 v9, null, 0, v9, s4
	s_delay_alu instid0(VALU_DEP_3) | instskip(NEXT) | instid1(VALU_DEP_3)
	v_and_b32_e32 v35, 1, v35
	v_and_b32_e32 v34, 1, v34
	s_delay_alu instid0(VALU_DEP_2) | instskip(NEXT) | instid1(VALU_DEP_2)
	v_lshl_or_b32 v33, v35, 7, v33
	v_alignbit_b32 v12, v34, v12, 25
	s_delay_alu instid0(VALU_DEP_2) | instskip(NEXT) | instid1(VALU_DEP_2)
	v_mul_lo_u32 v33, 0x1010101, v33
	v_mul_lo_u32 v12, 0x1010101, v12
	s_delay_alu instid0(VALU_DEP_2)
	v_and_b32_e32 v34, 0x8040201, v33
	v_and_b32_e32 v37, 0x80402010, v33
	v_lshrrev_b32_e32 v35, 18, v33
	v_bfe_i32 v36, v33, 0, 1
	v_lshrrev_b32_e32 v33, 22, v33
	v_lshrrev_b16 v41, 8, v34
	v_lshrrev_b32_e32 v34, 24, v34
	v_lshrrev_b16 v43, 8, v37
	v_bfe_i32 v35, v35, 0, 1
	v_lshrrev_b32_e32 v44, 24, v37
	v_cmp_ne_u16_e32 vcc_lo, 0, v41
	v_and_b32_e32 v42, 0xff, v36
	v_lshrrev_b16 v37, 4, v37
	v_and_b32_e32 v46, 0xff, v35
	v_and_b32_e32 v38, 0x8040201, v12
	s_wait_alu 0xfffd
	v_cndmask_b32_e64 v41, 0, -1, vcc_lo
	v_cmp_ne_u16_e32 vcc_lo, 0, v34
	v_bfe_i32 v33, v33, 0, 1
	v_bfe_i32 v37, v37, 0, 1
	v_lshrrev_b16 v45, 8, v38
	v_lshlrev_b16 v41, 8, v41
	s_wait_alu 0xfffd
	v_cndmask_b32_e64 v34, 0, -1, vcc_lo
	v_cmp_ne_u16_e32 vcc_lo, 0, v43
	v_and_b32_e32 v47, 0xff, v33
	v_and_b32_e32 v48, 0xff, v37
	v_or_b32_e32 v42, v42, v41
	v_lshlrev_b16 v34, 8, v34
	s_wait_alu 0xfffd
	v_cndmask_b32_e64 v43, 0, -1, vcc_lo
	v_cmp_ne_u16_e32 vcc_lo, 0, v44
	v_lshlrev_b16 v35, 8, v35
	v_and_b32_e32 v42, 0xffff, v42
	v_or_b32_e32 v46, v46, v34
	v_lshlrev_b16 v43, 8, v43
	s_wait_alu 0xfffd
	v_cndmask_b32_e64 v44, 0, -1, vcc_lo
	v_cmp_ne_u16_e32 vcc_lo, 0, v45
	v_lshlrev_b16 v36, 8, v36
	v_lshlrev_b32_e32 v46, 16, v46
	v_or_b32_e32 v48, v48, v43
	v_lshlrev_b16 v44, 8, v44
	s_wait_alu 0xfffd
	v_cndmask_b32_e64 v45, 0, -1, vcc_lo
	v_lshrrev_b32_e32 v38, 24, v38
	v_or_b32_e32 v42, v42, v46
	v_and_b32_e32 v48, 0xffff, v48
	v_or_b32_e32 v47, v47, v44
	v_lshlrev_b16 v37, 8, v37
	v_lshlrev_b16 v33, 8, v33
	s_wait_loadcnt 0x3
	v_xor_b32_e32 v18, v18, v42
	v_lshlrev_b16 v42, 8, v45
	v_lshlrev_b32_e32 v47, 16, v47
	v_lshrrev_b32_e32 v39, 18, v12
	v_cmp_ne_u16_e32 vcc_lo, 0, v38
	v_lshrrev_b32_e32 v45, 16, v18
	v_bfe_i32 v40, v12, 0, 1
	v_or_b32_e32 v47, v48, v47
	v_bfe_i32 v39, v39, 0, 1
	s_wait_alu 0xfffd
	v_cndmask_b32_e64 v38, 0, -1, vcc_lo
	v_and_b32_e32 v50, 0xffffff00, v45
	v_lshlrev_b16 v45, 8, v45
	v_xor_b32_e32 v19, v19, v47
	v_and_b32_e32 v47, 0xffffff00, v18
	v_lshlrev_b16 v18, 8, v18
	v_sub_nc_i16 v34, v50, v34 clamp
	v_sub_nc_i16 v35, v45, v35 clamp
	v_lshrrev_b32_e32 v48, 16, v19
	v_and_b32_e32 v51, 0xffffff00, v19
	v_sub_nc_i16 v41, v47, v41 clamp
	v_sub_nc_i16 v18, v18, v36 clamp
	v_lshlrev_b16 v19, 8, v19
	v_perm_b32 v34, v35, v34, 0xc0c0105
	v_sub_nc_i16 v36, v51, v43 clamp
	v_and_b32_e32 v43, 0xffffff00, v48
	v_lshlrev_b16 v35, 8, v48
	v_perm_b32 v18, v18, v41, 0xc0c0105
	v_sub_nc_i16 v19, v19, v37 clamp
	v_and_b32_e32 v49, 0xff, v40
	v_sub_nc_i16 v37, v43, v44 clamp
	v_sub_nc_i16 v33, v35, v33 clamp
	v_lshl_or_b32 v18, v34, 16, v18
	v_perm_b32 v19, v19, v36, 0xc0c0105
	v_and_b32_e32 v46, 0xff, v39
	v_lshlrev_b16 v38, 8, v38
	v_perm_b32 v33, v33, v37, 0xc0c0105
	v_dot4_i32_iu8 v5, v18, v5, 0 neg_lo:[1,1,0]
	v_bfe_u32 v18, v13, 9, 7
	v_or_b32_e32 v41, v49, v42
	v_or_b32_e32 v45, v46, v38
	v_lshl_or_b32 v19, v33, 16, v19
	v_lshlrev_b16 v39, 8, v39
	v_bcnt_u32_b32 v33, v18, 0
	v_and_b32_e32 v35, 0xffff, v41
	v_lshlrev_b32_e32 v41, 16, v45
	v_dot4_i32_iu8 v5, v19, v6, v5 neg_lo:[1,1,0]
	v_and_b32_e32 v19, 0x80402010, v12
	v_and_b32_e32 v33, 1, v33
	v_lshrrev_b32_e32 v12, 22, v12
	v_or_b32_e32 v34, v35, v41
	v_lshlrev_b16 v35, 8, v40
	v_lshrrev_b16 v37, 8, v19
	v_lshrrev_b16 v36, 4, v19
	v_lshl_or_b32 v18, v33, 7, v18
	s_wait_loadcnt 0x2
	v_xor_b32_e32 v16, v16, v34
	v_lshrrev_b32_e32 v19, 24, v19
	v_cmp_ne_u16_e32 vcc_lo, 0, v37
	v_bfe_i32 v36, v36, 0, 1
	v_mul_lo_u32 v18, 0x1010101, v18
	v_lshrrev_b32_e32 v6, 16, v16
	v_and_b32_e32 v34, 0xffffff00, v16
	s_wait_alu 0xfffd
	v_cndmask_b32_e64 v33, 0, -1, vcc_lo
	v_lshlrev_b16 v16, 8, v16
	v_cmp_ne_u16_e32 vcc_lo, 0, v19
	v_and_b32_e32 v37, 0xff, v36
	v_bfe_i32 v12, v12, 0, 1
	v_lshlrev_b16 v33, 8, v33
	v_sub_nc_i16 v16, v16, v35 clamp
	s_wait_alu 0xfffd
	v_cndmask_b32_e64 v19, 0, -1, vcc_lo
	v_sub_nc_i16 v34, v34, v42 clamp
	v_and_b32_e32 v40, 0xff, v12
	v_or_b32_e32 v35, v37, v33
	v_and_b32_e32 v37, 0x8040201, v18
	v_lshlrev_b16 v19, 8, v19
	v_lshrrev_b32_e32 v43, 18, v18
	v_bfe_i32 v44, v18, 0, 1
	v_and_b32_e32 v35, 0xffff, v35
	v_lshrrev_b16 v42, 8, v37
	v_or_b32_e32 v40, v40, v19
	v_lshrrev_b32_e32 v37, 24, v37
	v_bfe_i32 v43, v43, 0, 1
	v_and_b32_e32 v41, 0xffffff00, v6
	v_cmp_ne_u16_e32 vcc_lo, 0, v42
	v_lshlrev_b32_e32 v40, 16, v40
	v_lshlrev_b16 v6, 8, v6
	v_and_b32_e32 v45, 0xff, v43
	v_lshlrev_b16 v36, 8, v36
	s_wait_alu 0xfffd
	v_cndmask_b32_e64 v42, 0, -1, vcc_lo
	v_cmp_ne_u16_e32 vcc_lo, 0, v37
	v_or_b32_e32 v35, v35, v40
	v_and_b32_e32 v40, 0xff, v44
	v_sub_nc_i16 v6, v6, v39 clamp
	v_lshlrev_b16 v42, 8, v42
	s_wait_alu 0xfffd
	v_cndmask_b32_e64 v37, 0, -1, vcc_lo
	v_xor_b32_e32 v17, v17, v35
	v_sub_nc_i16 v35, v41, v38 clamp
	v_perm_b32 v16, v16, v34, 0xc0c0105
	v_or_b32_e32 v38, v40, v42
	v_lshlrev_b16 v37, 8, v37
	v_and_b32_e32 v39, 0xffffff00, v17
	v_lshlrev_b16 v41, 8, v17
	v_perm_b32 v6, v6, v35, 0xc0c0105
	v_and_b32_e32 v38, 0xffff, v38
	v_or_b32_e32 v40, v45, v37
	v_sub_nc_i16 v33, v39, v33 clamp
	v_sub_nc_i16 v35, v41, v36 clamp
	v_and_b32_e32 v36, 0x80402010, v18
	v_lshl_or_b32 v6, v6, 16, v16
	v_lshlrev_b32_e32 v40, 16, v40
	v_lshrrev_b32_e32 v18, 22, v18
	v_perm_b32 v16, v35, v33, 0xc0c0105
	v_lshrrev_b16 v35, 8, v36
	v_lshrrev_b32_e32 v41, 25, v13
	v_or_b32_e32 v34, v38, v40
	v_bfe_i32 v18, v18, 0, 1
	v_lshrrev_b32_e32 v17, 16, v17
	v_cmp_ne_u16_e32 vcc_lo, 0, v35
	v_bcnt_u32_b32 v41, v41, 0
	s_wait_loadcnt 0x1
	v_xor_b32_e32 v14, v14, v34
	v_lshrrev_b16 v34, 4, v36
	v_lshrrev_b32_e32 v36, 24, v36
	s_wait_alu 0xfffd
	v_cndmask_b32_e64 v35, 0, -1, vcc_lo
	v_and_b32_e32 v40, 0xff, v18
	v_and_b32_e32 v41, 1, v41
	v_bfe_i32 v34, v34, 0, 1
	v_cmp_ne_u16_e32 vcc_lo, 0, v36
	v_lshlrev_b16 v35, 8, v35
	v_and_b32_e32 v38, 0xffffff00, v14
	v_lshrrev_b32_e32 v45, 16, v14
	v_and_b32_e32 v39, 0xff, v34
	s_wait_alu 0xfffd
	v_cndmask_b32_e64 v36, 0, -1, vcc_lo
	v_alignbit_b32 v13, v41, v13, 25
	v_sub_nc_i16 v38, v38, v42 clamp
	v_lshlrev_b16 v14, 8, v14
	v_or_b32_e32 v39, v39, v35
	v_lshlrev_b16 v36, 8, v36
	v_lshlrev_b16 v42, 8, v44
	v_and_b32_e32 v44, 0xffffff00, v45
	v_lshlrev_b16 v45, 8, v45
	v_and_b32_e32 v39, 0xffff, v39
	v_or_b32_e32 v40, v40, v36
	v_lshlrev_b16 v43, 8, v43
	v_mul_lo_u32 v13, 0x1010101, v13
	v_and_b32_e32 v33, 0xffffff00, v17
	v_sub_nc_i16 v14, v14, v42 clamp
	v_lshlrev_b32_e32 v40, 16, v40
	v_sub_nc_i16 v37, v44, v37 clamp
	v_lshlrev_b16 v17, 8, v17
	v_sub_nc_i16 v19, v33, v19 clamp
	v_perm_b32 v14, v14, v38, 0xc0c0105
	v_or_b32_e32 v39, v39, v40
	v_sub_nc_i16 v40, v45, v43 clamp
	v_and_b32_e32 v33, 0x8040201, v13
	v_lshlrev_b16 v12, 8, v12
	v_and_b32_e32 v41, 0x80402010, v13
	v_xor_b32_e32 v15, v15, v39
	v_perm_b32 v37, v40, v37, 0xc0c0105
	v_lshlrev_b16 v34, 8, v34
	v_sub_nc_i16 v12, v17, v12 clamp
	v_bfe_i32 v39, v13, 0, 1
	v_and_b32_e32 v38, 0xffffff00, v15
	v_lshl_or_b32 v14, v37, 16, v14
	v_lshrrev_b16 v37, 8, v33
	v_lshrrev_b32_e32 v33, 24, v33
	v_lshrrev_b16 v43, 8, v41
	v_sub_nc_i16 v17, v38, v35 clamp
	v_lshrrev_b32_e32 v38, 18, v13
	v_cmp_ne_u16_e32 vcc_lo, 0, v37
	v_lshlrev_b16 v35, 8, v15
	v_and_b32_e32 v40, 0xff, v39
	v_lshrrev_b16 v42, 4, v41
	v_bfe_i32 v38, v38, 0, 1
	s_wait_alu 0xfffd
	v_cndmask_b32_e64 v37, 0, -1, vcc_lo
	v_cmp_ne_u16_e32 vcc_lo, 0, v33
	v_sub_nc_i16 v34, v35, v34 clamp
	v_lshrrev_b32_e32 v41, 24, v41
	v_and_b32_e32 v35, 0xff, v38
	v_lshlrev_b16 v37, 8, v37
	s_wait_alu 0xfffd
	v_cndmask_b32_e64 v33, 0, -1, vcc_lo
	v_cmp_ne_u16_e32 vcc_lo, 0, v43
	v_perm_b32 v17, v34, v17, 0xc0c0105
	v_lshrrev_b32_e32 v13, 22, v13
	v_or_b32_e32 v40, v40, v37
	v_lshlrev_b16 v33, 8, v33
	s_wait_alu 0xfffd
	v_cndmask_b32_e64 v43, 0, -1, vcc_lo
	v_cmp_ne_u16_e32 vcc_lo, 0, v41
	v_bfe_i32 v42, v42, 0, 1
	v_and_b32_e32 v40, 0xffff, v40
	v_or_b32_e32 v34, v35, v33
	v_bfe_i32 v13, v13, 0, 1
	s_wait_alu 0xfffd
	v_cndmask_b32_e64 v41, 0, -1, vcc_lo
	v_lshrrev_b32_e32 v15, 16, v15
	v_lshlrev_b16 v43, 8, v43
	v_lshlrev_b32_e32 v34, 16, v34
	v_and_b32_e32 v44, 0xff, v13
	v_lshlrev_b16 v41, 8, v41
	v_and_b32_e32 v35, 0xffffff00, v15
	v_lshlrev_b16 v15, 8, v15
	v_or_b32_e32 v34, v40, v34
	v_and_b32_e32 v40, 0xff, v42
	v_lshlrev_b16 v18, 8, v18
	v_sub_nc_i16 v35, v35, v36 clamp
	v_lshlrev_b16 v39, 8, v39
	s_wait_loadcnt 0x0
	v_xor_b32_e32 v10, v10, v34
	v_or_b32_e32 v34, v40, v43
	v_or_b32_e32 v40, v44, v41
	v_sub_nc_i16 v15, v15, v18 clamp
	v_dot4_i32_iu8 v1, v14, v1, 0 neg_lo:[1,1,0]
	v_and_b32_e32 v18, 0xffffff00, v10
	v_and_b32_e32 v34, 0xffff, v34
	v_lshlrev_b32_e32 v36, 16, v40
	v_lshlrev_b16 v40, 8, v10
	v_lshrrev_b32_e32 v10, 16, v10
	v_perm_b32 v15, v15, v35, 0xc0c0105
	v_sub_nc_i16 v18, v18, v37 clamp
	v_or_b32_e32 v34, v34, v36
	v_sub_nc_i16 v35, v40, v39 clamp
	v_and_b32_e32 v36, 0xffffff00, v10
	v_lshl_or_b32 v15, v15, 16, v17
	v_lshlrev_b16 v10, 8, v10
	v_xor_b32_e32 v11, v11, v34
	v_perm_b32 v14, v35, v18, 0xc0c0105
	v_sub_nc_i16 v17, v36, v33 clamp
	v_lshlrev_b16 v33, 8, v38
	v_lshlrev_b16 v35, 8, v42
	v_lshrrev_b32_e32 v18, 16, v11
	v_and_b32_e32 v34, 0xffffff00, v11
	v_lshlrev_b16 v11, 8, v11
	v_lshlrev_b16 v13, 8, v13
	v_sub_nc_i16 v10, v10, v33 clamp
	v_and_b32_e32 v36, 0xffffff00, v18
	v_lshlrev_b16 v18, 8, v18
	v_sub_nc_i16 v33, v34, v43 clamp
	v_sub_nc_i16 v11, v11, v35 clamp
	v_perm_b32 v10, v10, v17, 0xc0c0105
	v_sub_nc_i16 v34, v36, v41 clamp
	v_sub_nc_i16 v13, v18, v13 clamp
	v_perm_b32 v12, v12, v19, 0xc0c0105
	v_dot4_i32_iu8 v1, v15, v2, v1 neg_lo:[1,1,0]
	v_perm_b32 v2, v11, v33, 0xc0c0105
	v_lshl_or_b32 v10, v10, 16, v14
	v_perm_b32 v11, v13, v34, 0xc0c0105
	v_lshl_or_b32 v12, v12, 16, v16
	v_dot4_i32_iu8 v5, v6, v7, v5 neg_lo:[1,1,0]
	v_bfe_u32 v6, v30, 4, 4
	v_dot4_i32_iu8 v1, v10, v3, v1 neg_lo:[1,1,0]
	v_lshl_or_b32 v2, v11, 16, v2
	v_cmp_le_u32_e32 vcc_lo, s15, v27
	v_dot4_i32_iu8 v0, v12, v0, v5 neg_lo:[1,1,0]
	v_and_b32_e32 v5, 15, v30
	s_delay_alu instid0(VALU_DEP_4) | instskip(SKIP_1) | instid1(VALU_DEP_1)
	v_dot4_i32_iu8 v1, v2, v32, v1 neg_lo:[1,1,0]
	s_or_b32 s13, vcc_lo, s13
	v_add_nc_u32_e32 v2, v1, v0
	s_delay_alu instid0(VALU_DEP_3) | instskip(SKIP_1) | instid1(VALU_DEP_3)
	v_mul_lo_u32 v0, v0, v5
	v_mul_lo_u32 v1, v1, v6
	v_lshrrev_b32_e32 v3, 31, v2
	s_delay_alu instid0(VALU_DEP_1) | instskip(NEXT) | instid1(VALU_DEP_1)
	v_add_nc_u32_e32 v2, v2, v3
	v_ashrrev_i32_e32 v2, 1, v2
	s_delay_alu instid0(VALU_DEP_1) | instskip(NEXT) | instid1(VALU_DEP_1)
	v_add3_u32 v0, v1, v0, v2
	v_ashrrev_i32_e32 v1, 31, v0
	s_delay_alu instid0(VALU_DEP_1) | instskip(NEXT) | instid1(VALU_DEP_1)
	v_lshrrev_b32_e32 v1, 30, v1
	v_add_nc_u32_e32 v0, v0, v1
	v_cvt_f32_f16_e32 v1, v31
	s_delay_alu instid0(VALU_DEP_2) | instskip(NEXT) | instid1(VALU_DEP_2)
	v_ashrrev_i32_e32 v0, 2, v0
	v_mul_f32_e32 v1, v1, v4
	s_delay_alu instid0(VALU_DEP_2) | instskip(NEXT) | instid1(VALU_DEP_1)
	v_cvt_f32_i32_e32 v0, v0
	v_fmac_f32_e32 v26, v1, v0
	s_and_not1_b32 exec_lo, exec_lo, s13
	s_cbranch_execz .LBB169_14
.LBB169_12:                             ; =>This Inner Loop Header: Depth=1
	v_add_nc_u32_e32 v33, s7, v27
	s_getpc_b64 s[4:5]
	s_wait_alu 0xfffe
	s_sext_i32_i16 s5, s5
	s_add_co_u32 s4, s4, _ZL10iq2xs_grid@rel32@lo+12
	s_wait_alu 0xfffe
	s_add_co_ci_u32 s5, s5, _ZL10iq2xs_grid@rel32@hi+24
	v_mad_co_i64_i32 v[0:1], null, 0x4a, v33, s[8:9]
	s_delay_alu instid0(VALU_DEP_1) | instskip(SKIP_1) | instid1(VALU_DEP_2)
	v_add_co_u32 v2, vcc_lo, v0, v29
	s_wait_alu 0xfffd
	v_add_co_ci_u32_e64 v3, null, 0, v1, vcc_lo
	global_load_b64 v[12:13], v[2:3], off offset:2
	v_add_co_u32 v2, vcc_lo, v0, v28
	s_wait_alu 0xfffd
	v_add_co_ci_u32_e64 v3, null, 0, v1, vcc_lo
	s_and_not1_b32 vcc_lo, exec_lo, s14
	s_clause 0x1
	global_load_u8 v30, v[2:3], off offset:66
	global_load_u16 v31, v[0:1], off
	s_clause 0x1
	global_load_b128 v[4:7], v[8:9], off offset:-32
	global_load_b128 v[0:3], v[8:9], off offset:-16
	s_wait_loadcnt 0x4
	v_and_b32_e32 v10, 0x1ff, v12
	v_lshrrev_b32_e32 v11, 13, v12
	v_and_b32_e32 v14, 0x1ff, v13
	v_lshrrev_b32_e32 v15, 13, v13
	s_delay_alu instid0(VALU_DEP_4) | instskip(NEXT) | instid1(VALU_DEP_4)
	v_lshlrev_b32_e32 v10, 3, v10
	v_and_b32_e32 v11, 0xff8, v11
	s_delay_alu instid0(VALU_DEP_4) | instskip(NEXT) | instid1(VALU_DEP_4)
	v_lshlrev_b32_e32 v14, 3, v14
	v_and_b32_e32 v34, 0xff8, v15
	global_load_b32 v32, v[8:9], off
	s_clause 0x3
	global_load_b64 v[18:19], v10, s[4:5]
	global_load_b64 v[16:17], v11, s[4:5]
	;; [unrolled: 1-line block ×4, first 2 shown]
	s_wait_loadcnt 0x6
	v_cvt_f32_f16_e32 v4, v4
	s_wait_alu 0xfffe
	s_cbranch_vccnz .LBB169_11
; %bb.13:                               ;   in Loop: Header=BB169_12 Depth=1
	v_mad_co_i64_i32 v[34:35], null, 0x4a, v33, s[16:17]
	s_delay_alu instid0(VALU_DEP_1) | instskip(SKIP_1) | instid1(VALU_DEP_2)
	v_add_co_u32 v36, vcc_lo, v34, v29
	s_wait_alu 0xfffd
	v_add_co_ci_u32_e64 v37, null, 0, v35, vcc_lo
	v_add_co_u32 v38, vcc_lo, v34, v28
	s_wait_alu 0xfffd
	v_add_co_ci_u32_e64 v39, null, 0, v35, vcc_lo
	s_clause 0x1
	global_load_b64 v[36:37], v[36:37], off offset:2
	global_load_u8 v33, v[38:39], off offset:66
	s_wait_loadcnt 0x1
	v_and_b32_e32 v38, 0x1ff, v36
	v_lshrrev_b32_e32 v39, 13, v36
	v_and_b32_e32 v40, 0x1ff, v37
	v_lshrrev_b32_e32 v41, 13, v37
	v_bfe_u32 v46, v36, 9, 7
	v_lshlrev_b32_e32 v38, 3, v38
	v_and_b32_e32 v42, 0xff8, v39
	v_lshlrev_b32_e32 v43, 3, v40
	v_and_b32_e32 v44, 0xff8, v41
	v_bcnt_u32_b32 v48, v46, 0
	s_clause 0x3
	global_load_b64 v[38:39], v38, s[4:5]
	global_load_b64 v[40:41], v42, s[4:5]
	;; [unrolled: 1-line block ×4, first 2 shown]
	global_load_u16 v34, v[34:35], off
	v_lshrrev_b32_e32 v47, 25, v36
	v_bfe_u32 v49, v37, 9, 7
	v_and_b32_e32 v48, 1, v48
	v_lshrrev_b32_e32 v50, 25, v37
	s_delay_alu instid0(VALU_DEP_4) | instskip(NEXT) | instid1(VALU_DEP_4)
	v_bcnt_u32_b32 v47, v47, 0
	v_bcnt_u32_b32 v51, v49, 0
	s_delay_alu instid0(VALU_DEP_4) | instskip(NEXT) | instid1(VALU_DEP_4)
	v_lshl_or_b32 v46, v48, 7, v46
	v_bcnt_u32_b32 v50, v50, 0
	s_delay_alu instid0(VALU_DEP_4) | instskip(NEXT) | instid1(VALU_DEP_4)
	v_and_b32_e32 v47, 1, v47
	v_and_b32_e32 v48, 1, v51
	s_delay_alu instid0(VALU_DEP_4) | instskip(NEXT) | instid1(VALU_DEP_4)
	v_mul_lo_u32 v46, 0x1010101, v46
	v_and_b32_e32 v50, 1, v50
	s_delay_alu instid0(VALU_DEP_4) | instskip(NEXT) | instid1(VALU_DEP_4)
	v_alignbit_b32 v36, v47, v36, 25
	v_lshl_or_b32 v47, v48, 7, v49
	s_delay_alu instid0(VALU_DEP_3) | instskip(NEXT) | instid1(VALU_DEP_3)
	v_alignbit_b32 v37, v50, v37, 25
	v_mul_lo_u32 v35, 0x1010101, v36
	s_delay_alu instid0(VALU_DEP_3)
	v_mul_lo_u32 v36, 0x1010101, v47
	v_and_b32_e32 v47, 0x8040201, v46
	v_and_b32_e32 v50, 0x80402010, v46
	v_mul_lo_u32 v37, 0x1010101, v37
	v_lshrrev_b32_e32 v48, 18, v46
	v_bfe_i32 v49, v46, 0, 1
	v_lshrrev_b16 v63, 8, v47
	v_lshrrev_b32_e32 v47, 24, v47
	v_lshrrev_b16 v65, 8, v50
	v_and_b32_e32 v51, 0x8040201, v35
	v_lshrrev_b32_e32 v66, 24, v50
	v_cmp_ne_u16_e32 vcc_lo, 0, v63
	v_and_b32_e32 v54, 0x80402010, v35
	v_and_b32_e32 v55, 0x8040201, v36
	v_lshrrev_b16 v67, 8, v51
	v_lshrrev_b32_e32 v51, 24, v51
	s_wait_alu 0xfffd
	v_cndmask_b32_e64 v63, 0, -1, vcc_lo
	v_cmp_ne_u16_e32 vcc_lo, 0, v47
	v_lshrrev_b16 v69, 8, v54
	v_lshrrev_b32_e32 v70, 24, v54
	v_lshrrev_b16 v71, 8, v55
	v_and_b32_e32 v58, 0x80402010, v36
	s_wait_alu 0xfffd
	v_cndmask_b32_e64 v47, 0, -1, vcc_lo
	v_cmp_ne_u16_e32 vcc_lo, 0, v65
	v_lshrrev_b32_e32 v55, 24, v55
	v_and_b32_e32 v59, 0x8040201, v37
	v_lshrrev_b16 v73, 8, v58
	v_lshrrev_b32_e32 v74, 24, v58
	s_wait_alu 0xfffd
	v_cndmask_b32_e64 v65, 0, -1, vcc_lo
	v_cmp_ne_u16_e32 vcc_lo, 0, v66
	v_lshrrev_b16 v75, 8, v59
	v_and_b32_e32 v62, 0x80402010, v37
	v_lshrrev_b32_e32 v59, 24, v59
	v_lshrrev_b32_e32 v46, 22, v46
	s_wait_alu 0xfffd
	v_cndmask_b32_e64 v66, 0, -1, vcc_lo
	v_cmp_ne_u16_e32 vcc_lo, 0, v67
	v_lshrrev_b16 v77, 8, v62
	v_lshrrev_b32_e32 v52, 18, v35
	v_bfe_i32 v53, v35, 0, 1
	v_lshrrev_b32_e32 v35, 22, v35
	s_wait_alu 0xfffd
	v_cndmask_b32_e64 v67, 0, -1, vcc_lo
	v_cmp_ne_u16_e32 vcc_lo, 0, v51
	v_lshrrev_b32_e32 v56, 18, v36
	v_lshrrev_b16 v50, 4, v50
	v_lshrrev_b16 v54, 4, v54
	v_lshrrev_b32_e32 v78, 24, v62
	s_wait_alu 0xfffd
	v_cndmask_b32_e64 v51, 0, -1, vcc_lo
	v_cmp_ne_u16_e32 vcc_lo, 0, v69
	v_bfe_i32 v57, v36, 0, 1
	v_lshrrev_b32_e32 v36, 22, v36
	v_lshrrev_b32_e32 v60, 18, v37
	v_bfe_i32 v61, v37, 0, 1
	s_wait_alu 0xfffd
	v_cndmask_b32_e64 v69, 0, -1, vcc_lo
	v_cmp_ne_u16_e32 vcc_lo, 0, v70
	v_lshrrev_b32_e32 v37, 22, v37
	v_bfe_i32 v48, v48, 0, 1
	v_bfe_i32 v46, v46, 0, 1
	;; [unrolled: 1-line block ×3, first 2 shown]
	s_wait_alu 0xfffd
	v_cndmask_b32_e64 v70, 0, -1, vcc_lo
	v_cmp_ne_u16_e32 vcc_lo, 0, v71
	v_bfe_i32 v35, v35, 0, 1
	v_bfe_i32 v56, v56, 0, 1
	v_lshrrev_b16 v58, 4, v58
	v_lshrrev_b16 v62, 4, v62
	s_wait_alu 0xfffd
	v_cndmask_b32_e64 v71, 0, -1, vcc_lo
	v_cmp_ne_u16_e32 vcc_lo, 0, v55
	v_bfe_i32 v50, v50, 0, 1
	v_bfe_i32 v54, v54, 0, 1
	v_and_b32_e32 v64, 0xff, v49
	v_and_b32_e32 v68, 0xff, v53
	s_wait_alu 0xfffd
	v_cndmask_b32_e64 v55, 0, -1, vcc_lo
	v_cmp_ne_u16_e32 vcc_lo, 0, v73
	v_and_b32_e32 v72, 0xff, v57
	v_bfe_i32 v36, v36, 0, 1
	v_bfe_i32 v60, v60, 0, 1
	;; [unrolled: 1-line block ×3, first 2 shown]
	s_wait_alu 0xfffd
	v_cndmask_b32_e64 v73, 0, -1, vcc_lo
	v_cmp_ne_u16_e32 vcc_lo, 0, v74
	v_and_b32_e32 v79, 0xff, v48
	v_and_b32_e32 v80, 0xff, v46
	;; [unrolled: 1-line block ×4, first 2 shown]
	s_wait_alu 0xfffd
	v_cndmask_b32_e64 v74, 0, -1, vcc_lo
	v_cmp_ne_u16_e32 vcc_lo, 0, v75
	v_and_b32_e32 v83, 0xff, v56
	v_bfe_i32 v58, v58, 0, 1
	v_bfe_i32 v62, v62, 0, 1
	v_lshlrev_b16 v63, 8, v63
	s_wait_alu 0xfffd
	v_cndmask_b32_e64 v75, 0, -1, vcc_lo
	v_cmp_ne_u16_e32 vcc_lo, 0, v59
	v_lshlrev_b16 v47, 8, v47
	v_and_b32_e32 v87, 0xff, v50
	v_lshlrev_b16 v65, 8, v65
	v_lshlrev_b16 v66, 8, v66
	s_wait_alu 0xfffd
	v_cndmask_b32_e64 v59, 0, -1, vcc_lo
	v_cmp_ne_u16_e32 vcc_lo, 0, v77
	v_lshlrev_b16 v67, 8, v67
	v_lshlrev_b16 v51, 8, v51
	v_and_b32_e32 v88, 0xff, v54
	v_lshlrev_b16 v69, 8, v69
	s_wait_alu 0xfffd
	v_cndmask_b32_e64 v77, 0, -1, vcc_lo
	v_cmp_ne_u16_e32 vcc_lo, 0, v78
	v_lshlrev_b16 v70, 8, v70
	v_lshlrev_b16 v71, 8, v71
	;; [unrolled: 1-line block ×3, first 2 shown]
	v_and_b32_e32 v76, 0xff, v61
	s_wait_alu 0xfffd
	v_cndmask_b32_e64 v78, 0, -1, vcc_lo
	v_and_b32_e32 v84, 0xff, v36
	v_and_b32_e32 v85, 0xff, v60
	;; [unrolled: 1-line block ×4, first 2 shown]
	v_lshlrev_b16 v73, 8, v73
	v_lshlrev_b16 v74, 8, v74
	;; [unrolled: 1-line block ×4, first 2 shown]
	v_and_b32_e32 v90, 0xff, v62
	v_lshlrev_b16 v77, 8, v77
	v_lshlrev_b16 v78, 8, v78
	v_or_b32_e32 v64, v64, v63
	v_or_b32_e32 v79, v79, v47
	;; [unrolled: 1-line block ×16, first 2 shown]
	v_and_b32_e32 v64, 0xffff, v64
	v_lshlrev_b32_e32 v79, 16, v79
	v_and_b32_e32 v87, 0xffff, v87
	v_lshlrev_b32_e32 v80, 16, v80
	;; [unrolled: 2-line block ×8, first 2 shown]
	v_or_b32_e32 v64, v64, v79
	v_or_b32_e32 v79, v87, v80
	;; [unrolled: 1-line block ×8, first 2 shown]
	v_lshlrev_b16 v49, 8, v49
	v_lshlrev_b16 v53, 8, v53
	;; [unrolled: 1-line block ×16, first 2 shown]
	s_wait_loadcnt 0x3
	v_xor_b32_e32 v40, v40, v68
	v_xor_b32_e32 v38, v38, v64
	;; [unrolled: 1-line block ×4, first 2 shown]
	s_wait_loadcnt 0x2
	v_xor_b32_e32 v42, v42, v72
	v_xor_b32_e32 v43, v43, v81
	s_wait_loadcnt 0x1
	v_xor_b32_e32 v44, v44, v76
	v_xor_b32_e32 v45, v45, v82
	v_lshrrev_b32_e32 v64, 16, v38
	v_and_b32_e32 v68, 0xffffff00, v38
	v_lshlrev_b16 v38, 8, v38
	v_lshrrev_b32_e32 v72, 16, v39
	v_and_b32_e32 v76, 0xffffff00, v39
	v_lshlrev_b16 v39, 8, v39
	;; [unrolled: 3-line block ×6, first 2 shown]
	v_sub_nc_i16 v63, v68, v63 clamp
	v_sub_nc_i16 v38, v38, v49 clamp
	v_and_b32_e32 v49, 0xffffff00, v64
	v_lshlrev_b16 v64, 8, v64
	v_sub_nc_i16 v39, v39, v50 clamp
	v_and_b32_e32 v50, 0xffffff00, v72
	v_lshlrev_b16 v68, 8, v72
	;; [unrolled: 3-line block ×3, first 2 shown]
	v_sub_nc_i16 v41, v41, v54 clamp
	v_and_b32_e32 v54, 0xffffff00, v81
	v_sub_nc_i16 v42, v42, v57 clamp
	v_and_b32_e32 v57, 0xffffff00, v83
	v_lshlrev_b16 v79, 8, v83
	v_lshrrev_b32_e32 v87, 16, v44
	v_and_b32_e32 v88, 0xffffff00, v44
	v_lshlrev_b16 v44, 8, v44
	v_sub_nc_i16 v67, v80, v67 clamp
	v_sub_nc_i16 v71, v84, v71 clamp
	;; [unrolled: 1-line block ×3, first 2 shown]
	v_and_b32_e32 v58, 0xffffff00, v85
	v_lshlrev_b16 v80, 8, v85
	v_sub_nc_i16 v47, v49, v47 clamp
	v_sub_nc_i16 v48, v64, v48 clamp
	;; [unrolled: 1-line block ×8, first 2 shown]
	v_lshrrev_b32_e32 v89, 16, v45
	v_and_b32_e32 v90, 0xffffff00, v45
	v_lshlrev_b16 v45, 8, v45
	v_sub_nc_i16 v65, v76, v65 clamp
	v_lshlrev_b16 v76, 8, v81
	v_sub_nc_i16 v73, v86, v73 clamp
	v_sub_nc_i16 v44, v44, v61 clamp
	v_and_b32_e32 v61, 0xffffff00, v87
	v_lshlrev_b16 v81, 8, v87
	v_perm_b32 v38, v38, v63, 0xc0c0105
	v_sub_nc_i16 v46, v68, v46 clamp
	v_perm_b32 v42, v42, v71, 0xc0c0105
	v_sub_nc_i16 v55, v58, v74 clamp
	v_sub_nc_i16 v36, v80, v36 clamp
	v_perm_b32 v47, v48, v47, 0xc0c0105
	v_perm_b32 v48, v54, v53, 0xc0c0105
	v_sub_nc_i16 v69, v82, v69 clamp
	v_sub_nc_i16 v75, v88, v75 clamp
	v_sub_nc_i16 v45, v45, v62 clamp
	v_and_b32_e32 v62, 0xffffff00, v89
	v_lshlrev_b16 v82, 8, v89
	v_perm_b32 v39, v39, v65, 0xc0c0105
	v_perm_b32 v43, v43, v73, 0xc0c0105
	v_sub_nc_i16 v56, v61, v59 clamp
	v_sub_nc_i16 v57, v81, v60 clamp
	v_perm_b32 v46, v46, v49, 0xc0c0105
	v_perm_b32 v36, v36, v55, 0xc0c0105
	v_lshl_or_b32 v38, v47, 16, v38
	v_lshl_or_b32 v42, v48, 16, v42
	v_sub_nc_i16 v77, v90, v77 clamp
	v_perm_b32 v40, v40, v67, 0xc0c0105
	v_sub_nc_i16 v35, v76, v35 clamp
	v_perm_b32 v44, v44, v75, 0xc0c0105
	v_sub_nc_i16 v58, v62, v78 clamp
	v_sub_nc_i16 v37, v82, v37 clamp
	v_perm_b32 v49, v51, v50, 0xc0c0105
	v_perm_b32 v47, v57, v56, 0xc0c0105
	v_lshl_or_b32 v39, v46, 16, v39
	v_lshl_or_b32 v36, v36, 16, v43
	v_dot4_i32_iu8 v38, v38, v5, 0 neg_lo:[1,1,0]
	v_dot4_i32_iu8 v42, v42, v1, 0 neg_lo:[1,1,0]
	v_perm_b32 v41, v41, v69, 0xc0c0105
	v_perm_b32 v45, v45, v77, 0xc0c0105
	;; [unrolled: 1-line block ×4, first 2 shown]
	v_lshl_or_b32 v40, v49, 16, v40
	v_lshl_or_b32 v43, v47, 16, v44
	v_dot4_i32_iu8 v38, v39, v6, v38 neg_lo:[1,1,0]
	v_dot4_i32_iu8 v36, v36, v2, v42 neg_lo:[1,1,0]
	v_lshl_or_b32 v35, v35, 16, v41
	v_lshl_or_b32 v37, v37, 16, v45
	v_and_b32_e32 v39, 15, v33
	v_dot4_i32_iu8 v38, v40, v7, v38 neg_lo:[1,1,0]
	v_dot4_i32_iu8 v36, v43, v3, v36 neg_lo:[1,1,0]
	v_lshrrev_b32_e32 v33, 4, v33
	s_wait_loadcnt 0x0
	v_cvt_f32_f16_e32 v34, v34
	v_dot4_i32_iu8 v35, v35, v0, v38 neg_lo:[1,1,0]
	v_dot4_i32_iu8 v36, v37, v32, v36 neg_lo:[1,1,0]
	s_delay_alu instid0(VALU_DEP_3) | instskip(NEXT) | instid1(VALU_DEP_2)
	v_mul_f32_e32 v34, v4, v34
	v_add_nc_u32_e32 v37, v36, v35
	v_mul_lo_u32 v35, v35, v39
	v_mul_lo_u32 v33, v36, v33
	s_delay_alu instid0(VALU_DEP_3) | instskip(NEXT) | instid1(VALU_DEP_1)
	v_lshrrev_b32_e32 v38, 31, v37
	v_add_nc_u32_e32 v37, v37, v38
	s_delay_alu instid0(VALU_DEP_1) | instskip(NEXT) | instid1(VALU_DEP_1)
	v_ashrrev_i32_e32 v36, 1, v37
	v_add3_u32 v33, v33, v35, v36
	s_delay_alu instid0(VALU_DEP_1) | instskip(NEXT) | instid1(VALU_DEP_1)
	v_ashrrev_i32_e32 v35, 31, v33
	v_lshrrev_b32_e32 v35, 30, v35
	s_delay_alu instid0(VALU_DEP_1) | instskip(NEXT) | instid1(VALU_DEP_1)
	v_add_nc_u32_e32 v33, v33, v35
	v_ashrrev_i32_e32 v33, 2, v33
	s_delay_alu instid0(VALU_DEP_1) | instskip(NEXT) | instid1(VALU_DEP_1)
	v_cvt_f32_i32_e32 v33, v33
	v_fmac_f32_e32 v25, v34, v33
	s_branch .LBB169_11
.LBB169_14:
	s_or_b32 exec_lo, exec_lo, s13
.LBB169_15:
	s_delay_alu instid0(SALU_CYCLE_1)
	s_or_b32 exec_lo, exec_lo, s18
	s_load_b32 s4, s[0:1], 0x30
	s_wait_loadcnt 0x0
	; wave barrier
	global_inv scope:SCOPE_SE
	s_mov_b32 s5, exec_lo
	v_cmpx_eq_u32_e32 0, v23
	s_cbranch_execz .LBB169_43
; %bb.16:
	v_mbcnt_lo_u32_b32 v1, -1, 0
	s_delay_alu instid0(VALU_DEP_1) | instskip(SKIP_2) | instid1(VALU_DEP_3)
	v_xor_b32_e32 v0, 16, v1
	v_xor_b32_e32 v3, 8, v1
	;; [unrolled: 1-line block ×3, first 2 shown]
	v_cmp_gt_i32_e32 vcc_lo, 32, v0
	s_wait_alu 0xfffd
	v_cndmask_b32_e32 v0, v1, v0, vcc_lo
	v_cmp_gt_i32_e32 vcc_lo, 32, v3
	s_wait_alu 0xfffd
	v_cndmask_b32_e32 v3, v1, v3, vcc_lo
	v_cmp_gt_i32_e32 vcc_lo, 32, v4
	s_delay_alu instid0(VALU_DEP_2)
	v_lshlrev_b32_e32 v3, 2, v3
	v_lshlrev_b32_e32 v0, 2, v0
	s_wait_alu 0xfffd
	v_cndmask_b32_e32 v4, v1, v4, vcc_lo
	ds_bpermute_b32 v2, v0, v26
	s_wait_dscnt 0x0
	v_add_f32_e32 v2, v26, v2
	ds_bpermute_b32 v5, v3, v2
	s_wait_dscnt 0x0
	v_add_f32_e32 v2, v2, v5
	v_xor_b32_e32 v5, 2, v1
	s_delay_alu instid0(VALU_DEP_1) | instskip(SKIP_2) | instid1(VALU_DEP_1)
	v_cmp_gt_i32_e32 vcc_lo, 32, v5
	s_wait_alu 0xfffd
	v_cndmask_b32_e32 v5, v1, v5, vcc_lo
	v_lshlrev_b32_e32 v5, 2, v5
	v_lshlrev_b32_e32 v4, 2, v4
	ds_bpermute_b32 v6, v4, v2
	s_wait_dscnt 0x0
	v_add_f32_e32 v2, v2, v6
	v_xor_b32_e32 v6, 1, v1
	ds_bpermute_b32 v7, v5, v2
	v_cmp_gt_i32_e32 vcc_lo, 32, v6
	s_wait_alu 0xfffd
	v_cndmask_b32_e32 v1, v1, v6, vcc_lo
	v_cmp_ne_u32_e32 vcc_lo, 1, v24
	s_delay_alu instid0(VALU_DEP_2)
	v_lshlrev_b32_e32 v6, 2, v1
	s_wait_dscnt 0x0
	v_add_f32_e32 v1, v2, v7
	ds_bpermute_b32 v2, v6, v1
	s_cbranch_vccnz .LBB169_18
; %bb.17:
	ds_bpermute_b32 v0, v0, v25
	s_wait_dscnt 0x0
	v_add_f32_e32 v0, v25, v0
	ds_bpermute_b32 v3, v3, v0
	s_wait_dscnt 0x0
	v_add_f32_e32 v0, v0, v3
	;; [unrolled: 3-line block ×5, first 2 shown]
.LBB169_18:
	v_cmp_eq_u32_e32 vcc_lo, 0, v20
	s_and_b32 exec_lo, exec_lo, vcc_lo
	s_cbranch_execz .LBB169_43
; %bb.19:
	s_wait_dscnt 0x0
	v_add_f32_e32 v0, v1, v2
	v_cmp_ne_u32_e32 vcc_lo, 1, v24
	s_delay_alu instid0(VALU_DEP_2) | instskip(NEXT) | instid1(VALU_DEP_1)
	v_add_f32_e32 v1, v22, v0
	v_cndmask_b32_e64 v0, v0, v1, s2
	s_cbranch_vccnz .LBB169_42
; %bb.20:
	v_add_f32_e32 v1, v21, v25
	s_wait_kmcnt 0x0
	s_cmp_lt_i32 s4, 2
	s_mov_b32 s2, 0
	s_delay_alu instid0(VALU_DEP_1)
	v_cndmask_b32_e64 v1, v25, v1, s3
	s_cbranch_scc1 .LBB169_25
; %bb.21:
	s_cmp_gt_i32 s4, 2
	s_cbranch_scc0 .LBB169_26
; %bb.22:
	s_cmp_eq_u32 s4, 3
	s_cbranch_scc0 .LBB169_27
; %bb.23:
	v_max_num_f32_e32 v2, v1, v1
	s_mov_b32 s3, 0xc0e00000
	s_delay_alu instid0(VALU_DEP_1) | instskip(NEXT) | instid1(VALU_DEP_1)
	v_min_num_f32_e32 v2, 0x40e00000, v2
	v_mul_f32_e32 v3, 0xbfd9db23, v2
	s_delay_alu instid0(VALU_DEP_1) | instskip(NEXT) | instid1(VALU_DEP_1)
	v_mul_f32_e32 v4, 0x3fb8aa3b, v3
	v_fma_f32 v5, 0x3fb8aa3b, v3, -v4
	v_rndne_f32_e32 v6, v4
	s_delay_alu instid0(VALU_DEP_1) | instskip(NEXT) | instid1(VALU_DEP_1)
	v_dual_fmamk_f32 v5, v3, 0x32a5705f, v5 :: v_dual_sub_f32 v4, v4, v6
	v_add_f32_e32 v4, v4, v5
	v_cvt_i32_f32_e32 v5, v6
	v_cmp_ngt_f32_e32 vcc_lo, 0xc2ce8ed0, v3
	s_delay_alu instid0(VALU_DEP_3) | instskip(NEXT) | instid1(TRANS32_DEP_1)
	v_exp_f32_e32 v4, v4
	v_ldexp_f32 v4, v4, v5
	s_wait_alu 0xfffd
	s_delay_alu instid0(VALU_DEP_1) | instskip(SKIP_2) | instid1(VALU_DEP_2)
	v_cndmask_b32_e32 v4, 0, v4, vcc_lo
	v_cmp_nlt_f32_e32 vcc_lo, 0x42b17218, v3
	s_wait_alu 0xfffd
	v_cndmask_b32_e32 v3, 0x7f800000, v4, vcc_lo
	s_delay_alu instid0(VALU_DEP_1) | instskip(NEXT) | instid1(VALU_DEP_1)
	v_add_f32_e32 v3, 1.0, v3
	v_div_scale_f32 v4, null, v3, v3, v2
	v_div_scale_f32 v7, vcc_lo, v2, v3, v2
	s_delay_alu instid0(VALU_DEP_2) | instskip(NEXT) | instid1(TRANS32_DEP_1)
	v_rcp_f32_e32 v5, v4
	v_fma_f32 v6, -v4, v5, 1.0
	s_delay_alu instid0(VALU_DEP_1) | instskip(NEXT) | instid1(VALU_DEP_1)
	v_fmac_f32_e32 v5, v6, v5
	v_mul_f32_e32 v6, v7, v5
	s_delay_alu instid0(VALU_DEP_1) | instskip(NEXT) | instid1(VALU_DEP_1)
	v_fma_f32 v8, -v4, v6, v7
	v_fmac_f32_e32 v6, v8, v5
	s_delay_alu instid0(VALU_DEP_1) | instskip(SKIP_1) | instid1(VALU_DEP_1)
	v_fma_f32 v4, -v4, v6, v7
	s_wait_alu 0xfffd
	v_div_fmas_f32 v4, v4, v5, v6
	s_delay_alu instid0(VALU_DEP_1) | instskip(SKIP_2) | instid1(VALU_DEP_1)
	v_div_fixup_f32 v2, v4, v3, v2
	v_max_num_f32_e32 v7, v0, v0
	s_wait_alu 0xfffe
	v_minmax_num_f32 v5, v7, 0x40e00000, s3
	s_mov_b32 s3, 0
	s_delay_alu instid0(VALU_DEP_1) | instskip(NEXT) | instid1(VALU_DEP_1)
	v_add_f32_e32 v3, 1.0, v5
	v_mul_f32_e32 v2, v3, v2
	s_branch .LBB169_28
.LBB169_24:
                                        ; implicit-def: $sgpr28
	s_clause 0x1
	s_load_b32 s30, s[0:1], 0x50
	s_load_b32 s29, s[0:1], 0x78
	s_branch .LBB169_2
.LBB169_25:
	s_mov_b32 s3, 0
                                        ; implicit-def: $vgpr2
	s_cbranch_execnz .LBB169_32
	s_branch .LBB169_33
.LBB169_26:
	s_mov_b32 s5, -1
	s_mov_b32 s3, 0
                                        ; implicit-def: $vgpr2
	s_branch .LBB169_29
.LBB169_27:
	s_mov_b32 s3, -1
                                        ; implicit-def: $vgpr2
.LBB169_28:
	s_mov_b32 s5, 0
.LBB169_29:
	s_wait_alu 0xfffe
	s_and_b32 vcc_lo, exec_lo, s5
	s_wait_alu 0xfffe
	s_cbranch_vccz .LBB169_31
; %bb.30:
	v_mul_f32_e32 v2, 0xbfb8aa3b, v1
	v_cmp_nlt_f32_e32 vcc_lo, 0x42ce8ed0, v1
	s_delay_alu instid0(VALU_DEP_2) | instskip(SKIP_1) | instid1(VALU_DEP_2)
	v_rndne_f32_e32 v3, v2
	v_fma_f32 v4, 0xbfb8aa3b, v1, -v2
	v_sub_f32_e32 v2, v2, v3
	s_delay_alu instid0(VALU_DEP_2) | instskip(SKIP_1) | instid1(VALU_DEP_2)
	v_fmamk_f32 v4, v1, 0xb2a5705f, v4
	v_cvt_i32_f32_e32 v3, v3
	v_add_f32_e32 v2, v2, v4
	s_delay_alu instid0(VALU_DEP_1) | instskip(NEXT) | instid1(TRANS32_DEP_1)
	v_exp_f32_e32 v2, v2
	v_ldexp_f32 v2, v2, v3
	s_wait_alu 0xfffd
	s_delay_alu instid0(VALU_DEP_1) | instskip(SKIP_2) | instid1(VALU_DEP_2)
	v_cndmask_b32_e32 v2, 0, v2, vcc_lo
	v_cmp_ngt_f32_e32 vcc_lo, 0xc2b17218, v1
	s_wait_alu 0xfffd
	v_cndmask_b32_e32 v2, 0x7f800000, v2, vcc_lo
	s_delay_alu instid0(VALU_DEP_1) | instskip(NEXT) | instid1(VALU_DEP_1)
	v_add_f32_e32 v2, 1.0, v2
	v_div_scale_f32 v3, null, v2, v2, v1
	s_delay_alu instid0(VALU_DEP_1) | instskip(NEXT) | instid1(TRANS32_DEP_1)
	v_rcp_f32_e32 v4, v3
	v_fma_f32 v5, -v3, v4, 1.0
	s_delay_alu instid0(VALU_DEP_1) | instskip(SKIP_1) | instid1(VALU_DEP_1)
	v_fmac_f32_e32 v4, v5, v4
	v_div_scale_f32 v5, vcc_lo, v1, v2, v1
	v_mul_f32_e32 v6, v5, v4
	s_delay_alu instid0(VALU_DEP_1) | instskip(NEXT) | instid1(VALU_DEP_1)
	v_fma_f32 v7, -v3, v6, v5
	v_fmac_f32_e32 v6, v7, v4
	s_delay_alu instid0(VALU_DEP_1) | instskip(SKIP_1) | instid1(VALU_DEP_1)
	v_fma_f32 v3, -v3, v6, v5
	s_wait_alu 0xfffd
	v_div_fmas_f32 v3, v3, v4, v6
	s_delay_alu instid0(VALU_DEP_1) | instskip(NEXT) | instid1(VALU_DEP_1)
	v_div_fixup_f32 v2, v3, v2, v1
	v_mul_f32_e32 v2, v0, v2
.LBB169_31:
	s_branch .LBB169_33
.LBB169_32:
	s_cmp_lg_u32 s4, 1
	s_mov_b32 s2, -1
	s_cselect_b32 s3, -1, 0
.LBB169_33:
	s_wait_alu 0xfffe
	s_and_not1_b32 vcc_lo, exec_lo, s3
	s_wait_alu 0xfffe
	s_cbranch_vccz .LBB169_35
; %bb.34:
	s_and_not1_b32 vcc_lo, exec_lo, s2
	s_wait_alu 0xfffe
	s_cbranch_vccz .LBB169_36
	s_branch .LBB169_41
.LBB169_35:
	v_mul_f32_e32 v2, v1, v0
	s_cbranch_execnz .LBB169_41
.LBB169_36:
	v_mul_f32_e32 v2, 0x3d372713, v1
	v_mul_f32_e32 v3, 0x3f4c422a, v1
	s_delay_alu instid0(VALU_DEP_2) | instskip(NEXT) | instid1(VALU_DEP_1)
	v_fma_f32 v2, v1, v2, 1.0
	v_mul_f32_e32 v2, v3, v2
                                        ; implicit-def: $vgpr3
	s_delay_alu instid0(VALU_DEP_1)
	v_cmp_ngt_f32_e64 s2, 0x3f200000, |v2|
	s_and_saveexec_b32 s3, s2
	s_wait_alu 0xfffe
	s_xor_b32 s2, exec_lo, s3
	s_cbranch_execz .LBB169_38
; %bb.37:
	v_add_f32_e64 v3, |v2|, |v2|
	s_delay_alu instid0(VALU_DEP_1) | instskip(SKIP_1) | instid1(VALU_DEP_2)
	v_mul_f32_e32 v4, 0x3fb8aa3b, v3
	v_cmp_ngt_f32_e32 vcc_lo, 0xc2ce8ed0, v3
	v_rndne_f32_e32 v5, v4
	v_fma_f32 v6, 0x3fb8aa3b, v3, -v4
	s_delay_alu instid0(VALU_DEP_2) | instskip(NEXT) | instid1(VALU_DEP_2)
	v_sub_f32_e32 v4, v4, v5
	v_fmamk_f32 v6, v3, 0x32a5705f, v6
	v_cvt_i32_f32_e32 v5, v5
	s_delay_alu instid0(VALU_DEP_2) | instskip(NEXT) | instid1(VALU_DEP_1)
	v_add_f32_e32 v4, v4, v6
	v_exp_f32_e32 v4, v4
	s_delay_alu instid0(TRANS32_DEP_1) | instskip(SKIP_1) | instid1(VALU_DEP_1)
	v_ldexp_f32 v4, v4, v5
	s_wait_alu 0xfffd
	v_cndmask_b32_e32 v4, 0, v4, vcc_lo
	v_cmp_nlt_f32_e32 vcc_lo, 0x42b17218, v3
	s_wait_alu 0xfffd
	s_delay_alu instid0(VALU_DEP_2) | instskip(NEXT) | instid1(VALU_DEP_1)
	v_cndmask_b32_e32 v3, 0x7f800000, v4, vcc_lo
	v_add_f32_e32 v3, 1.0, v3
	s_delay_alu instid0(VALU_DEP_1) | instskip(NEXT) | instid1(TRANS32_DEP_1)
	v_rcp_f32_e32 v3, v3
	v_fma_f32 v3, v3, -2.0, 1.0
.LBB169_38:
	s_wait_alu 0xfffe
	s_and_not1_saveexec_b32 s2, s2
	s_cbranch_execz .LBB169_40
; %bb.39:
	v_mul_f32_e32 v3, v2, v2
	s_mov_b32 s3, 0xbbbac73d
	s_wait_alu 0xfffe
	s_delay_alu instid0(VALU_DEP_1) | instskip(NEXT) | instid1(VALU_DEP_1)
	v_fmaak_f32 v4, s3, v3, 0x3ca908c9
	v_fmaak_f32 v4, v3, v4, 0xbd5c1c4e
	s_delay_alu instid0(VALU_DEP_1) | instskip(NEXT) | instid1(VALU_DEP_1)
	v_fmaak_f32 v4, v3, v4, 0x3e088382
	v_fmaak_f32 v4, v3, v4, 0xbeaaaa99
	s_delay_alu instid0(VALU_DEP_1) | instskip(NEXT) | instid1(VALU_DEP_1)
	v_mul_f32_e64 v4, |v2|, v4
	v_fma_f32 v3, v3, v4, |v2|
.LBB169_40:
	s_wait_alu 0xfffe
	s_or_b32 exec_lo, exec_lo, s2
	s_delay_alu instid0(VALU_DEP_1) | instskip(NEXT) | instid1(VALU_DEP_1)
	v_bfi_b32 v2, 0x7fffffff, v3, v2
	v_dual_mul_f32 v1, 0.5, v1 :: v_dual_add_f32 v2, 1.0, v2
	s_delay_alu instid0(VALU_DEP_1) | instskip(NEXT) | instid1(VALU_DEP_1)
	v_mul_f32_e32 v1, v1, v2
	v_mul_f32_e32 v2, v0, v1
.LBB169_41:
	s_delay_alu instid0(VALU_DEP_1)
	v_mov_b32_e32 v0, v2
.LBB169_42:
	s_load_b64 s[0:1], s[0:1], 0x38
	s_mul_i32 s2, s6, s27
	s_wait_kmcnt 0x0
	s_mul_i32 s3, s26, s21
	s_wait_alu 0xfffe
	s_add_co_i32 s2, s2, ttmp9
	v_lshlrev_b32_e32 v1, 2, v20
	s_wait_alu 0xfffe
	s_add_co_i32 s2, s2, s3
	s_mov_b32 s3, 0
	s_wait_alu 0xfffe
	s_lshl_b64 s[2:3], s[2:3], 2
	s_wait_alu 0xfffe
	s_add_nc_u64 s[0:1], s[0:1], s[2:3]
	global_store_b32 v1, v0, s[0:1]
.LBB169_43:
	s_endpgm
	.section	.rodata,"a",@progbits
	.p2align	6, 0x0
	.amdhsa_kernel _ZL13mul_mat_vec_qIL9ggml_type17ELi1ELb1ELb1EEvPKvS2_PKi31ggml_cuda_mm_fusion_args_devicePfj15HIP_vector_typeIjLj3EEjjjS8_jjjS8_jjjj
		.amdhsa_group_segment_fixed_size 0
		.amdhsa_private_segment_fixed_size 0
		.amdhsa_kernarg_size 144
		.amdhsa_user_sgpr_count 2
		.amdhsa_user_sgpr_dispatch_ptr 0
		.amdhsa_user_sgpr_queue_ptr 0
		.amdhsa_user_sgpr_kernarg_segment_ptr 1
		.amdhsa_user_sgpr_dispatch_id 0
		.amdhsa_user_sgpr_private_segment_size 0
		.amdhsa_wavefront_size32 1
		.amdhsa_uses_dynamic_stack 0
		.amdhsa_enable_private_segment 0
		.amdhsa_system_sgpr_workgroup_id_x 1
		.amdhsa_system_sgpr_workgroup_id_y 1
		.amdhsa_system_sgpr_workgroup_id_z 1
		.amdhsa_system_sgpr_workgroup_info 0
		.amdhsa_system_vgpr_workitem_id 1
		.amdhsa_next_free_vgpr 91
		.amdhsa_next_free_sgpr 38
		.amdhsa_reserve_vcc 1
		.amdhsa_float_round_mode_32 0
		.amdhsa_float_round_mode_16_64 0
		.amdhsa_float_denorm_mode_32 3
		.amdhsa_float_denorm_mode_16_64 3
		.amdhsa_fp16_overflow 0
		.amdhsa_workgroup_processor_mode 1
		.amdhsa_memory_ordered 1
		.amdhsa_forward_progress 1
		.amdhsa_inst_pref_size 59
		.amdhsa_round_robin_scheduling 0
		.amdhsa_exception_fp_ieee_invalid_op 0
		.amdhsa_exception_fp_denorm_src 0
		.amdhsa_exception_fp_ieee_div_zero 0
		.amdhsa_exception_fp_ieee_overflow 0
		.amdhsa_exception_fp_ieee_underflow 0
		.amdhsa_exception_fp_ieee_inexact 0
		.amdhsa_exception_int_div_zero 0
	.end_amdhsa_kernel
	.section	.text._ZL13mul_mat_vec_qIL9ggml_type17ELi1ELb1ELb1EEvPKvS2_PKi31ggml_cuda_mm_fusion_args_devicePfj15HIP_vector_typeIjLj3EEjjjS8_jjjS8_jjjj,"axG",@progbits,_ZL13mul_mat_vec_qIL9ggml_type17ELi1ELb1ELb1EEvPKvS2_PKi31ggml_cuda_mm_fusion_args_devicePfj15HIP_vector_typeIjLj3EEjjjS8_jjjS8_jjjj,comdat
.Lfunc_end169:
	.size	_ZL13mul_mat_vec_qIL9ggml_type17ELi1ELb1ELb1EEvPKvS2_PKi31ggml_cuda_mm_fusion_args_devicePfj15HIP_vector_typeIjLj3EEjjjS8_jjjS8_jjjj, .Lfunc_end169-_ZL13mul_mat_vec_qIL9ggml_type17ELi1ELb1ELb1EEvPKvS2_PKi31ggml_cuda_mm_fusion_args_devicePfj15HIP_vector_typeIjLj3EEjjjS8_jjjS8_jjjj
                                        ; -- End function
	.set _ZL13mul_mat_vec_qIL9ggml_type17ELi1ELb1ELb1EEvPKvS2_PKi31ggml_cuda_mm_fusion_args_devicePfj15HIP_vector_typeIjLj3EEjjjS8_jjjS8_jjjj.num_vgpr, 91
	.set _ZL13mul_mat_vec_qIL9ggml_type17ELi1ELb1ELb1EEvPKvS2_PKi31ggml_cuda_mm_fusion_args_devicePfj15HIP_vector_typeIjLj3EEjjjS8_jjjS8_jjjj.num_agpr, 0
	.set _ZL13mul_mat_vec_qIL9ggml_type17ELi1ELb1ELb1EEvPKvS2_PKi31ggml_cuda_mm_fusion_args_devicePfj15HIP_vector_typeIjLj3EEjjjS8_jjjS8_jjjj.numbered_sgpr, 38
	.set _ZL13mul_mat_vec_qIL9ggml_type17ELi1ELb1ELb1EEvPKvS2_PKi31ggml_cuda_mm_fusion_args_devicePfj15HIP_vector_typeIjLj3EEjjjS8_jjjS8_jjjj.num_named_barrier, 0
	.set _ZL13mul_mat_vec_qIL9ggml_type17ELi1ELb1ELb1EEvPKvS2_PKi31ggml_cuda_mm_fusion_args_devicePfj15HIP_vector_typeIjLj3EEjjjS8_jjjS8_jjjj.private_seg_size, 0
	.set _ZL13mul_mat_vec_qIL9ggml_type17ELi1ELb1ELb1EEvPKvS2_PKi31ggml_cuda_mm_fusion_args_devicePfj15HIP_vector_typeIjLj3EEjjjS8_jjjS8_jjjj.uses_vcc, 1
	.set _ZL13mul_mat_vec_qIL9ggml_type17ELi1ELb1ELb1EEvPKvS2_PKi31ggml_cuda_mm_fusion_args_devicePfj15HIP_vector_typeIjLj3EEjjjS8_jjjS8_jjjj.uses_flat_scratch, 0
	.set _ZL13mul_mat_vec_qIL9ggml_type17ELi1ELb1ELb1EEvPKvS2_PKi31ggml_cuda_mm_fusion_args_devicePfj15HIP_vector_typeIjLj3EEjjjS8_jjjS8_jjjj.has_dyn_sized_stack, 0
	.set _ZL13mul_mat_vec_qIL9ggml_type17ELi1ELb1ELb1EEvPKvS2_PKi31ggml_cuda_mm_fusion_args_devicePfj15HIP_vector_typeIjLj3EEjjjS8_jjjS8_jjjj.has_recursion, 0
	.set _ZL13mul_mat_vec_qIL9ggml_type17ELi1ELb1ELb1EEvPKvS2_PKi31ggml_cuda_mm_fusion_args_devicePfj15HIP_vector_typeIjLj3EEjjjS8_jjjS8_jjjj.has_indirect_call, 0
	.section	.AMDGPU.csdata,"",@progbits
; Kernel info:
; codeLenInByte = 7464
; TotalNumSgprs: 40
; NumVgprs: 91
; ScratchSize: 0
; MemoryBound: 0
; FloatMode: 240
; IeeeMode: 1
; LDSByteSize: 0 bytes/workgroup (compile time only)
; SGPRBlocks: 0
; VGPRBlocks: 11
; NumSGPRsForWavesPerEU: 40
; NumVGPRsForWavesPerEU: 91
; Occupancy: 16
; WaveLimiterHint : 0
; COMPUTE_PGM_RSRC2:SCRATCH_EN: 0
; COMPUTE_PGM_RSRC2:USER_SGPR: 2
; COMPUTE_PGM_RSRC2:TRAP_HANDLER: 0
; COMPUTE_PGM_RSRC2:TGID_X_EN: 1
; COMPUTE_PGM_RSRC2:TGID_Y_EN: 1
; COMPUTE_PGM_RSRC2:TGID_Z_EN: 1
; COMPUTE_PGM_RSRC2:TIDIG_COMP_CNT: 1
	.section	.text._ZL13mul_mat_vec_qIL9ggml_type17ELi1ELb0ELb1EEvPKvS2_PKi31ggml_cuda_mm_fusion_args_devicePfj15HIP_vector_typeIjLj3EEjjjS8_jjjS8_jjjj,"axG",@progbits,_ZL13mul_mat_vec_qIL9ggml_type17ELi1ELb0ELb1EEvPKvS2_PKi31ggml_cuda_mm_fusion_args_devicePfj15HIP_vector_typeIjLj3EEjjjS8_jjjS8_jjjj,comdat
	.globl	_ZL13mul_mat_vec_qIL9ggml_type17ELi1ELb0ELb1EEvPKvS2_PKi31ggml_cuda_mm_fusion_args_devicePfj15HIP_vector_typeIjLj3EEjjjS8_jjjS8_jjjj ; -- Begin function _ZL13mul_mat_vec_qIL9ggml_type17ELi1ELb0ELb1EEvPKvS2_PKi31ggml_cuda_mm_fusion_args_devicePfj15HIP_vector_typeIjLj3EEjjjS8_jjjS8_jjjj
	.p2align	8
	.type	_ZL13mul_mat_vec_qIL9ggml_type17ELi1ELb0ELb1EEvPKvS2_PKi31ggml_cuda_mm_fusion_args_devicePfj15HIP_vector_typeIjLj3EEjjjS8_jjjS8_jjjj,@function
_ZL13mul_mat_vec_qIL9ggml_type17ELi1ELb0ELb1EEvPKvS2_PKi31ggml_cuda_mm_fusion_args_devicePfj15HIP_vector_typeIjLj3EEjjjS8_jjjS8_jjjj: ; @_ZL13mul_mat_vec_qIL9ggml_type17ELi1ELb0ELb1EEvPKvS2_PKi31ggml_cuda_mm_fusion_args_devicePfj15HIP_vector_typeIjLj3EEjjjS8_jjjS8_jjjj
; %bb.0:
	s_clause 0x1
	s_load_b64 s[2:3], s[0:1], 0x10
	s_load_b128 s[8:11], s[0:1], 0x40
	s_and_b32 s15, ttmp7, 0xffff
	s_wait_kmcnt 0x0
	s_cmp_lg_u64 s[2:3], 0
	s_cselect_b32 s12, -1, 0
	s_cmp_eq_u64 s[2:3], 0
	s_cbranch_scc1 .LBB170_13
; %bb.1:
	s_lshl_b32 s4, s15, 2
	s_load_b32 s19, s[2:3], s4 offset:0x0
	s_clause 0x1
	s_load_b128 s[4:7], s[0:1], 0x68
	s_load_b32 s20, s[0:1], 0x50
	s_cbranch_execnz .LBB170_3
.LBB170_2:
	s_load_b64 s[2:3], s[0:1], 0x5c
	s_wait_kmcnt 0x0
	s_mul_hi_u32 s2, s2, s15
	s_delay_alu instid0(SALU_CYCLE_1) | instskip(NEXT) | instid1(SALU_CYCLE_1)
	s_add_co_i32 s2, s15, s2
	s_lshr_b32 s19, s2, s3
.LBB170_3:
	s_load_b32 s21, s[0:1], 0x78
	s_and_not1_b32 vcc_lo, exec_lo, s12
	s_mov_b32 s2, s15
	s_cbranch_vccnz .LBB170_5
; %bb.4:
	s_mul_hi_u32 s2, s9, s15
	s_delay_alu instid0(SALU_CYCLE_1) | instskip(NEXT) | instid1(SALU_CYCLE_1)
	s_add_co_i32 s2, s15, s2
	s_lshr_b32 s2, s2, s10
	s_delay_alu instid0(SALU_CYCLE_1) | instskip(NEXT) | instid1(SALU_CYCLE_1)
	s_mul_i32 s2, s2, s11
	s_sub_co_i32 s2, s15, s2
.LBB170_5:
	s_load_b96 s[12:14], s[0:1], 0x80
	v_bfe_u32 v3, v0, 10, 10
	v_and_b32_e32 v2, 0x3ff, v0
	v_mov_b32_e32 v4, 0
	s_lshr_b32 s18, s8, 8
	s_lshr_b32 s16, ttmp7, 16
	s_mov_b32 s17, exec_lo
	v_lshl_or_b32 v0, v3, 5, v2
	s_delay_alu instid0(VALU_DEP_1) | instskip(NEXT) | instid1(VALU_DEP_1)
	v_lshrrev_b32_e32 v5, 3, v0
	v_cmpx_gt_u32_e64 s18, v5
	s_cbranch_execz .LBB170_9
; %bb.6:
	v_lshrrev_b32_e32 v0, 3, v0
	s_wait_kmcnt 0x0
	s_mul_i32 s2, s2, s5
	s_mov_b32 s3, 0
	v_and_b32_e32 v6, 7, v2
	s_mul_u64 s[8:9], s[2:3], 36
	s_mul_i32 s2, s13, s16
	v_mad_co_u64_u32 v[0:1], null, 0x120, v0, s[8:9]
	s_load_b128 s[8:11], s[0:1], 0x0
	v_dual_mov_b32 v4, 0 :: v_dual_lshlrev_b32 v7, 1, v2
	s_mul_i32 s20, s20, ttmp9
	s_delay_alu instid0(VALU_DEP_1)
	v_and_b32_e32 v7, 14, v7
	v_mad_co_u64_u32 v[0:1], null, s2, 36, v[0:1]
	s_mul_hi_u32 s2, s7, s16
	s_mul_i32 s7, s19, s4
	s_wait_alu 0xfffe
	s_add_co_i32 s2, s16, s2
	v_lshlrev_b32_e32 v7, 1, v7
	s_wait_alu 0xfffe
	s_lshr_b32 s2, s2, s21
	v_mad_co_u64_u32 v[0:1], null, v6, 36, v[0:1]
	s_wait_alu 0xfffe
	s_mul_i32 s2, s2, s12
	v_lshlrev_b32_e32 v7, 1, v7
	s_wait_alu 0xfffe
	s_add_co_i32 s2, s2, s20
	s_wait_alu 0xfffe
	s_add_co_i32 s7, s7, s2
	s_wait_kmcnt 0x0
	v_add_co_u32 v0, vcc_lo, s10, v0
	s_delay_alu instid0(VALU_DEP_1) | instskip(NEXT) | instid1(VALU_DEP_2)
	v_add_co_ci_u32_e64 v1, null, s11, v1, vcc_lo
	v_add_co_u32 v0, vcc_lo, v0, 32
	s_wait_alu 0xfffd
	s_delay_alu instid0(VALU_DEP_2)
	v_add_co_ci_u32_e64 v1, null, 0, v1, vcc_lo
.LBB170_7:                              ; =>This Inner Loop Header: Depth=1
	v_add_nc_u32_e32 v8, s7, v5
	s_getpc_b64 s[4:5]
	s_sext_i32_i16 s5, s5
	s_add_co_u32 s4, s4, _ZL10iq2xs_grid@rel32@lo+8
	s_add_co_ci_u32 s5, s5, _ZL10iq2xs_grid@rel32@hi+16
	v_add_nc_u32_e32 v5, 4, v5
	v_mad_co_i64_i32 v[9:10], null, 0x4a, v8, s[8:9]
	s_delay_alu instid0(VALU_DEP_2)
	v_cmp_le_u32_e64 s2, s18, v5
	s_or_b32 s3, s2, s3
	v_add_co_u32 v11, vcc_lo, v9, v7
	s_wait_alu 0xfffd
	v_add_co_ci_u32_e64 v12, null, 0, v10, vcc_lo
	global_load_b64 v[17:18], v[11:12], off offset:2
	v_add_co_u32 v11, vcc_lo, v9, v6
	s_wait_alu 0xfffd
	v_add_co_ci_u32_e64 v12, null, 0, v10, vcc_lo
	s_clause 0x1
	global_load_u8 v8, v[11:12], off offset:66
	global_load_u16 v27, v[9:10], off
	s_wait_loadcnt 0x2
	v_and_b32_e32 v9, 0x1ff, v17
	v_lshrrev_b32_e32 v10, 13, v17
	v_and_b32_e32 v11, 0x1ff, v18
	v_lshrrev_b32_e32 v12, 13, v18
	v_bfe_u32 v29, v17, 9, 7
	v_lshlrev_b32_e32 v9, 3, v9
	v_and_b32_e32 v10, 0xff8, v10
	v_lshlrev_b32_e32 v11, 3, v11
	v_and_b32_e32 v12, 0xff8, v12
	v_bcnt_u32_b32 v33, v29, 0
	s_clause 0x3
	global_load_b64 v[19:20], v9, s[4:5]
	global_load_b64 v[21:22], v10, s[4:5]
	;; [unrolled: 1-line block ×4, first 2 shown]
	s_clause 0x2
	global_load_b128 v[9:12], v[0:1], off offset:-32
	global_load_b128 v[13:16], v[0:1], off offset:-16
	global_load_b32 v28, v[0:1], off
	v_lshrrev_b32_e32 v30, 25, v17
	v_bfe_u32 v31, v18, 9, 7
	v_lshrrev_b32_e32 v32, 25, v18
	v_and_b32_e32 v33, 1, v33
	s_delay_alu instid0(VALU_DEP_4) | instskip(NEXT) | instid1(VALU_DEP_4)
	v_bcnt_u32_b32 v30, v30, 0
	v_bcnt_u32_b32 v34, v31, 0
	s_delay_alu instid0(VALU_DEP_4) | instskip(NEXT) | instid1(VALU_DEP_4)
	v_bcnt_u32_b32 v32, v32, 0
	v_lshl_or_b32 v29, v33, 7, v29
	s_delay_alu instid0(VALU_DEP_4) | instskip(NEXT) | instid1(VALU_DEP_4)
	v_and_b32_e32 v30, 1, v30
	v_and_b32_e32 v34, 1, v34
	s_delay_alu instid0(VALU_DEP_4) | instskip(NEXT) | instid1(VALU_DEP_4)
	v_and_b32_e32 v32, 1, v32
	v_mul_lo_u32 v29, 0x1010101, v29
	s_delay_alu instid0(VALU_DEP_4) | instskip(NEXT) | instid1(VALU_DEP_4)
	v_alignbit_b32 v17, v30, v17, 25
	v_lshl_or_b32 v30, v34, 7, v31
	s_delay_alu instid0(VALU_DEP_4) | instskip(NEXT) | instid1(VALU_DEP_3)
	v_alignbit_b32 v18, v32, v18, 25
	v_mul_lo_u32 v17, 0x1010101, v17
	v_and_b32_e32 v31, 0x8040201, v29
	v_and_b32_e32 v34, 0x80402010, v29
	v_mul_lo_u32 v30, 0x1010101, v30
	v_mul_lo_u32 v18, 0x1010101, v18
	v_lshrrev_b32_e32 v32, 18, v29
	v_lshrrev_b16 v47, 8, v31
	v_lshrrev_b32_e32 v31, 24, v31
	v_lshrrev_b16 v49, 8, v34
	v_and_b32_e32 v35, 0x8040201, v17
	v_lshrrev_b32_e32 v50, 24, v34
	v_cmp_ne_u16_e32 vcc_lo, 0, v47
	v_and_b32_e32 v38, 0x80402010, v17
	v_and_b32_e32 v39, 0x8040201, v30
	v_lshrrev_b16 v51, 8, v35
	v_lshrrev_b32_e32 v35, 24, v35
	s_wait_alu 0xfffd
	v_cndmask_b32_e64 v47, 0, -1, vcc_lo
	v_cmp_ne_u16_e32 vcc_lo, 0, v31
	v_lshrrev_b16 v53, 8, v38
	v_lshrrev_b32_e32 v54, 24, v38
	v_lshrrev_b16 v55, 8, v39
	v_and_b32_e32 v42, 0x80402010, v30
	s_wait_alu 0xfffd
	v_cndmask_b32_e64 v31, 0, -1, vcc_lo
	v_cmp_ne_u16_e32 vcc_lo, 0, v49
	v_lshrrev_b32_e32 v39, 24, v39
	v_and_b32_e32 v43, 0x8040201, v18
	v_lshrrev_b16 v57, 8, v42
	v_lshrrev_b32_e32 v58, 24, v42
	s_wait_alu 0xfffd
	v_cndmask_b32_e64 v49, 0, -1, vcc_lo
	v_cmp_ne_u16_e32 vcc_lo, 0, v50
	v_lshrrev_b16 v59, 8, v43
	v_and_b32_e32 v46, 0x80402010, v18
	v_lshrrev_b32_e32 v43, 24, v43
	v_bfe_i32 v33, v29, 0, 1
	s_wait_alu 0xfffd
	v_cndmask_b32_e64 v50, 0, -1, vcc_lo
	v_cmp_ne_u16_e32 vcc_lo, 0, v51
	v_lshrrev_b16 v61, 8, v46
	v_lshrrev_b32_e32 v29, 22, v29
	v_lshrrev_b32_e32 v36, 18, v17
	v_bfe_i32 v37, v17, 0, 1
	s_wait_alu 0xfffd
	v_cndmask_b32_e64 v51, 0, -1, vcc_lo
	v_cmp_ne_u16_e32 vcc_lo, 0, v35
	v_lshrrev_b32_e32 v17, 22, v17
	v_lshrrev_b32_e32 v40, 18, v30
	v_lshrrev_b16 v34, 4, v34
	v_lshrrev_b16 v38, 4, v38
	s_wait_alu 0xfffd
	v_cndmask_b32_e64 v35, 0, -1, vcc_lo
	v_cmp_ne_u16_e32 vcc_lo, 0, v53
	v_lshrrev_b32_e32 v62, 24, v46
	v_bfe_i32 v41, v30, 0, 1
	v_lshrrev_b32_e32 v30, 22, v30
	v_lshrrev_b32_e32 v44, 18, v18
	s_wait_alu 0xfffd
	v_cndmask_b32_e64 v53, 0, -1, vcc_lo
	v_cmp_ne_u16_e32 vcc_lo, 0, v54
	v_bfe_i32 v45, v18, 0, 1
	v_lshrrev_b32_e32 v18, 22, v18
	v_bfe_i32 v32, v32, 0, 1
	v_bfe_i32 v29, v29, 0, 1
	s_wait_alu 0xfffd
	v_cndmask_b32_e64 v54, 0, -1, vcc_lo
	v_cmp_ne_u16_e32 vcc_lo, 0, v55
	v_bfe_i32 v36, v36, 0, 1
	v_bfe_i32 v17, v17, 0, 1
	;; [unrolled: 1-line block ×3, first 2 shown]
	v_lshrrev_b16 v42, 4, v42
	s_wait_alu 0xfffd
	v_cndmask_b32_e64 v55, 0, -1, vcc_lo
	v_cmp_ne_u16_e32 vcc_lo, 0, v39
	v_lshrrev_b16 v46, 4, v46
	v_bfe_i32 v34, v34, 0, 1
	v_bfe_i32 v38, v38, 0, 1
	v_and_b32_e32 v48, 0xff, v33
	s_wait_alu 0xfffd
	v_cndmask_b32_e64 v39, 0, -1, vcc_lo
	v_cmp_ne_u16_e32 vcc_lo, 0, v57
	v_and_b32_e32 v52, 0xff, v37
	v_and_b32_e32 v56, 0xff, v41
	v_bfe_i32 v30, v30, 0, 1
	v_bfe_i32 v44, v44, 0, 1
	s_wait_alu 0xfffd
	v_cndmask_b32_e64 v57, 0, -1, vcc_lo
	v_cmp_ne_u16_e32 vcc_lo, 0, v58
	v_bfe_i32 v18, v18, 0, 1
	v_and_b32_e32 v63, 0xff, v32
	v_and_b32_e32 v64, 0xff, v29
	;; [unrolled: 1-line block ×3, first 2 shown]
	s_wait_alu 0xfffd
	v_cndmask_b32_e64 v58, 0, -1, vcc_lo
	v_cmp_ne_u16_e32 vcc_lo, 0, v59
	v_and_b32_e32 v66, 0xff, v17
	v_and_b32_e32 v67, 0xff, v40
	v_bfe_i32 v42, v42, 0, 1
	v_bfe_i32 v46, v46, 0, 1
	s_wait_alu 0xfffd
	v_cndmask_b32_e64 v59, 0, -1, vcc_lo
	v_cmp_ne_u16_e32 vcc_lo, 0, v43
	v_lshlrev_b16 v47, 8, v47
	v_lshlrev_b16 v31, 8, v31
	v_and_b32_e32 v71, 0xff, v34
	v_lshlrev_b16 v49, 8, v49
	s_wait_alu 0xfffd
	v_cndmask_b32_e64 v43, 0, -1, vcc_lo
	v_cmp_ne_u16_e32 vcc_lo, 0, v61
	v_lshlrev_b16 v50, 8, v50
	v_lshlrev_b16 v51, 8, v51
	;; [unrolled: 1-line block ×3, first 2 shown]
	v_and_b32_e32 v72, 0xff, v38
	s_wait_alu 0xfffd
	v_cndmask_b32_e64 v61, 0, -1, vcc_lo
	v_cmp_ne_u16_e32 vcc_lo, 0, v62
	v_lshlrev_b16 v53, 8, v53
	v_lshlrev_b16 v54, 8, v54
	;; [unrolled: 1-line block ×4, first 2 shown]
	s_wait_alu 0xfffd
	v_cndmask_b32_e64 v62, 0, -1, vcc_lo
	v_and_b32_e32 v60, 0xff, v45
	v_and_b32_e32 v68, 0xff, v30
	v_and_b32_e32 v69, 0xff, v44
	v_and_b32_e32 v70, 0xff, v18
	v_and_b32_e32 v73, 0xff, v42
	v_lshlrev_b16 v57, 8, v57
	v_lshlrev_b16 v58, 8, v58
	;; [unrolled: 1-line block ×4, first 2 shown]
	v_and_b32_e32 v74, 0xff, v46
	v_lshlrev_b16 v61, 8, v61
	v_lshlrev_b16 v62, 8, v62
	v_or_b32_e32 v48, v48, v47
	v_or_b32_e32 v63, v63, v31
	;; [unrolled: 1-line block ×16, first 2 shown]
	v_and_b32_e32 v48, 0xffff, v48
	v_lshlrev_b32_e32 v63, 16, v63
	v_and_b32_e32 v71, 0xffff, v71
	v_lshlrev_b32_e32 v64, 16, v64
	v_and_b32_e32 v52, 0xffff, v52
	v_lshlrev_b32_e32 v65, 16, v65
	v_and_b32_e32 v72, 0xffff, v72
	v_lshlrev_b32_e32 v66, 16, v66
	v_and_b32_e32 v56, 0xffff, v56
	v_lshlrev_b32_e32 v67, 16, v67
	v_and_b32_e32 v73, 0xffff, v73
	v_lshlrev_b32_e32 v68, 16, v68
	v_and_b32_e32 v60, 0xffff, v60
	v_lshlrev_b32_e32 v69, 16, v69
	v_and_b32_e32 v74, 0xffff, v74
	v_lshlrev_b32_e32 v70, 16, v70
	v_or_b32_e32 v48, v48, v63
	v_or_b32_e32 v63, v71, v64
	;; [unrolled: 1-line block ×8, first 2 shown]
	v_lshlrev_b16 v33, 8, v33
	v_lshlrev_b16 v37, 8, v37
	v_lshlrev_b16 v41, 8, v41
	v_lshlrev_b16 v34, 8, v34
	v_lshlrev_b16 v38, 8, v38
	v_lshlrev_b16 v32, 8, v32
	v_lshlrev_b16 v29, 8, v29
	v_lshlrev_b16 v36, 8, v36
	v_lshlrev_b16 v40, 8, v40
	v_lshlrev_b16 v42, 8, v42
	v_lshlrev_b16 v45, 8, v45
	v_lshlrev_b16 v30, 8, v30
	v_lshlrev_b16 v44, 8, v44
	v_lshlrev_b16 v46, 8, v46
	v_lshlrev_b16 v17, 8, v17
	v_lshlrev_b16 v18, 8, v18
	v_add_co_u32 v0, vcc_lo, 0x480, v0
	s_wait_alu 0xfffd
	v_add_co_ci_u32_e64 v1, null, 0, v1, vcc_lo
	s_wait_loadcnt 0x6
	v_xor_b32_e32 v19, v19, v48
	v_xor_b32_e32 v20, v20, v63
	s_wait_loadcnt 0x5
	v_xor_b32_e32 v21, v21, v52
	v_xor_b32_e32 v22, v22, v64
	;; [unrolled: 3-line block ×4, first 2 shown]
	v_lshrrev_b32_e32 v48, 16, v19
	v_and_b32_e32 v52, 0xffffff00, v19
	v_lshlrev_b16 v19, 8, v19
	v_lshrrev_b32_e32 v56, 16, v20
	v_and_b32_e32 v60, 0xffffff00, v20
	v_lshlrev_b16 v20, 8, v20
	;; [unrolled: 3-line block ×6, first 2 shown]
	v_sub_nc_i16 v47, v52, v47 clamp
	v_sub_nc_i16 v19, v19, v33 clamp
	v_and_b32_e32 v33, 0xffffff00, v48
	v_lshlrev_b16 v48, 8, v48
	v_sub_nc_i16 v20, v20, v34 clamp
	v_and_b32_e32 v34, 0xffffff00, v56
	v_lshlrev_b16 v52, 8, v56
	;; [unrolled: 3-line block ×3, first 2 shown]
	v_sub_nc_i16 v22, v22, v38 clamp
	v_and_b32_e32 v38, 0xffffff00, v65
	v_sub_nc_i16 v23, v23, v41 clamp
	v_and_b32_e32 v41, 0xffffff00, v67
	v_lshlrev_b16 v63, 8, v67
	v_lshrrev_b32_e32 v71, 16, v25
	v_and_b32_e32 v72, 0xffffff00, v25
	v_lshlrev_b16 v25, 8, v25
	v_sub_nc_i16 v51, v64, v51 clamp
	v_sub_nc_i16 v55, v68, v55 clamp
	;; [unrolled: 1-line block ×3, first 2 shown]
	v_and_b32_e32 v42, 0xffffff00, v69
	v_lshlrev_b16 v64, 8, v69
	v_sub_nc_i16 v31, v33, v31 clamp
	v_sub_nc_i16 v32, v48, v32 clamp
	;; [unrolled: 1-line block ×9, first 2 shown]
	v_lshrrev_b32_e32 v73, 16, v26
	v_and_b32_e32 v74, 0xffffff00, v26
	v_lshlrev_b16 v26, 8, v26
	v_sub_nc_i16 v49, v60, v49 clamp
	v_lshlrev_b16 v60, 8, v65
	v_sub_nc_i16 v57, v70, v57 clamp
	v_sub_nc_i16 v25, v25, v45 clamp
	v_and_b32_e32 v45, 0xffffff00, v71
	v_lshlrev_b16 v65, 8, v71
	v_perm_b32 v19, v19, v47, 0xc0c0105
	v_perm_b32 v23, v23, v55, 0xc0c0105
	v_sub_nc_i16 v39, v42, v58 clamp
	v_sub_nc_i16 v30, v64, v30 clamp
	v_perm_b32 v31, v32, v31, 0xc0c0105
	v_perm_b32 v29, v29, v33, 0xc0c0105
	;; [unrolled: 1-line block ×3, first 2 shown]
	v_sub_nc_i16 v53, v66, v53 clamp
	v_sub_nc_i16 v59, v72, v59 clamp
	;; [unrolled: 1-line block ×3, first 2 shown]
	v_and_b32_e32 v46, 0xffffff00, v73
	v_lshlrev_b16 v66, 8, v73
	v_perm_b32 v20, v20, v49, 0xc0c0105
	v_perm_b32 v24, v24, v57, 0xc0c0105
	v_sub_nc_i16 v40, v45, v43 clamp
	v_sub_nc_i16 v41, v65, v44 clamp
	v_perm_b32 v30, v30, v39, 0xc0c0105
	v_lshl_or_b32 v19, v31, 16, v19
	v_lshl_or_b32 v23, v33, 16, v23
	v_sub_nc_i16 v61, v74, v61 clamp
	v_perm_b32 v21, v21, v51, 0xc0c0105
	v_sub_nc_i16 v17, v60, v17 clamp
	v_perm_b32 v25, v25, v59, 0xc0c0105
	v_sub_nc_i16 v42, v46, v62 clamp
	v_sub_nc_i16 v18, v66, v18 clamp
	v_perm_b32 v32, v35, v34, 0xc0c0105
	v_perm_b32 v34, v41, v40, 0xc0c0105
	v_lshl_or_b32 v20, v29, 16, v20
	v_lshl_or_b32 v24, v30, 16, v24
	s_wait_loadcnt 0x2
	v_dot4_i32_iu8 v10, v19, v10, 0 neg_lo:[1,1,0]
	s_wait_loadcnt 0x1
	v_dot4_i32_iu8 v14, v23, v14, 0 neg_lo:[1,1,0]
	v_perm_b32 v22, v22, v53, 0xc0c0105
	v_perm_b32 v26, v26, v61, 0xc0c0105
	;; [unrolled: 1-line block ×4, first 2 shown]
	v_lshl_or_b32 v19, v32, 16, v21
	v_lshl_or_b32 v21, v34, 16, v25
	v_dot4_i32_iu8 v10, v20, v11, v10 neg_lo:[1,1,0]
	v_dot4_i32_iu8 v11, v24, v15, v14 neg_lo:[1,1,0]
	v_lshl_or_b32 v14, v17, 16, v22
	v_lshl_or_b32 v15, v18, 16, v26
	v_cvt_f32_f16_e32 v9, v9
	v_dot4_i32_iu8 v10, v19, v12, v10 neg_lo:[1,1,0]
	v_dot4_i32_iu8 v11, v21, v16, v11 neg_lo:[1,1,0]
	s_delay_alu instid0(VALU_DEP_2) | instskip(SKIP_1) | instid1(VALU_DEP_2)
	v_dot4_i32_iu8 v10, v14, v13, v10 neg_lo:[1,1,0]
	s_wait_loadcnt 0x0
	v_dot4_i32_iu8 v11, v15, v28, v11 neg_lo:[1,1,0]
	v_and_b32_e32 v13, 15, v8
	v_lshrrev_b32_e32 v8, 4, v8
	s_delay_alu instid0(VALU_DEP_3) | instskip(NEXT) | instid1(VALU_DEP_3)
	v_add_nc_u32_e32 v12, v11, v10
	v_mul_lo_u32 v10, v10, v13
	s_delay_alu instid0(VALU_DEP_3) | instskip(NEXT) | instid1(VALU_DEP_3)
	v_mul_lo_u32 v8, v11, v8
	v_lshrrev_b32_e32 v14, 31, v12
	s_delay_alu instid0(VALU_DEP_1) | instskip(NEXT) | instid1(VALU_DEP_1)
	v_add_nc_u32_e32 v12, v12, v14
	v_ashrrev_i32_e32 v11, 1, v12
	s_delay_alu instid0(VALU_DEP_1) | instskip(NEXT) | instid1(VALU_DEP_1)
	v_add3_u32 v8, v8, v10, v11
	v_ashrrev_i32_e32 v10, 31, v8
	s_delay_alu instid0(VALU_DEP_1) | instskip(NEXT) | instid1(VALU_DEP_1)
	v_lshrrev_b32_e32 v10, 30, v10
	v_add_nc_u32_e32 v8, v8, v10
	v_cvt_f32_f16_e32 v10, v27
	s_delay_alu instid0(VALU_DEP_2) | instskip(NEXT) | instid1(VALU_DEP_2)
	v_ashrrev_i32_e32 v8, 2, v8
	v_mul_f32_e32 v9, v10, v9
	s_delay_alu instid0(VALU_DEP_2) | instskip(NEXT) | instid1(VALU_DEP_1)
	v_cvt_f32_i32_e32 v8, v8
	v_fmac_f32_e32 v4, v9, v8
	s_wait_alu 0xfffe
	s_and_not1_b32 exec_lo, exec_lo, s3
	s_cbranch_execnz .LBB170_7
; %bb.8:
	s_or_b32 exec_lo, exec_lo, s3
.LBB170_9:
	s_delay_alu instid0(SALU_CYCLE_1)
	s_or_b32 exec_lo, exec_lo, s17
	; wave barrier
	global_inv scope:SCOPE_SE
	s_mov_b32 s2, exec_lo
	v_cmpx_eq_u32_e32 0, v3
	s_cbranch_execz .LBB170_12
; %bb.10:
	v_mbcnt_lo_u32_b32 v0, -1, 0
	s_delay_alu instid0(VALU_DEP_1) | instskip(SKIP_1) | instid1(VALU_DEP_2)
	v_xor_b32_e32 v1, 16, v0
	v_xor_b32_e32 v3, 8, v0
	v_cmp_gt_i32_e32 vcc_lo, 32, v1
	s_wait_alu 0xfffd
	v_cndmask_b32_e32 v1, v0, v1, vcc_lo
	s_delay_alu instid0(VALU_DEP_3) | instskip(NEXT) | instid1(VALU_DEP_2)
	v_cmp_gt_i32_e32 vcc_lo, 32, v3
	v_lshlrev_b32_e32 v1, 2, v1
	s_wait_alu 0xfffd
	v_cndmask_b32_e32 v3, v0, v3, vcc_lo
	ds_bpermute_b32 v1, v1, v4
	v_lshlrev_b32_e32 v3, 2, v3
	s_wait_dscnt 0x0
	v_add_f32_e32 v1, v4, v1
	v_xor_b32_e32 v4, 4, v0
	ds_bpermute_b32 v3, v3, v1
	v_cmp_gt_i32_e32 vcc_lo, 32, v4
	s_wait_alu 0xfffd
	v_cndmask_b32_e32 v4, v0, v4, vcc_lo
	s_wait_dscnt 0x0
	s_delay_alu instid0(VALU_DEP_1) | instskip(SKIP_2) | instid1(VALU_DEP_1)
	v_dual_add_f32 v1, v1, v3 :: v_dual_lshlrev_b32 v4, 2, v4
	ds_bpermute_b32 v3, v4, v1
	v_xor_b32_e32 v4, 2, v0
	v_cmp_gt_i32_e32 vcc_lo, 32, v4
	s_wait_alu 0xfffd
	v_cndmask_b32_e32 v4, v0, v4, vcc_lo
	s_wait_dscnt 0x0
	s_delay_alu instid0(VALU_DEP_1) | instskip(SKIP_2) | instid1(VALU_DEP_1)
	v_dual_add_f32 v1, v1, v3 :: v_dual_lshlrev_b32 v4, 2, v4
	ds_bpermute_b32 v3, v4, v1
	v_xor_b32_e32 v4, 1, v0
	v_cmp_gt_i32_e32 vcc_lo, 32, v4
	s_wait_alu 0xfffd
	v_cndmask_b32_e32 v0, v0, v4, vcc_lo
	v_cmp_eq_u32_e32 vcc_lo, 0, v2
	s_delay_alu instid0(VALU_DEP_2)
	v_lshlrev_b32_e32 v4, 2, v0
	s_wait_dscnt 0x0
	v_add_f32_e32 v0, v1, v3
	ds_bpermute_b32 v1, v4, v0
	s_and_b32 exec_lo, exec_lo, vcc_lo
	s_cbranch_execz .LBB170_12
; %bb.11:
	s_load_b64 s[0:1], s[0:1], 0x38
	s_wait_kmcnt 0x0
	s_mul_i32 s2, s6, s15
	s_mul_i32 s3, s14, s16
	s_wait_alu 0xfffe
	s_add_co_i32 s2, s2, ttmp9
	s_wait_dscnt 0x0
	v_dual_add_f32 v0, v0, v1 :: v_dual_mov_b32 v1, 0
	s_wait_alu 0xfffe
	s_add_co_i32 s2, s2, s3
	s_mov_b32 s3, 0
	s_wait_alu 0xfffe
	s_lshl_b64 s[2:3], s[2:3], 2
	s_wait_alu 0xfffe
	s_add_nc_u64 s[0:1], s[0:1], s[2:3]
	global_store_b32 v1, v0, s[0:1]
.LBB170_12:
	s_endpgm
.LBB170_13:
                                        ; implicit-def: $sgpr19
	s_clause 0x1
	s_load_b128 s[4:7], s[0:1], 0x68
	s_load_b32 s20, s[0:1], 0x50
	s_branch .LBB170_2
	.section	.rodata,"a",@progbits
	.p2align	6, 0x0
	.amdhsa_kernel _ZL13mul_mat_vec_qIL9ggml_type17ELi1ELb0ELb1EEvPKvS2_PKi31ggml_cuda_mm_fusion_args_devicePfj15HIP_vector_typeIjLj3EEjjjS8_jjjS8_jjjj
		.amdhsa_group_segment_fixed_size 0
		.amdhsa_private_segment_fixed_size 0
		.amdhsa_kernarg_size 144
		.amdhsa_user_sgpr_count 2
		.amdhsa_user_sgpr_dispatch_ptr 0
		.amdhsa_user_sgpr_queue_ptr 0
		.amdhsa_user_sgpr_kernarg_segment_ptr 1
		.amdhsa_user_sgpr_dispatch_id 0
		.amdhsa_user_sgpr_private_segment_size 0
		.amdhsa_wavefront_size32 1
		.amdhsa_uses_dynamic_stack 0
		.amdhsa_enable_private_segment 0
		.amdhsa_system_sgpr_workgroup_id_x 1
		.amdhsa_system_sgpr_workgroup_id_y 1
		.amdhsa_system_sgpr_workgroup_id_z 1
		.amdhsa_system_sgpr_workgroup_info 0
		.amdhsa_system_vgpr_workitem_id 1
		.amdhsa_next_free_vgpr 75
		.amdhsa_next_free_sgpr 22
		.amdhsa_reserve_vcc 1
		.amdhsa_float_round_mode_32 0
		.amdhsa_float_round_mode_16_64 0
		.amdhsa_float_denorm_mode_32 3
		.amdhsa_float_denorm_mode_16_64 3
		.amdhsa_fp16_overflow 0
		.amdhsa_workgroup_processor_mode 1
		.amdhsa_memory_ordered 1
		.amdhsa_forward_progress 1
		.amdhsa_inst_pref_size 28
		.amdhsa_round_robin_scheduling 0
		.amdhsa_exception_fp_ieee_invalid_op 0
		.amdhsa_exception_fp_denorm_src 0
		.amdhsa_exception_fp_ieee_div_zero 0
		.amdhsa_exception_fp_ieee_overflow 0
		.amdhsa_exception_fp_ieee_underflow 0
		.amdhsa_exception_fp_ieee_inexact 0
		.amdhsa_exception_int_div_zero 0
	.end_amdhsa_kernel
	.section	.text._ZL13mul_mat_vec_qIL9ggml_type17ELi1ELb0ELb1EEvPKvS2_PKi31ggml_cuda_mm_fusion_args_devicePfj15HIP_vector_typeIjLj3EEjjjS8_jjjS8_jjjj,"axG",@progbits,_ZL13mul_mat_vec_qIL9ggml_type17ELi1ELb0ELb1EEvPKvS2_PKi31ggml_cuda_mm_fusion_args_devicePfj15HIP_vector_typeIjLj3EEjjjS8_jjjS8_jjjj,comdat
.Lfunc_end170:
	.size	_ZL13mul_mat_vec_qIL9ggml_type17ELi1ELb0ELb1EEvPKvS2_PKi31ggml_cuda_mm_fusion_args_devicePfj15HIP_vector_typeIjLj3EEjjjS8_jjjS8_jjjj, .Lfunc_end170-_ZL13mul_mat_vec_qIL9ggml_type17ELi1ELb0ELb1EEvPKvS2_PKi31ggml_cuda_mm_fusion_args_devicePfj15HIP_vector_typeIjLj3EEjjjS8_jjjS8_jjjj
                                        ; -- End function
	.set _ZL13mul_mat_vec_qIL9ggml_type17ELi1ELb0ELb1EEvPKvS2_PKi31ggml_cuda_mm_fusion_args_devicePfj15HIP_vector_typeIjLj3EEjjjS8_jjjS8_jjjj.num_vgpr, 75
	.set _ZL13mul_mat_vec_qIL9ggml_type17ELi1ELb0ELb1EEvPKvS2_PKi31ggml_cuda_mm_fusion_args_devicePfj15HIP_vector_typeIjLj3EEjjjS8_jjjS8_jjjj.num_agpr, 0
	.set _ZL13mul_mat_vec_qIL9ggml_type17ELi1ELb0ELb1EEvPKvS2_PKi31ggml_cuda_mm_fusion_args_devicePfj15HIP_vector_typeIjLj3EEjjjS8_jjjS8_jjjj.numbered_sgpr, 22
	.set _ZL13mul_mat_vec_qIL9ggml_type17ELi1ELb0ELb1EEvPKvS2_PKi31ggml_cuda_mm_fusion_args_devicePfj15HIP_vector_typeIjLj3EEjjjS8_jjjS8_jjjj.num_named_barrier, 0
	.set _ZL13mul_mat_vec_qIL9ggml_type17ELi1ELb0ELb1EEvPKvS2_PKi31ggml_cuda_mm_fusion_args_devicePfj15HIP_vector_typeIjLj3EEjjjS8_jjjS8_jjjj.private_seg_size, 0
	.set _ZL13mul_mat_vec_qIL9ggml_type17ELi1ELb0ELb1EEvPKvS2_PKi31ggml_cuda_mm_fusion_args_devicePfj15HIP_vector_typeIjLj3EEjjjS8_jjjS8_jjjj.uses_vcc, 1
	.set _ZL13mul_mat_vec_qIL9ggml_type17ELi1ELb0ELb1EEvPKvS2_PKi31ggml_cuda_mm_fusion_args_devicePfj15HIP_vector_typeIjLj3EEjjjS8_jjjS8_jjjj.uses_flat_scratch, 0
	.set _ZL13mul_mat_vec_qIL9ggml_type17ELi1ELb0ELb1EEvPKvS2_PKi31ggml_cuda_mm_fusion_args_devicePfj15HIP_vector_typeIjLj3EEjjjS8_jjjS8_jjjj.has_dyn_sized_stack, 0
	.set _ZL13mul_mat_vec_qIL9ggml_type17ELi1ELb0ELb1EEvPKvS2_PKi31ggml_cuda_mm_fusion_args_devicePfj15HIP_vector_typeIjLj3EEjjjS8_jjjS8_jjjj.has_recursion, 0
	.set _ZL13mul_mat_vec_qIL9ggml_type17ELi1ELb0ELb1EEvPKvS2_PKi31ggml_cuda_mm_fusion_args_devicePfj15HIP_vector_typeIjLj3EEjjjS8_jjjS8_jjjj.has_indirect_call, 0
	.section	.AMDGPU.csdata,"",@progbits
; Kernel info:
; codeLenInByte = 3492
; TotalNumSgprs: 24
; NumVgprs: 75
; ScratchSize: 0
; MemoryBound: 0
; FloatMode: 240
; IeeeMode: 1
; LDSByteSize: 0 bytes/workgroup (compile time only)
; SGPRBlocks: 0
; VGPRBlocks: 9
; NumSGPRsForWavesPerEU: 24
; NumVGPRsForWavesPerEU: 75
; Occupancy: 16
; WaveLimiterHint : 0
; COMPUTE_PGM_RSRC2:SCRATCH_EN: 0
; COMPUTE_PGM_RSRC2:USER_SGPR: 2
; COMPUTE_PGM_RSRC2:TRAP_HANDLER: 0
; COMPUTE_PGM_RSRC2:TGID_X_EN: 1
; COMPUTE_PGM_RSRC2:TGID_Y_EN: 1
; COMPUTE_PGM_RSRC2:TGID_Z_EN: 1
; COMPUTE_PGM_RSRC2:TIDIG_COMP_CNT: 1
	.section	.text._ZL13mul_mat_vec_qIL9ggml_type17ELi1ELb1ELb0EEvPKvS2_PKi31ggml_cuda_mm_fusion_args_devicePfj15HIP_vector_typeIjLj3EEjjjS8_jjjS8_jjjj,"axG",@progbits,_ZL13mul_mat_vec_qIL9ggml_type17ELi1ELb1ELb0EEvPKvS2_PKi31ggml_cuda_mm_fusion_args_devicePfj15HIP_vector_typeIjLj3EEjjjS8_jjjS8_jjjj,comdat
	.globl	_ZL13mul_mat_vec_qIL9ggml_type17ELi1ELb1ELb0EEvPKvS2_PKi31ggml_cuda_mm_fusion_args_devicePfj15HIP_vector_typeIjLj3EEjjjS8_jjjS8_jjjj ; -- Begin function _ZL13mul_mat_vec_qIL9ggml_type17ELi1ELb1ELb0EEvPKvS2_PKi31ggml_cuda_mm_fusion_args_devicePfj15HIP_vector_typeIjLj3EEjjjS8_jjjS8_jjjj
	.p2align	8
	.type	_ZL13mul_mat_vec_qIL9ggml_type17ELi1ELb1ELb0EEvPKvS2_PKi31ggml_cuda_mm_fusion_args_devicePfj15HIP_vector_typeIjLj3EEjjjS8_jjjS8_jjjj,@function
_ZL13mul_mat_vec_qIL9ggml_type17ELi1ELb1ELb0EEvPKvS2_PKi31ggml_cuda_mm_fusion_args_devicePfj15HIP_vector_typeIjLj3EEjjjS8_jjjS8_jjjj: ; @_ZL13mul_mat_vec_qIL9ggml_type17ELi1ELb1ELb0EEvPKvS2_PKi31ggml_cuda_mm_fusion_args_devicePfj15HIP_vector_typeIjLj3EEjjjS8_jjjS8_jjjj
; %bb.0:
	s_clause 0x3
	s_load_b256 s[8:15], s[0:1], 0x0
	s_load_b128 s[16:19], s[0:1], 0x20
	s_load_b128 s[20:23], s[0:1], 0x40
	;; [unrolled: 1-line block ×3, first 2 shown]
	s_and_b32 s27, ttmp7, 0xffff
	s_wait_kmcnt 0x0
	s_cmp_lg_u64 s[12:13], 0
	s_cselect_b32 s2, -1, 0
	s_cmp_eq_u64 s[12:13], 0
	s_cbranch_scc1 .LBB171_24
; %bb.1:
	s_lshl_b32 s3, s27, 2
	s_load_b32 s28, s[12:13], s3 offset:0x0
	s_clause 0x1
	s_load_b32 s30, s[0:1], 0x50
	s_load_b32 s29, s[0:1], 0x78
	s_cbranch_execnz .LBB171_3
.LBB171_2:
	s_load_b64 s[12:13], s[0:1], 0x5c
	s_wait_kmcnt 0x0
	s_mul_hi_u32 s3, s12, s27
	s_delay_alu instid0(SALU_CYCLE_1) | instskip(NEXT) | instid1(SALU_CYCLE_1)
	s_add_co_i32 s3, s27, s3
	s_lshr_b32 s28, s3, s13
.LBB171_3:
	s_and_not1_b32 vcc_lo, exec_lo, s2
	s_mov_b32 s3, s27
	s_mov_b32 s31, s27
	s_cbranch_vccnz .LBB171_5
; %bb.4:
	s_mul_hi_u32 s2, s21, s27
	s_wait_kmcnt 0x0
	s_mov_b32 s3, s28
	s_add_co_i32 s2, s27, s2
	s_delay_alu instid0(SALU_CYCLE_1) | instskip(NEXT) | instid1(SALU_CYCLE_1)
	s_lshr_b32 s2, s2, s22
	s_mul_i32 s2, s2, s23
	s_delay_alu instid0(SALU_CYCLE_1)
	s_sub_co_i32 s31, s27, s2
.LBB171_5:
	s_load_b96 s[24:26], s[0:1], 0x80
	v_bfe_u32 v23, v0, 10, 10
	v_dual_mov_b32 v21, 0 :: v_dual_and_b32 v20, 0x3ff, v0
	s_lshr_b32 s21, ttmp7, 16
	s_cmp_lg_u64 s[14:15], 0
	v_mov_b32_e32 v22, 0
	s_delay_alu instid0(VALU_DEP_2) | instskip(SKIP_3) | instid1(VALU_DEP_1)
	v_or_b32_e32 v0, v20, v23
	s_cselect_b32 s2, -1, 0
	s_mov_b32 s23, 0
	s_mul_i32 s12, s3, s6
	v_cmp_eq_u32_e32 vcc_lo, 0, v0
	s_and_b32 s13, s2, vcc_lo
	s_delay_alu instid0(SALU_CYCLE_1)
	s_and_saveexec_b32 s3, s13
	s_cbranch_execz .LBB171_7
; %bb.6:
	s_wait_kmcnt 0x0
	s_mul_i32 s22, s26, s21
	s_mov_b32 s13, s23
	s_lshl_b64 s[22:23], s[22:23], 2
	s_mov_b32 s34, ttmp9
	s_lshl_b64 s[36:37], s[12:13], 2
	s_add_nc_u64 s[14:15], s[14:15], s[22:23]
	s_ashr_i32 s35, ttmp9, 31
	v_lshlrev_b32_e32 v0, 2, v20
	s_add_nc_u64 s[14:15], s[14:15], s[36:37]
	s_lshl_b64 s[22:23], s[34:35], 2
	s_delay_alu instid0(SALU_CYCLE_1)
	s_add_nc_u64 s[14:15], s[14:15], s[22:23]
	global_load_b32 v22, v0, s[14:15]
.LBB171_7:
	s_or_b32 exec_lo, exec_lo, s3
	s_cmp_lg_u64 s[16:17], 0
	s_cselect_b32 s14, -1, 0
	s_cmp_lg_u64 s[18:19], 0
	s_cselect_b32 s3, -1, 0
	s_delay_alu instid0(SALU_CYCLE_1) | instskip(NEXT) | instid1(SALU_CYCLE_1)
	s_and_b32 s13, s3, s14
	s_and_b32 s13, s13, vcc_lo
	s_delay_alu instid0(SALU_CYCLE_1)
	s_and_saveexec_b32 s15, s13
	s_cbranch_execz .LBB171_9
; %bb.8:
	s_wait_kmcnt 0x0
	s_mul_i32 s34, s26, s21
	s_mov_b32 s35, 0
	s_mov_b32 s22, ttmp9
	s_lshl_b64 s[36:37], s[34:35], 2
	s_mov_b32 s13, s35
	s_add_nc_u64 s[18:19], s[18:19], s[36:37]
	s_lshl_b64 s[12:13], s[12:13], 2
	s_ashr_i32 s23, ttmp9, 31
	v_lshlrev_b32_e32 v0, 2, v20
	s_add_nc_u64 s[12:13], s[18:19], s[12:13]
	s_lshl_b64 s[18:19], s[22:23], 2
	s_delay_alu instid0(SALU_CYCLE_1)
	s_add_nc_u64 s[12:13], s[12:13], s[18:19]
	global_load_b32 v21, v0, s[12:13]
.LBB171_9:
	s_or_b32 exec_lo, exec_lo, s15
	v_lshl_add_u32 v0, v23, 5, v20
	v_dual_mov_b32 v26, 0 :: v_dual_mov_b32 v25, 0
	v_cndmask_b32_e64 v24, 0, 1, s14
	s_lshr_b32 s15, s20, 8
	s_delay_alu instid0(VALU_DEP_3) | instskip(SKIP_2) | instid1(VALU_DEP_1)
	v_lshrrev_b32_e32 v27, 3, v0
	s_mov_b32 s18, exec_lo
	s_wait_alu 0xfffe
	v_cmpx_gt_u32_e64 s15, v27
	s_cbranch_execz .LBB171_15
; %bb.10:
	v_lshrrev_b32_e32 v0, 3, v0
	s_mul_i32 s12, s31, s5
	s_mov_b32 s13, 0
	s_wait_kmcnt 0x0
	s_mul_i32 s5, s25, s21
	s_mul_u64 s[22:23], s[12:13], 36
	v_dual_mov_b32 v25, 0 :: v_dual_and_b32 v28, 7, v20
	v_mad_co_u64_u32 v[0:1], null, 0x120, v0, s[22:23]
	v_lshlrev_b32_e32 v2, 1, v20
	s_mul_i32 s30, s30, ttmp9
	s_delay_alu instid0(VALU_DEP_1) | instskip(NEXT) | instid1(VALU_DEP_3)
	v_and_b32_e32 v2, 14, v2
	v_mad_co_u64_u32 v[0:1], null, s5, 36, v[0:1]
	s_mul_hi_u32 s5, s7, s21
	s_mul_i32 s7, s28, s4
	s_wait_alu 0xfffe
	s_add_co_i32 s5, s21, s5
	v_lshlrev_b32_e32 v2, 1, v2
	s_wait_alu 0xfffe
	s_lshr_b32 s4, s5, s29
	v_mov_b32_e32 v26, 0
	v_mad_co_u64_u32 v[0:1], null, v28, 36, v[0:1]
	s_wait_alu 0xfffe
	s_mul_i32 s4, s4, s24
	v_lshlrev_b32_e32 v29, 1, v2
	s_wait_alu 0xfffe
	s_add_co_i32 s4, s4, s30
	s_wait_alu 0xfffe
	s_add_co_i32 s7, s7, s4
	v_add_co_u32 v0, vcc_lo, s10, v0
	s_delay_alu instid0(VALU_DEP_1) | instskip(NEXT) | instid1(VALU_DEP_2)
	v_add_co_ci_u32_e64 v1, null, s11, v1, vcc_lo
	v_add_co_u32 v8, vcc_lo, v0, 32
	s_wait_alu 0xfffd
	s_delay_alu instid0(VALU_DEP_2)
	v_add_co_ci_u32_e64 v9, null, 0, v1, vcc_lo
	s_branch .LBB171_12
.LBB171_11:                             ;   in Loop: Header=BB171_12 Depth=1
	v_bfe_u32 v33, v12, 9, 7
	v_lshrrev_b32_e32 v34, 25, v12
	v_add_nc_u32_e32 v27, 4, v27
	v_add_co_u32 v8, s4, 0x480, v8
	s_delay_alu instid0(VALU_DEP_4) | instskip(NEXT) | instid1(VALU_DEP_4)
	v_bcnt_u32_b32 v35, v33, 0
	v_bcnt_u32_b32 v34, v34, 0
	s_wait_alu 0xf1ff
	v_add_co_ci_u32_e64 v9, null, 0, v9, s4
	s_delay_alu instid0(VALU_DEP_3) | instskip(NEXT) | instid1(VALU_DEP_3)
	v_and_b32_e32 v35, 1, v35
	v_and_b32_e32 v34, 1, v34
	s_delay_alu instid0(VALU_DEP_2) | instskip(NEXT) | instid1(VALU_DEP_2)
	v_lshl_or_b32 v33, v35, 7, v33
	v_alignbit_b32 v12, v34, v12, 25
	s_delay_alu instid0(VALU_DEP_2) | instskip(NEXT) | instid1(VALU_DEP_2)
	v_mul_lo_u32 v33, 0x1010101, v33
	v_mul_lo_u32 v12, 0x1010101, v12
	s_delay_alu instid0(VALU_DEP_2)
	v_and_b32_e32 v34, 0x8040201, v33
	v_and_b32_e32 v37, 0x80402010, v33
	v_lshrrev_b32_e32 v35, 18, v33
	v_bfe_i32 v36, v33, 0, 1
	v_lshrrev_b32_e32 v33, 22, v33
	v_lshrrev_b16 v41, 8, v34
	v_lshrrev_b32_e32 v34, 24, v34
	v_lshrrev_b16 v43, 8, v37
	v_bfe_i32 v35, v35, 0, 1
	v_lshrrev_b32_e32 v44, 24, v37
	v_cmp_ne_u16_e32 vcc_lo, 0, v41
	v_and_b32_e32 v42, 0xff, v36
	v_lshrrev_b16 v37, 4, v37
	v_and_b32_e32 v46, 0xff, v35
	v_and_b32_e32 v38, 0x8040201, v12
	s_wait_alu 0xfffd
	v_cndmask_b32_e64 v41, 0, -1, vcc_lo
	v_cmp_ne_u16_e32 vcc_lo, 0, v34
	v_bfe_i32 v33, v33, 0, 1
	v_bfe_i32 v37, v37, 0, 1
	v_lshrrev_b16 v45, 8, v38
	v_lshlrev_b16 v41, 8, v41
	s_wait_alu 0xfffd
	v_cndmask_b32_e64 v34, 0, -1, vcc_lo
	v_cmp_ne_u16_e32 vcc_lo, 0, v43
	v_and_b32_e32 v47, 0xff, v33
	v_and_b32_e32 v48, 0xff, v37
	v_or_b32_e32 v42, v42, v41
	v_lshlrev_b16 v34, 8, v34
	s_wait_alu 0xfffd
	v_cndmask_b32_e64 v43, 0, -1, vcc_lo
	v_cmp_ne_u16_e32 vcc_lo, 0, v44
	v_lshlrev_b16 v35, 8, v35
	v_and_b32_e32 v42, 0xffff, v42
	v_or_b32_e32 v46, v46, v34
	v_lshlrev_b16 v43, 8, v43
	s_wait_alu 0xfffd
	v_cndmask_b32_e64 v44, 0, -1, vcc_lo
	v_cmp_ne_u16_e32 vcc_lo, 0, v45
	v_lshlrev_b16 v36, 8, v36
	v_lshlrev_b32_e32 v46, 16, v46
	v_or_b32_e32 v48, v48, v43
	v_lshlrev_b16 v44, 8, v44
	s_wait_alu 0xfffd
	v_cndmask_b32_e64 v45, 0, -1, vcc_lo
	v_lshrrev_b32_e32 v38, 24, v38
	v_or_b32_e32 v42, v42, v46
	v_and_b32_e32 v48, 0xffff, v48
	v_or_b32_e32 v47, v47, v44
	v_lshlrev_b16 v37, 8, v37
	v_lshlrev_b16 v33, 8, v33
	s_wait_loadcnt 0x3
	v_xor_b32_e32 v18, v18, v42
	v_lshlrev_b16 v42, 8, v45
	v_lshlrev_b32_e32 v47, 16, v47
	v_lshrrev_b32_e32 v39, 18, v12
	v_cmp_ne_u16_e32 vcc_lo, 0, v38
	v_lshrrev_b32_e32 v45, 16, v18
	v_bfe_i32 v40, v12, 0, 1
	v_or_b32_e32 v47, v48, v47
	v_bfe_i32 v39, v39, 0, 1
	s_wait_alu 0xfffd
	v_cndmask_b32_e64 v38, 0, -1, vcc_lo
	v_and_b32_e32 v50, 0xffffff00, v45
	v_lshlrev_b16 v45, 8, v45
	v_xor_b32_e32 v19, v19, v47
	v_and_b32_e32 v47, 0xffffff00, v18
	v_lshlrev_b16 v18, 8, v18
	v_sub_nc_i16 v34, v50, v34 clamp
	v_sub_nc_i16 v35, v45, v35 clamp
	v_lshrrev_b32_e32 v48, 16, v19
	v_and_b32_e32 v51, 0xffffff00, v19
	v_sub_nc_i16 v41, v47, v41 clamp
	v_sub_nc_i16 v18, v18, v36 clamp
	v_lshlrev_b16 v19, 8, v19
	v_perm_b32 v34, v35, v34, 0xc0c0105
	v_sub_nc_i16 v36, v51, v43 clamp
	v_and_b32_e32 v43, 0xffffff00, v48
	v_lshlrev_b16 v35, 8, v48
	v_perm_b32 v18, v18, v41, 0xc0c0105
	v_sub_nc_i16 v19, v19, v37 clamp
	v_and_b32_e32 v49, 0xff, v40
	v_sub_nc_i16 v37, v43, v44 clamp
	v_sub_nc_i16 v33, v35, v33 clamp
	v_lshl_or_b32 v18, v34, 16, v18
	v_perm_b32 v19, v19, v36, 0xc0c0105
	v_and_b32_e32 v46, 0xff, v39
	v_lshlrev_b16 v38, 8, v38
	v_perm_b32 v33, v33, v37, 0xc0c0105
	v_dot4_i32_iu8 v5, v18, v5, 0 neg_lo:[1,1,0]
	v_bfe_u32 v18, v13, 9, 7
	v_or_b32_e32 v41, v49, v42
	v_or_b32_e32 v45, v46, v38
	v_lshl_or_b32 v19, v33, 16, v19
	v_lshlrev_b16 v39, 8, v39
	v_bcnt_u32_b32 v33, v18, 0
	v_and_b32_e32 v35, 0xffff, v41
	v_lshlrev_b32_e32 v41, 16, v45
	v_dot4_i32_iu8 v5, v19, v6, v5 neg_lo:[1,1,0]
	v_and_b32_e32 v19, 0x80402010, v12
	v_and_b32_e32 v33, 1, v33
	v_lshrrev_b32_e32 v12, 22, v12
	v_or_b32_e32 v34, v35, v41
	v_lshlrev_b16 v35, 8, v40
	v_lshrrev_b16 v37, 8, v19
	v_lshrrev_b16 v36, 4, v19
	v_lshl_or_b32 v18, v33, 7, v18
	s_wait_loadcnt 0x2
	v_xor_b32_e32 v16, v16, v34
	v_lshrrev_b32_e32 v19, 24, v19
	v_cmp_ne_u16_e32 vcc_lo, 0, v37
	v_bfe_i32 v36, v36, 0, 1
	v_mul_lo_u32 v18, 0x1010101, v18
	v_lshrrev_b32_e32 v6, 16, v16
	v_and_b32_e32 v34, 0xffffff00, v16
	s_wait_alu 0xfffd
	v_cndmask_b32_e64 v33, 0, -1, vcc_lo
	v_lshlrev_b16 v16, 8, v16
	v_cmp_ne_u16_e32 vcc_lo, 0, v19
	v_and_b32_e32 v37, 0xff, v36
	v_bfe_i32 v12, v12, 0, 1
	v_lshlrev_b16 v33, 8, v33
	v_sub_nc_i16 v16, v16, v35 clamp
	s_wait_alu 0xfffd
	v_cndmask_b32_e64 v19, 0, -1, vcc_lo
	v_sub_nc_i16 v34, v34, v42 clamp
	v_and_b32_e32 v40, 0xff, v12
	v_or_b32_e32 v35, v37, v33
	v_and_b32_e32 v37, 0x8040201, v18
	v_lshlrev_b16 v19, 8, v19
	v_lshrrev_b32_e32 v43, 18, v18
	v_bfe_i32 v44, v18, 0, 1
	v_and_b32_e32 v35, 0xffff, v35
	v_lshrrev_b16 v42, 8, v37
	v_or_b32_e32 v40, v40, v19
	v_lshrrev_b32_e32 v37, 24, v37
	v_bfe_i32 v43, v43, 0, 1
	v_and_b32_e32 v41, 0xffffff00, v6
	v_cmp_ne_u16_e32 vcc_lo, 0, v42
	v_lshlrev_b32_e32 v40, 16, v40
	v_lshlrev_b16 v6, 8, v6
	v_and_b32_e32 v45, 0xff, v43
	v_lshlrev_b16 v36, 8, v36
	s_wait_alu 0xfffd
	v_cndmask_b32_e64 v42, 0, -1, vcc_lo
	v_cmp_ne_u16_e32 vcc_lo, 0, v37
	v_or_b32_e32 v35, v35, v40
	v_and_b32_e32 v40, 0xff, v44
	v_sub_nc_i16 v6, v6, v39 clamp
	v_lshlrev_b16 v42, 8, v42
	s_wait_alu 0xfffd
	v_cndmask_b32_e64 v37, 0, -1, vcc_lo
	v_xor_b32_e32 v17, v17, v35
	v_sub_nc_i16 v35, v41, v38 clamp
	v_perm_b32 v16, v16, v34, 0xc0c0105
	v_or_b32_e32 v38, v40, v42
	v_lshlrev_b16 v37, 8, v37
	v_and_b32_e32 v39, 0xffffff00, v17
	v_lshlrev_b16 v41, 8, v17
	v_perm_b32 v6, v6, v35, 0xc0c0105
	v_and_b32_e32 v38, 0xffff, v38
	v_or_b32_e32 v40, v45, v37
	v_sub_nc_i16 v33, v39, v33 clamp
	v_sub_nc_i16 v35, v41, v36 clamp
	v_and_b32_e32 v36, 0x80402010, v18
	v_lshl_or_b32 v6, v6, 16, v16
	v_lshlrev_b32_e32 v40, 16, v40
	v_lshrrev_b32_e32 v18, 22, v18
	v_perm_b32 v16, v35, v33, 0xc0c0105
	v_lshrrev_b16 v35, 8, v36
	v_lshrrev_b32_e32 v41, 25, v13
	v_or_b32_e32 v34, v38, v40
	v_bfe_i32 v18, v18, 0, 1
	v_lshrrev_b32_e32 v17, 16, v17
	v_cmp_ne_u16_e32 vcc_lo, 0, v35
	v_bcnt_u32_b32 v41, v41, 0
	s_wait_loadcnt 0x1
	v_xor_b32_e32 v14, v14, v34
	v_lshrrev_b16 v34, 4, v36
	v_lshrrev_b32_e32 v36, 24, v36
	s_wait_alu 0xfffd
	v_cndmask_b32_e64 v35, 0, -1, vcc_lo
	v_and_b32_e32 v40, 0xff, v18
	v_and_b32_e32 v41, 1, v41
	v_bfe_i32 v34, v34, 0, 1
	v_cmp_ne_u16_e32 vcc_lo, 0, v36
	v_lshlrev_b16 v35, 8, v35
	v_and_b32_e32 v38, 0xffffff00, v14
	v_lshrrev_b32_e32 v45, 16, v14
	v_and_b32_e32 v39, 0xff, v34
	s_wait_alu 0xfffd
	v_cndmask_b32_e64 v36, 0, -1, vcc_lo
	v_alignbit_b32 v13, v41, v13, 25
	v_sub_nc_i16 v38, v38, v42 clamp
	v_lshlrev_b16 v14, 8, v14
	v_or_b32_e32 v39, v39, v35
	v_lshlrev_b16 v36, 8, v36
	v_lshlrev_b16 v42, 8, v44
	v_and_b32_e32 v44, 0xffffff00, v45
	v_lshlrev_b16 v45, 8, v45
	v_and_b32_e32 v39, 0xffff, v39
	v_or_b32_e32 v40, v40, v36
	v_lshlrev_b16 v43, 8, v43
	v_mul_lo_u32 v13, 0x1010101, v13
	v_and_b32_e32 v33, 0xffffff00, v17
	v_sub_nc_i16 v14, v14, v42 clamp
	v_lshlrev_b32_e32 v40, 16, v40
	v_sub_nc_i16 v37, v44, v37 clamp
	v_lshlrev_b16 v17, 8, v17
	v_sub_nc_i16 v19, v33, v19 clamp
	v_perm_b32 v14, v14, v38, 0xc0c0105
	v_or_b32_e32 v39, v39, v40
	v_sub_nc_i16 v40, v45, v43 clamp
	v_and_b32_e32 v33, 0x8040201, v13
	v_lshlrev_b16 v12, 8, v12
	v_and_b32_e32 v41, 0x80402010, v13
	v_xor_b32_e32 v15, v15, v39
	v_perm_b32 v37, v40, v37, 0xc0c0105
	v_lshlrev_b16 v34, 8, v34
	v_sub_nc_i16 v12, v17, v12 clamp
	v_bfe_i32 v39, v13, 0, 1
	v_and_b32_e32 v38, 0xffffff00, v15
	v_lshl_or_b32 v14, v37, 16, v14
	v_lshrrev_b16 v37, 8, v33
	v_lshrrev_b32_e32 v33, 24, v33
	v_lshrrev_b16 v43, 8, v41
	v_sub_nc_i16 v17, v38, v35 clamp
	v_lshrrev_b32_e32 v38, 18, v13
	v_cmp_ne_u16_e32 vcc_lo, 0, v37
	v_lshlrev_b16 v35, 8, v15
	v_and_b32_e32 v40, 0xff, v39
	v_lshrrev_b16 v42, 4, v41
	v_bfe_i32 v38, v38, 0, 1
	s_wait_alu 0xfffd
	v_cndmask_b32_e64 v37, 0, -1, vcc_lo
	v_cmp_ne_u16_e32 vcc_lo, 0, v33
	v_sub_nc_i16 v34, v35, v34 clamp
	v_lshrrev_b32_e32 v41, 24, v41
	v_and_b32_e32 v35, 0xff, v38
	v_lshlrev_b16 v37, 8, v37
	s_wait_alu 0xfffd
	v_cndmask_b32_e64 v33, 0, -1, vcc_lo
	v_cmp_ne_u16_e32 vcc_lo, 0, v43
	v_perm_b32 v17, v34, v17, 0xc0c0105
	v_lshrrev_b32_e32 v13, 22, v13
	v_or_b32_e32 v40, v40, v37
	v_lshlrev_b16 v33, 8, v33
	s_wait_alu 0xfffd
	v_cndmask_b32_e64 v43, 0, -1, vcc_lo
	v_cmp_ne_u16_e32 vcc_lo, 0, v41
	v_bfe_i32 v42, v42, 0, 1
	v_and_b32_e32 v40, 0xffff, v40
	v_or_b32_e32 v34, v35, v33
	v_bfe_i32 v13, v13, 0, 1
	s_wait_alu 0xfffd
	v_cndmask_b32_e64 v41, 0, -1, vcc_lo
	v_lshrrev_b32_e32 v15, 16, v15
	v_lshlrev_b16 v43, 8, v43
	v_lshlrev_b32_e32 v34, 16, v34
	v_and_b32_e32 v44, 0xff, v13
	v_lshlrev_b16 v41, 8, v41
	v_and_b32_e32 v35, 0xffffff00, v15
	v_lshlrev_b16 v15, 8, v15
	v_or_b32_e32 v34, v40, v34
	v_and_b32_e32 v40, 0xff, v42
	v_lshlrev_b16 v18, 8, v18
	v_sub_nc_i16 v35, v35, v36 clamp
	v_lshlrev_b16 v39, 8, v39
	s_wait_loadcnt 0x0
	v_xor_b32_e32 v10, v10, v34
	v_or_b32_e32 v34, v40, v43
	v_or_b32_e32 v40, v44, v41
	v_sub_nc_i16 v15, v15, v18 clamp
	v_dot4_i32_iu8 v1, v14, v1, 0 neg_lo:[1,1,0]
	v_and_b32_e32 v18, 0xffffff00, v10
	v_and_b32_e32 v34, 0xffff, v34
	v_lshlrev_b32_e32 v36, 16, v40
	v_lshlrev_b16 v40, 8, v10
	v_lshrrev_b32_e32 v10, 16, v10
	v_perm_b32 v15, v15, v35, 0xc0c0105
	v_sub_nc_i16 v18, v18, v37 clamp
	v_or_b32_e32 v34, v34, v36
	v_sub_nc_i16 v35, v40, v39 clamp
	v_and_b32_e32 v36, 0xffffff00, v10
	v_lshl_or_b32 v15, v15, 16, v17
	v_lshlrev_b16 v10, 8, v10
	v_xor_b32_e32 v11, v11, v34
	v_perm_b32 v14, v35, v18, 0xc0c0105
	v_sub_nc_i16 v17, v36, v33 clamp
	v_lshlrev_b16 v33, 8, v38
	v_lshlrev_b16 v35, 8, v42
	v_lshrrev_b32_e32 v18, 16, v11
	v_and_b32_e32 v34, 0xffffff00, v11
	v_lshlrev_b16 v11, 8, v11
	v_lshlrev_b16 v13, 8, v13
	v_sub_nc_i16 v10, v10, v33 clamp
	v_and_b32_e32 v36, 0xffffff00, v18
	v_lshlrev_b16 v18, 8, v18
	v_sub_nc_i16 v33, v34, v43 clamp
	v_sub_nc_i16 v11, v11, v35 clamp
	v_perm_b32 v10, v10, v17, 0xc0c0105
	v_sub_nc_i16 v34, v36, v41 clamp
	v_sub_nc_i16 v13, v18, v13 clamp
	v_perm_b32 v12, v12, v19, 0xc0c0105
	v_dot4_i32_iu8 v1, v15, v2, v1 neg_lo:[1,1,0]
	v_perm_b32 v2, v11, v33, 0xc0c0105
	v_lshl_or_b32 v10, v10, 16, v14
	v_perm_b32 v11, v13, v34, 0xc0c0105
	v_lshl_or_b32 v12, v12, 16, v16
	v_dot4_i32_iu8 v5, v6, v7, v5 neg_lo:[1,1,0]
	v_bfe_u32 v6, v30, 4, 4
	v_dot4_i32_iu8 v1, v10, v3, v1 neg_lo:[1,1,0]
	v_lshl_or_b32 v2, v11, 16, v2
	v_cmp_le_u32_e32 vcc_lo, s15, v27
	v_dot4_i32_iu8 v0, v12, v0, v5 neg_lo:[1,1,0]
	v_and_b32_e32 v5, 15, v30
	s_delay_alu instid0(VALU_DEP_4) | instskip(SKIP_1) | instid1(VALU_DEP_1)
	v_dot4_i32_iu8 v1, v2, v32, v1 neg_lo:[1,1,0]
	s_or_b32 s13, vcc_lo, s13
	v_add_nc_u32_e32 v2, v1, v0
	s_delay_alu instid0(VALU_DEP_3) | instskip(SKIP_1) | instid1(VALU_DEP_3)
	v_mul_lo_u32 v0, v0, v5
	v_mul_lo_u32 v1, v1, v6
	v_lshrrev_b32_e32 v3, 31, v2
	s_delay_alu instid0(VALU_DEP_1) | instskip(NEXT) | instid1(VALU_DEP_1)
	v_add_nc_u32_e32 v2, v2, v3
	v_ashrrev_i32_e32 v2, 1, v2
	s_delay_alu instid0(VALU_DEP_1) | instskip(NEXT) | instid1(VALU_DEP_1)
	v_add3_u32 v0, v1, v0, v2
	v_ashrrev_i32_e32 v1, 31, v0
	s_delay_alu instid0(VALU_DEP_1) | instskip(NEXT) | instid1(VALU_DEP_1)
	v_lshrrev_b32_e32 v1, 30, v1
	v_add_nc_u32_e32 v0, v0, v1
	v_cvt_f32_f16_e32 v1, v31
	s_delay_alu instid0(VALU_DEP_2) | instskip(NEXT) | instid1(VALU_DEP_2)
	v_ashrrev_i32_e32 v0, 2, v0
	v_mul_f32_e32 v1, v1, v4
	s_delay_alu instid0(VALU_DEP_2) | instskip(NEXT) | instid1(VALU_DEP_1)
	v_cvt_f32_i32_e32 v0, v0
	v_fmac_f32_e32 v26, v1, v0
	s_and_not1_b32 exec_lo, exec_lo, s13
	s_cbranch_execz .LBB171_14
.LBB171_12:                             ; =>This Inner Loop Header: Depth=1
	v_add_nc_u32_e32 v33, s7, v27
	s_getpc_b64 s[4:5]
	s_wait_alu 0xfffe
	s_sext_i32_i16 s5, s5
	s_add_co_u32 s4, s4, _ZL10iq2xs_grid@rel32@lo+12
	s_wait_alu 0xfffe
	s_add_co_ci_u32 s5, s5, _ZL10iq2xs_grid@rel32@hi+24
	v_mad_co_i64_i32 v[0:1], null, 0x4a, v33, s[8:9]
	s_delay_alu instid0(VALU_DEP_1) | instskip(SKIP_1) | instid1(VALU_DEP_2)
	v_add_co_u32 v2, vcc_lo, v0, v29
	s_wait_alu 0xfffd
	v_add_co_ci_u32_e64 v3, null, 0, v1, vcc_lo
	global_load_b64 v[12:13], v[2:3], off offset:2
	v_add_co_u32 v2, vcc_lo, v0, v28
	s_wait_alu 0xfffd
	v_add_co_ci_u32_e64 v3, null, 0, v1, vcc_lo
	s_and_not1_b32 vcc_lo, exec_lo, s14
	s_clause 0x1
	global_load_u8 v30, v[2:3], off offset:66
	global_load_u16 v31, v[0:1], off
	s_clause 0x1
	global_load_b128 v[4:7], v[8:9], off offset:-32
	global_load_b128 v[0:3], v[8:9], off offset:-16
	s_wait_loadcnt 0x4
	v_and_b32_e32 v10, 0x1ff, v12
	v_lshrrev_b32_e32 v11, 13, v12
	v_and_b32_e32 v14, 0x1ff, v13
	v_lshrrev_b32_e32 v15, 13, v13
	s_delay_alu instid0(VALU_DEP_4) | instskip(NEXT) | instid1(VALU_DEP_4)
	v_lshlrev_b32_e32 v10, 3, v10
	v_and_b32_e32 v11, 0xff8, v11
	s_delay_alu instid0(VALU_DEP_4) | instskip(NEXT) | instid1(VALU_DEP_4)
	v_lshlrev_b32_e32 v14, 3, v14
	v_and_b32_e32 v34, 0xff8, v15
	global_load_b32 v32, v[8:9], off
	s_clause 0x3
	global_load_b64 v[18:19], v10, s[4:5]
	global_load_b64 v[16:17], v11, s[4:5]
	;; [unrolled: 1-line block ×4, first 2 shown]
	s_wait_loadcnt 0x6
	v_cvt_f32_f16_e32 v4, v4
	s_wait_alu 0xfffe
	s_cbranch_vccnz .LBB171_11
; %bb.13:                               ;   in Loop: Header=BB171_12 Depth=1
	v_mad_co_i64_i32 v[34:35], null, 0x4a, v33, s[16:17]
	s_delay_alu instid0(VALU_DEP_1) | instskip(SKIP_1) | instid1(VALU_DEP_2)
	v_add_co_u32 v36, vcc_lo, v34, v29
	s_wait_alu 0xfffd
	v_add_co_ci_u32_e64 v37, null, 0, v35, vcc_lo
	v_add_co_u32 v38, vcc_lo, v34, v28
	s_wait_alu 0xfffd
	v_add_co_ci_u32_e64 v39, null, 0, v35, vcc_lo
	s_clause 0x1
	global_load_b64 v[36:37], v[36:37], off offset:2
	global_load_u8 v33, v[38:39], off offset:66
	s_wait_loadcnt 0x1
	v_and_b32_e32 v38, 0x1ff, v36
	v_lshrrev_b32_e32 v39, 13, v36
	v_and_b32_e32 v40, 0x1ff, v37
	v_lshrrev_b32_e32 v41, 13, v37
	v_bfe_u32 v46, v36, 9, 7
	v_lshlrev_b32_e32 v38, 3, v38
	v_and_b32_e32 v42, 0xff8, v39
	v_lshlrev_b32_e32 v43, 3, v40
	v_and_b32_e32 v44, 0xff8, v41
	v_bcnt_u32_b32 v48, v46, 0
	s_clause 0x3
	global_load_b64 v[38:39], v38, s[4:5]
	global_load_b64 v[40:41], v42, s[4:5]
	global_load_b64 v[42:43], v43, s[4:5]
	global_load_b64 v[44:45], v44, s[4:5]
	global_load_u16 v34, v[34:35], off
	v_lshrrev_b32_e32 v47, 25, v36
	v_bfe_u32 v49, v37, 9, 7
	v_and_b32_e32 v48, 1, v48
	v_lshrrev_b32_e32 v50, 25, v37
	s_delay_alu instid0(VALU_DEP_4) | instskip(NEXT) | instid1(VALU_DEP_4)
	v_bcnt_u32_b32 v47, v47, 0
	v_bcnt_u32_b32 v51, v49, 0
	s_delay_alu instid0(VALU_DEP_4) | instskip(NEXT) | instid1(VALU_DEP_4)
	v_lshl_or_b32 v46, v48, 7, v46
	v_bcnt_u32_b32 v50, v50, 0
	s_delay_alu instid0(VALU_DEP_4) | instskip(NEXT) | instid1(VALU_DEP_4)
	v_and_b32_e32 v47, 1, v47
	v_and_b32_e32 v48, 1, v51
	s_delay_alu instid0(VALU_DEP_4) | instskip(NEXT) | instid1(VALU_DEP_4)
	v_mul_lo_u32 v46, 0x1010101, v46
	v_and_b32_e32 v50, 1, v50
	s_delay_alu instid0(VALU_DEP_4) | instskip(NEXT) | instid1(VALU_DEP_4)
	v_alignbit_b32 v36, v47, v36, 25
	v_lshl_or_b32 v47, v48, 7, v49
	s_delay_alu instid0(VALU_DEP_3) | instskip(NEXT) | instid1(VALU_DEP_3)
	v_alignbit_b32 v37, v50, v37, 25
	v_mul_lo_u32 v35, 0x1010101, v36
	s_delay_alu instid0(VALU_DEP_3)
	v_mul_lo_u32 v36, 0x1010101, v47
	v_and_b32_e32 v47, 0x8040201, v46
	v_and_b32_e32 v50, 0x80402010, v46
	v_mul_lo_u32 v37, 0x1010101, v37
	v_lshrrev_b32_e32 v48, 18, v46
	v_bfe_i32 v49, v46, 0, 1
	v_lshrrev_b16 v63, 8, v47
	v_lshrrev_b32_e32 v47, 24, v47
	v_lshrrev_b16 v65, 8, v50
	v_and_b32_e32 v51, 0x8040201, v35
	v_lshrrev_b32_e32 v66, 24, v50
	v_cmp_ne_u16_e32 vcc_lo, 0, v63
	v_and_b32_e32 v54, 0x80402010, v35
	v_and_b32_e32 v55, 0x8040201, v36
	v_lshrrev_b16 v67, 8, v51
	v_lshrrev_b32_e32 v51, 24, v51
	s_wait_alu 0xfffd
	v_cndmask_b32_e64 v63, 0, -1, vcc_lo
	v_cmp_ne_u16_e32 vcc_lo, 0, v47
	v_lshrrev_b16 v69, 8, v54
	v_lshrrev_b32_e32 v70, 24, v54
	v_lshrrev_b16 v71, 8, v55
	v_and_b32_e32 v58, 0x80402010, v36
	s_wait_alu 0xfffd
	v_cndmask_b32_e64 v47, 0, -1, vcc_lo
	v_cmp_ne_u16_e32 vcc_lo, 0, v65
	v_lshrrev_b32_e32 v55, 24, v55
	v_and_b32_e32 v59, 0x8040201, v37
	v_lshrrev_b16 v73, 8, v58
	v_lshrrev_b32_e32 v74, 24, v58
	s_wait_alu 0xfffd
	v_cndmask_b32_e64 v65, 0, -1, vcc_lo
	v_cmp_ne_u16_e32 vcc_lo, 0, v66
	v_lshrrev_b16 v75, 8, v59
	v_and_b32_e32 v62, 0x80402010, v37
	v_lshrrev_b32_e32 v59, 24, v59
	v_lshrrev_b32_e32 v46, 22, v46
	s_wait_alu 0xfffd
	v_cndmask_b32_e64 v66, 0, -1, vcc_lo
	v_cmp_ne_u16_e32 vcc_lo, 0, v67
	v_lshrrev_b16 v77, 8, v62
	v_lshrrev_b32_e32 v52, 18, v35
	v_bfe_i32 v53, v35, 0, 1
	v_lshrrev_b32_e32 v35, 22, v35
	s_wait_alu 0xfffd
	v_cndmask_b32_e64 v67, 0, -1, vcc_lo
	v_cmp_ne_u16_e32 vcc_lo, 0, v51
	v_lshrrev_b32_e32 v56, 18, v36
	v_lshrrev_b16 v50, 4, v50
	v_lshrrev_b16 v54, 4, v54
	v_lshrrev_b32_e32 v78, 24, v62
	s_wait_alu 0xfffd
	v_cndmask_b32_e64 v51, 0, -1, vcc_lo
	v_cmp_ne_u16_e32 vcc_lo, 0, v69
	v_bfe_i32 v57, v36, 0, 1
	v_lshrrev_b32_e32 v36, 22, v36
	v_lshrrev_b32_e32 v60, 18, v37
	v_bfe_i32 v61, v37, 0, 1
	s_wait_alu 0xfffd
	v_cndmask_b32_e64 v69, 0, -1, vcc_lo
	v_cmp_ne_u16_e32 vcc_lo, 0, v70
	v_lshrrev_b32_e32 v37, 22, v37
	v_bfe_i32 v48, v48, 0, 1
	v_bfe_i32 v46, v46, 0, 1
	;; [unrolled: 1-line block ×3, first 2 shown]
	s_wait_alu 0xfffd
	v_cndmask_b32_e64 v70, 0, -1, vcc_lo
	v_cmp_ne_u16_e32 vcc_lo, 0, v71
	v_bfe_i32 v35, v35, 0, 1
	v_bfe_i32 v56, v56, 0, 1
	v_lshrrev_b16 v58, 4, v58
	v_lshrrev_b16 v62, 4, v62
	s_wait_alu 0xfffd
	v_cndmask_b32_e64 v71, 0, -1, vcc_lo
	v_cmp_ne_u16_e32 vcc_lo, 0, v55
	v_bfe_i32 v50, v50, 0, 1
	v_bfe_i32 v54, v54, 0, 1
	v_and_b32_e32 v64, 0xff, v49
	v_and_b32_e32 v68, 0xff, v53
	s_wait_alu 0xfffd
	v_cndmask_b32_e64 v55, 0, -1, vcc_lo
	v_cmp_ne_u16_e32 vcc_lo, 0, v73
	v_and_b32_e32 v72, 0xff, v57
	v_bfe_i32 v36, v36, 0, 1
	v_bfe_i32 v60, v60, 0, 1
	;; [unrolled: 1-line block ×3, first 2 shown]
	s_wait_alu 0xfffd
	v_cndmask_b32_e64 v73, 0, -1, vcc_lo
	v_cmp_ne_u16_e32 vcc_lo, 0, v74
	v_and_b32_e32 v79, 0xff, v48
	v_and_b32_e32 v80, 0xff, v46
	;; [unrolled: 1-line block ×4, first 2 shown]
	s_wait_alu 0xfffd
	v_cndmask_b32_e64 v74, 0, -1, vcc_lo
	v_cmp_ne_u16_e32 vcc_lo, 0, v75
	v_and_b32_e32 v83, 0xff, v56
	v_bfe_i32 v58, v58, 0, 1
	v_bfe_i32 v62, v62, 0, 1
	v_lshlrev_b16 v63, 8, v63
	s_wait_alu 0xfffd
	v_cndmask_b32_e64 v75, 0, -1, vcc_lo
	v_cmp_ne_u16_e32 vcc_lo, 0, v59
	v_lshlrev_b16 v47, 8, v47
	v_and_b32_e32 v87, 0xff, v50
	v_lshlrev_b16 v65, 8, v65
	v_lshlrev_b16 v66, 8, v66
	s_wait_alu 0xfffd
	v_cndmask_b32_e64 v59, 0, -1, vcc_lo
	v_cmp_ne_u16_e32 vcc_lo, 0, v77
	v_lshlrev_b16 v67, 8, v67
	v_lshlrev_b16 v51, 8, v51
	v_and_b32_e32 v88, 0xff, v54
	v_lshlrev_b16 v69, 8, v69
	s_wait_alu 0xfffd
	v_cndmask_b32_e64 v77, 0, -1, vcc_lo
	v_cmp_ne_u16_e32 vcc_lo, 0, v78
	v_lshlrev_b16 v70, 8, v70
	v_lshlrev_b16 v71, 8, v71
	;; [unrolled: 1-line block ×3, first 2 shown]
	v_and_b32_e32 v76, 0xff, v61
	s_wait_alu 0xfffd
	v_cndmask_b32_e64 v78, 0, -1, vcc_lo
	v_and_b32_e32 v84, 0xff, v36
	v_and_b32_e32 v85, 0xff, v60
	;; [unrolled: 1-line block ×4, first 2 shown]
	v_lshlrev_b16 v73, 8, v73
	v_lshlrev_b16 v74, 8, v74
	;; [unrolled: 1-line block ×4, first 2 shown]
	v_and_b32_e32 v90, 0xff, v62
	v_lshlrev_b16 v77, 8, v77
	v_lshlrev_b16 v78, 8, v78
	v_or_b32_e32 v64, v64, v63
	v_or_b32_e32 v79, v79, v47
	;; [unrolled: 1-line block ×16, first 2 shown]
	v_and_b32_e32 v64, 0xffff, v64
	v_lshlrev_b32_e32 v79, 16, v79
	v_and_b32_e32 v87, 0xffff, v87
	v_lshlrev_b32_e32 v80, 16, v80
	;; [unrolled: 2-line block ×8, first 2 shown]
	v_or_b32_e32 v64, v64, v79
	v_or_b32_e32 v79, v87, v80
	;; [unrolled: 1-line block ×8, first 2 shown]
	v_lshlrev_b16 v49, 8, v49
	v_lshlrev_b16 v53, 8, v53
	;; [unrolled: 1-line block ×16, first 2 shown]
	s_wait_loadcnt 0x3
	v_xor_b32_e32 v40, v40, v68
	v_xor_b32_e32 v38, v38, v64
	;; [unrolled: 1-line block ×4, first 2 shown]
	s_wait_loadcnt 0x2
	v_xor_b32_e32 v42, v42, v72
	v_xor_b32_e32 v43, v43, v81
	s_wait_loadcnt 0x1
	v_xor_b32_e32 v44, v44, v76
	v_xor_b32_e32 v45, v45, v82
	v_lshrrev_b32_e32 v64, 16, v38
	v_and_b32_e32 v68, 0xffffff00, v38
	v_lshlrev_b16 v38, 8, v38
	v_lshrrev_b32_e32 v72, 16, v39
	v_and_b32_e32 v76, 0xffffff00, v39
	v_lshlrev_b16 v39, 8, v39
	;; [unrolled: 3-line block ×6, first 2 shown]
	v_sub_nc_i16 v63, v68, v63 clamp
	v_sub_nc_i16 v38, v38, v49 clamp
	v_and_b32_e32 v49, 0xffffff00, v64
	v_lshlrev_b16 v64, 8, v64
	v_sub_nc_i16 v39, v39, v50 clamp
	v_and_b32_e32 v50, 0xffffff00, v72
	v_lshlrev_b16 v68, 8, v72
	;; [unrolled: 3-line block ×3, first 2 shown]
	v_sub_nc_i16 v41, v41, v54 clamp
	v_and_b32_e32 v54, 0xffffff00, v81
	v_sub_nc_i16 v42, v42, v57 clamp
	v_and_b32_e32 v57, 0xffffff00, v83
	v_lshlrev_b16 v79, 8, v83
	v_lshrrev_b32_e32 v87, 16, v44
	v_and_b32_e32 v88, 0xffffff00, v44
	v_lshlrev_b16 v44, 8, v44
	v_sub_nc_i16 v67, v80, v67 clamp
	v_sub_nc_i16 v71, v84, v71 clamp
	;; [unrolled: 1-line block ×3, first 2 shown]
	v_and_b32_e32 v58, 0xffffff00, v85
	v_lshlrev_b16 v80, 8, v85
	v_sub_nc_i16 v47, v49, v47 clamp
	v_sub_nc_i16 v48, v64, v48 clamp
	;; [unrolled: 1-line block ×8, first 2 shown]
	v_lshrrev_b32_e32 v89, 16, v45
	v_and_b32_e32 v90, 0xffffff00, v45
	v_lshlrev_b16 v45, 8, v45
	v_sub_nc_i16 v65, v76, v65 clamp
	v_lshlrev_b16 v76, 8, v81
	v_sub_nc_i16 v73, v86, v73 clamp
	v_sub_nc_i16 v44, v44, v61 clamp
	v_and_b32_e32 v61, 0xffffff00, v87
	v_lshlrev_b16 v81, 8, v87
	v_perm_b32 v38, v38, v63, 0xc0c0105
	v_sub_nc_i16 v46, v68, v46 clamp
	v_perm_b32 v42, v42, v71, 0xc0c0105
	v_sub_nc_i16 v55, v58, v74 clamp
	v_sub_nc_i16 v36, v80, v36 clamp
	v_perm_b32 v47, v48, v47, 0xc0c0105
	v_perm_b32 v48, v54, v53, 0xc0c0105
	v_sub_nc_i16 v69, v82, v69 clamp
	v_sub_nc_i16 v75, v88, v75 clamp
	;; [unrolled: 1-line block ×3, first 2 shown]
	v_and_b32_e32 v62, 0xffffff00, v89
	v_lshlrev_b16 v82, 8, v89
	v_perm_b32 v39, v39, v65, 0xc0c0105
	v_perm_b32 v43, v43, v73, 0xc0c0105
	v_sub_nc_i16 v56, v61, v59 clamp
	v_sub_nc_i16 v57, v81, v60 clamp
	v_perm_b32 v46, v46, v49, 0xc0c0105
	v_perm_b32 v36, v36, v55, 0xc0c0105
	v_lshl_or_b32 v38, v47, 16, v38
	v_lshl_or_b32 v42, v48, 16, v42
	v_sub_nc_i16 v77, v90, v77 clamp
	v_perm_b32 v40, v40, v67, 0xc0c0105
	v_sub_nc_i16 v35, v76, v35 clamp
	v_perm_b32 v44, v44, v75, 0xc0c0105
	v_sub_nc_i16 v58, v62, v78 clamp
	v_sub_nc_i16 v37, v82, v37 clamp
	v_perm_b32 v49, v51, v50, 0xc0c0105
	v_perm_b32 v47, v57, v56, 0xc0c0105
	v_lshl_or_b32 v39, v46, 16, v39
	v_lshl_or_b32 v36, v36, 16, v43
	v_dot4_i32_iu8 v38, v38, v5, 0 neg_lo:[1,1,0]
	v_dot4_i32_iu8 v42, v42, v1, 0 neg_lo:[1,1,0]
	v_perm_b32 v41, v41, v69, 0xc0c0105
	v_perm_b32 v45, v45, v77, 0xc0c0105
	;; [unrolled: 1-line block ×4, first 2 shown]
	v_lshl_or_b32 v40, v49, 16, v40
	v_lshl_or_b32 v43, v47, 16, v44
	v_dot4_i32_iu8 v38, v39, v6, v38 neg_lo:[1,1,0]
	v_dot4_i32_iu8 v36, v36, v2, v42 neg_lo:[1,1,0]
	v_lshl_or_b32 v35, v35, 16, v41
	v_lshl_or_b32 v37, v37, 16, v45
	v_and_b32_e32 v39, 15, v33
	v_dot4_i32_iu8 v38, v40, v7, v38 neg_lo:[1,1,0]
	v_dot4_i32_iu8 v36, v43, v3, v36 neg_lo:[1,1,0]
	v_lshrrev_b32_e32 v33, 4, v33
	s_wait_loadcnt 0x0
	v_cvt_f32_f16_e32 v34, v34
	v_dot4_i32_iu8 v35, v35, v0, v38 neg_lo:[1,1,0]
	v_dot4_i32_iu8 v36, v37, v32, v36 neg_lo:[1,1,0]
	s_delay_alu instid0(VALU_DEP_3) | instskip(NEXT) | instid1(VALU_DEP_2)
	v_mul_f32_e32 v34, v4, v34
	v_add_nc_u32_e32 v37, v36, v35
	v_mul_lo_u32 v35, v35, v39
	v_mul_lo_u32 v33, v36, v33
	s_delay_alu instid0(VALU_DEP_3) | instskip(NEXT) | instid1(VALU_DEP_1)
	v_lshrrev_b32_e32 v38, 31, v37
	v_add_nc_u32_e32 v37, v37, v38
	s_delay_alu instid0(VALU_DEP_1) | instskip(NEXT) | instid1(VALU_DEP_1)
	v_ashrrev_i32_e32 v36, 1, v37
	v_add3_u32 v33, v33, v35, v36
	s_delay_alu instid0(VALU_DEP_1) | instskip(NEXT) | instid1(VALU_DEP_1)
	v_ashrrev_i32_e32 v35, 31, v33
	v_lshrrev_b32_e32 v35, 30, v35
	s_delay_alu instid0(VALU_DEP_1) | instskip(NEXT) | instid1(VALU_DEP_1)
	v_add_nc_u32_e32 v33, v33, v35
	v_ashrrev_i32_e32 v33, 2, v33
	s_delay_alu instid0(VALU_DEP_1) | instskip(NEXT) | instid1(VALU_DEP_1)
	v_cvt_f32_i32_e32 v33, v33
	v_fmac_f32_e32 v25, v34, v33
	s_branch .LBB171_11
.LBB171_14:
	s_or_b32 exec_lo, exec_lo, s13
.LBB171_15:
	s_delay_alu instid0(SALU_CYCLE_1)
	s_or_b32 exec_lo, exec_lo, s18
	s_load_b32 s4, s[0:1], 0x30
	s_wait_loadcnt 0x0
	; wave barrier
	global_inv scope:SCOPE_SE
	s_mov_b32 s5, exec_lo
	v_cmpx_eq_u32_e32 0, v23
	s_cbranch_execz .LBB171_43
; %bb.16:
	v_mbcnt_lo_u32_b32 v1, -1, 0
	s_delay_alu instid0(VALU_DEP_1) | instskip(SKIP_2) | instid1(VALU_DEP_3)
	v_xor_b32_e32 v0, 16, v1
	v_xor_b32_e32 v3, 8, v1
	;; [unrolled: 1-line block ×3, first 2 shown]
	v_cmp_gt_i32_e32 vcc_lo, 32, v0
	s_wait_alu 0xfffd
	v_cndmask_b32_e32 v0, v1, v0, vcc_lo
	v_cmp_gt_i32_e32 vcc_lo, 32, v3
	s_wait_alu 0xfffd
	v_cndmask_b32_e32 v3, v1, v3, vcc_lo
	v_cmp_gt_i32_e32 vcc_lo, 32, v4
	s_delay_alu instid0(VALU_DEP_2)
	v_lshlrev_b32_e32 v3, 2, v3
	v_lshlrev_b32_e32 v0, 2, v0
	s_wait_alu 0xfffd
	v_cndmask_b32_e32 v4, v1, v4, vcc_lo
	ds_bpermute_b32 v2, v0, v26
	s_wait_dscnt 0x0
	v_add_f32_e32 v2, v26, v2
	ds_bpermute_b32 v5, v3, v2
	s_wait_dscnt 0x0
	v_add_f32_e32 v2, v2, v5
	v_xor_b32_e32 v5, 2, v1
	s_delay_alu instid0(VALU_DEP_1) | instskip(SKIP_2) | instid1(VALU_DEP_1)
	v_cmp_gt_i32_e32 vcc_lo, 32, v5
	s_wait_alu 0xfffd
	v_cndmask_b32_e32 v5, v1, v5, vcc_lo
	v_lshlrev_b32_e32 v5, 2, v5
	v_lshlrev_b32_e32 v4, 2, v4
	ds_bpermute_b32 v6, v4, v2
	s_wait_dscnt 0x0
	v_add_f32_e32 v2, v2, v6
	v_xor_b32_e32 v6, 1, v1
	ds_bpermute_b32 v7, v5, v2
	v_cmp_gt_i32_e32 vcc_lo, 32, v6
	s_wait_alu 0xfffd
	v_cndmask_b32_e32 v1, v1, v6, vcc_lo
	v_cmp_ne_u32_e32 vcc_lo, 1, v24
	s_delay_alu instid0(VALU_DEP_2)
	v_lshlrev_b32_e32 v6, 2, v1
	s_wait_dscnt 0x0
	v_add_f32_e32 v1, v2, v7
	ds_bpermute_b32 v2, v6, v1
	s_cbranch_vccnz .LBB171_18
; %bb.17:
	ds_bpermute_b32 v0, v0, v25
	s_wait_dscnt 0x0
	v_add_f32_e32 v0, v25, v0
	ds_bpermute_b32 v3, v3, v0
	s_wait_dscnt 0x0
	v_add_f32_e32 v0, v0, v3
	;; [unrolled: 3-line block ×5, first 2 shown]
.LBB171_18:
	v_cmp_eq_u32_e32 vcc_lo, 0, v20
	s_and_b32 exec_lo, exec_lo, vcc_lo
	s_cbranch_execz .LBB171_43
; %bb.19:
	s_wait_dscnt 0x0
	v_add_f32_e32 v0, v1, v2
	v_cmp_ne_u32_e32 vcc_lo, 1, v24
	s_delay_alu instid0(VALU_DEP_2) | instskip(NEXT) | instid1(VALU_DEP_1)
	v_add_f32_e32 v1, v22, v0
	v_cndmask_b32_e64 v0, v0, v1, s2
	s_cbranch_vccnz .LBB171_42
; %bb.20:
	v_add_f32_e32 v1, v21, v25
	s_wait_kmcnt 0x0
	s_cmp_lt_i32 s4, 2
	s_mov_b32 s2, 0
	s_delay_alu instid0(VALU_DEP_1)
	v_cndmask_b32_e64 v1, v25, v1, s3
	s_cbranch_scc1 .LBB171_25
; %bb.21:
	s_cmp_gt_i32 s4, 2
	s_cbranch_scc0 .LBB171_26
; %bb.22:
	s_cmp_eq_u32 s4, 3
	s_cbranch_scc0 .LBB171_27
; %bb.23:
	v_max_num_f32_e32 v2, v1, v1
	s_mov_b32 s3, 0xc0e00000
	s_delay_alu instid0(VALU_DEP_1) | instskip(NEXT) | instid1(VALU_DEP_1)
	v_min_num_f32_e32 v2, 0x40e00000, v2
	v_mul_f32_e32 v3, 0xbfd9db23, v2
	s_delay_alu instid0(VALU_DEP_1) | instskip(NEXT) | instid1(VALU_DEP_1)
	v_mul_f32_e32 v4, 0x3fb8aa3b, v3
	v_fma_f32 v5, 0x3fb8aa3b, v3, -v4
	v_rndne_f32_e32 v6, v4
	s_delay_alu instid0(VALU_DEP_1) | instskip(NEXT) | instid1(VALU_DEP_1)
	v_dual_fmamk_f32 v5, v3, 0x32a5705f, v5 :: v_dual_sub_f32 v4, v4, v6
	v_add_f32_e32 v4, v4, v5
	v_cvt_i32_f32_e32 v5, v6
	v_cmp_ngt_f32_e32 vcc_lo, 0xc2ce8ed0, v3
	s_delay_alu instid0(VALU_DEP_3) | instskip(NEXT) | instid1(TRANS32_DEP_1)
	v_exp_f32_e32 v4, v4
	v_ldexp_f32 v4, v4, v5
	s_wait_alu 0xfffd
	s_delay_alu instid0(VALU_DEP_1) | instskip(SKIP_2) | instid1(VALU_DEP_2)
	v_cndmask_b32_e32 v4, 0, v4, vcc_lo
	v_cmp_nlt_f32_e32 vcc_lo, 0x42b17218, v3
	s_wait_alu 0xfffd
	v_cndmask_b32_e32 v3, 0x7f800000, v4, vcc_lo
	s_delay_alu instid0(VALU_DEP_1) | instskip(NEXT) | instid1(VALU_DEP_1)
	v_add_f32_e32 v3, 1.0, v3
	v_div_scale_f32 v4, null, v3, v3, v2
	v_div_scale_f32 v7, vcc_lo, v2, v3, v2
	s_delay_alu instid0(VALU_DEP_2) | instskip(NEXT) | instid1(TRANS32_DEP_1)
	v_rcp_f32_e32 v5, v4
	v_fma_f32 v6, -v4, v5, 1.0
	s_delay_alu instid0(VALU_DEP_1) | instskip(NEXT) | instid1(VALU_DEP_1)
	v_fmac_f32_e32 v5, v6, v5
	v_mul_f32_e32 v6, v7, v5
	s_delay_alu instid0(VALU_DEP_1) | instskip(NEXT) | instid1(VALU_DEP_1)
	v_fma_f32 v8, -v4, v6, v7
	v_fmac_f32_e32 v6, v8, v5
	s_delay_alu instid0(VALU_DEP_1) | instskip(SKIP_1) | instid1(VALU_DEP_1)
	v_fma_f32 v4, -v4, v6, v7
	s_wait_alu 0xfffd
	v_div_fmas_f32 v4, v4, v5, v6
	s_delay_alu instid0(VALU_DEP_1) | instskip(SKIP_2) | instid1(VALU_DEP_1)
	v_div_fixup_f32 v2, v4, v3, v2
	v_max_num_f32_e32 v7, v0, v0
	s_wait_alu 0xfffe
	v_minmax_num_f32 v5, v7, 0x40e00000, s3
	s_mov_b32 s3, 0
	s_delay_alu instid0(VALU_DEP_1) | instskip(NEXT) | instid1(VALU_DEP_1)
	v_add_f32_e32 v3, 1.0, v5
	v_mul_f32_e32 v2, v3, v2
	s_branch .LBB171_28
.LBB171_24:
                                        ; implicit-def: $sgpr28
	s_clause 0x1
	s_load_b32 s30, s[0:1], 0x50
	s_load_b32 s29, s[0:1], 0x78
	s_branch .LBB171_2
.LBB171_25:
	s_mov_b32 s3, 0
                                        ; implicit-def: $vgpr2
	s_cbranch_execnz .LBB171_32
	s_branch .LBB171_33
.LBB171_26:
	s_mov_b32 s5, -1
	s_mov_b32 s3, 0
                                        ; implicit-def: $vgpr2
	s_branch .LBB171_29
.LBB171_27:
	s_mov_b32 s3, -1
                                        ; implicit-def: $vgpr2
.LBB171_28:
	s_mov_b32 s5, 0
.LBB171_29:
	s_wait_alu 0xfffe
	s_and_b32 vcc_lo, exec_lo, s5
	s_wait_alu 0xfffe
	s_cbranch_vccz .LBB171_31
; %bb.30:
	v_mul_f32_e32 v2, 0xbfb8aa3b, v1
	v_cmp_nlt_f32_e32 vcc_lo, 0x42ce8ed0, v1
	s_delay_alu instid0(VALU_DEP_2) | instskip(SKIP_1) | instid1(VALU_DEP_2)
	v_rndne_f32_e32 v3, v2
	v_fma_f32 v4, 0xbfb8aa3b, v1, -v2
	v_sub_f32_e32 v2, v2, v3
	s_delay_alu instid0(VALU_DEP_2) | instskip(SKIP_1) | instid1(VALU_DEP_2)
	v_fmamk_f32 v4, v1, 0xb2a5705f, v4
	v_cvt_i32_f32_e32 v3, v3
	v_add_f32_e32 v2, v2, v4
	s_delay_alu instid0(VALU_DEP_1) | instskip(NEXT) | instid1(TRANS32_DEP_1)
	v_exp_f32_e32 v2, v2
	v_ldexp_f32 v2, v2, v3
	s_wait_alu 0xfffd
	s_delay_alu instid0(VALU_DEP_1) | instskip(SKIP_2) | instid1(VALU_DEP_2)
	v_cndmask_b32_e32 v2, 0, v2, vcc_lo
	v_cmp_ngt_f32_e32 vcc_lo, 0xc2b17218, v1
	s_wait_alu 0xfffd
	v_cndmask_b32_e32 v2, 0x7f800000, v2, vcc_lo
	s_delay_alu instid0(VALU_DEP_1) | instskip(NEXT) | instid1(VALU_DEP_1)
	v_add_f32_e32 v2, 1.0, v2
	v_div_scale_f32 v3, null, v2, v2, v1
	s_delay_alu instid0(VALU_DEP_1) | instskip(NEXT) | instid1(TRANS32_DEP_1)
	v_rcp_f32_e32 v4, v3
	v_fma_f32 v5, -v3, v4, 1.0
	s_delay_alu instid0(VALU_DEP_1) | instskip(SKIP_1) | instid1(VALU_DEP_1)
	v_fmac_f32_e32 v4, v5, v4
	v_div_scale_f32 v5, vcc_lo, v1, v2, v1
	v_mul_f32_e32 v6, v5, v4
	s_delay_alu instid0(VALU_DEP_1) | instskip(NEXT) | instid1(VALU_DEP_1)
	v_fma_f32 v7, -v3, v6, v5
	v_fmac_f32_e32 v6, v7, v4
	s_delay_alu instid0(VALU_DEP_1) | instskip(SKIP_1) | instid1(VALU_DEP_1)
	v_fma_f32 v3, -v3, v6, v5
	s_wait_alu 0xfffd
	v_div_fmas_f32 v3, v3, v4, v6
	s_delay_alu instid0(VALU_DEP_1) | instskip(NEXT) | instid1(VALU_DEP_1)
	v_div_fixup_f32 v2, v3, v2, v1
	v_mul_f32_e32 v2, v0, v2
.LBB171_31:
	s_branch .LBB171_33
.LBB171_32:
	s_cmp_lg_u32 s4, 1
	s_mov_b32 s2, -1
	s_cselect_b32 s3, -1, 0
.LBB171_33:
	s_wait_alu 0xfffe
	s_and_not1_b32 vcc_lo, exec_lo, s3
	s_wait_alu 0xfffe
	s_cbranch_vccz .LBB171_35
; %bb.34:
	s_and_not1_b32 vcc_lo, exec_lo, s2
	s_wait_alu 0xfffe
	s_cbranch_vccz .LBB171_36
	s_branch .LBB171_41
.LBB171_35:
	v_mul_f32_e32 v2, v1, v0
	s_cbranch_execnz .LBB171_41
.LBB171_36:
	v_mul_f32_e32 v2, 0x3d372713, v1
	v_mul_f32_e32 v3, 0x3f4c422a, v1
	s_delay_alu instid0(VALU_DEP_2) | instskip(NEXT) | instid1(VALU_DEP_1)
	v_fma_f32 v2, v1, v2, 1.0
	v_mul_f32_e32 v2, v3, v2
                                        ; implicit-def: $vgpr3
	s_delay_alu instid0(VALU_DEP_1)
	v_cmp_ngt_f32_e64 s2, 0x3f200000, |v2|
	s_and_saveexec_b32 s3, s2
	s_wait_alu 0xfffe
	s_xor_b32 s2, exec_lo, s3
	s_cbranch_execz .LBB171_38
; %bb.37:
	v_add_f32_e64 v3, |v2|, |v2|
	s_delay_alu instid0(VALU_DEP_1) | instskip(SKIP_1) | instid1(VALU_DEP_2)
	v_mul_f32_e32 v4, 0x3fb8aa3b, v3
	v_cmp_ngt_f32_e32 vcc_lo, 0xc2ce8ed0, v3
	v_rndne_f32_e32 v5, v4
	v_fma_f32 v6, 0x3fb8aa3b, v3, -v4
	s_delay_alu instid0(VALU_DEP_2) | instskip(NEXT) | instid1(VALU_DEP_2)
	v_sub_f32_e32 v4, v4, v5
	v_fmamk_f32 v6, v3, 0x32a5705f, v6
	v_cvt_i32_f32_e32 v5, v5
	s_delay_alu instid0(VALU_DEP_2) | instskip(NEXT) | instid1(VALU_DEP_1)
	v_add_f32_e32 v4, v4, v6
	v_exp_f32_e32 v4, v4
	s_delay_alu instid0(TRANS32_DEP_1) | instskip(SKIP_1) | instid1(VALU_DEP_1)
	v_ldexp_f32 v4, v4, v5
	s_wait_alu 0xfffd
	v_cndmask_b32_e32 v4, 0, v4, vcc_lo
	v_cmp_nlt_f32_e32 vcc_lo, 0x42b17218, v3
	s_wait_alu 0xfffd
	s_delay_alu instid0(VALU_DEP_2) | instskip(NEXT) | instid1(VALU_DEP_1)
	v_cndmask_b32_e32 v3, 0x7f800000, v4, vcc_lo
	v_add_f32_e32 v3, 1.0, v3
	s_delay_alu instid0(VALU_DEP_1) | instskip(NEXT) | instid1(TRANS32_DEP_1)
	v_rcp_f32_e32 v3, v3
	v_fma_f32 v3, v3, -2.0, 1.0
.LBB171_38:
	s_wait_alu 0xfffe
	s_and_not1_saveexec_b32 s2, s2
	s_cbranch_execz .LBB171_40
; %bb.39:
	v_mul_f32_e32 v3, v2, v2
	s_mov_b32 s3, 0xbbbac73d
	s_wait_alu 0xfffe
	s_delay_alu instid0(VALU_DEP_1) | instskip(NEXT) | instid1(VALU_DEP_1)
	v_fmaak_f32 v4, s3, v3, 0x3ca908c9
	v_fmaak_f32 v4, v3, v4, 0xbd5c1c4e
	s_delay_alu instid0(VALU_DEP_1) | instskip(NEXT) | instid1(VALU_DEP_1)
	v_fmaak_f32 v4, v3, v4, 0x3e088382
	v_fmaak_f32 v4, v3, v4, 0xbeaaaa99
	s_delay_alu instid0(VALU_DEP_1) | instskip(NEXT) | instid1(VALU_DEP_1)
	v_mul_f32_e64 v4, |v2|, v4
	v_fma_f32 v3, v3, v4, |v2|
.LBB171_40:
	s_wait_alu 0xfffe
	s_or_b32 exec_lo, exec_lo, s2
	s_delay_alu instid0(VALU_DEP_1) | instskip(NEXT) | instid1(VALU_DEP_1)
	v_bfi_b32 v2, 0x7fffffff, v3, v2
	v_dual_mul_f32 v1, 0.5, v1 :: v_dual_add_f32 v2, 1.0, v2
	s_delay_alu instid0(VALU_DEP_1) | instskip(NEXT) | instid1(VALU_DEP_1)
	v_mul_f32_e32 v1, v1, v2
	v_mul_f32_e32 v2, v0, v1
.LBB171_41:
	s_delay_alu instid0(VALU_DEP_1)
	v_mov_b32_e32 v0, v2
.LBB171_42:
	s_load_b64 s[0:1], s[0:1], 0x38
	s_mul_i32 s2, s6, s27
	s_wait_kmcnt 0x0
	s_mul_i32 s3, s26, s21
	s_wait_alu 0xfffe
	s_add_co_i32 s2, s2, ttmp9
	v_lshlrev_b32_e32 v1, 2, v20
	s_wait_alu 0xfffe
	s_add_co_i32 s2, s2, s3
	s_mov_b32 s3, 0
	s_wait_alu 0xfffe
	s_lshl_b64 s[2:3], s[2:3], 2
	s_wait_alu 0xfffe
	s_add_nc_u64 s[0:1], s[0:1], s[2:3]
	global_store_b32 v1, v0, s[0:1]
.LBB171_43:
	s_endpgm
	.section	.rodata,"a",@progbits
	.p2align	6, 0x0
	.amdhsa_kernel _ZL13mul_mat_vec_qIL9ggml_type17ELi1ELb1ELb0EEvPKvS2_PKi31ggml_cuda_mm_fusion_args_devicePfj15HIP_vector_typeIjLj3EEjjjS8_jjjS8_jjjj
		.amdhsa_group_segment_fixed_size 0
		.amdhsa_private_segment_fixed_size 0
		.amdhsa_kernarg_size 144
		.amdhsa_user_sgpr_count 2
		.amdhsa_user_sgpr_dispatch_ptr 0
		.amdhsa_user_sgpr_queue_ptr 0
		.amdhsa_user_sgpr_kernarg_segment_ptr 1
		.amdhsa_user_sgpr_dispatch_id 0
		.amdhsa_user_sgpr_private_segment_size 0
		.amdhsa_wavefront_size32 1
		.amdhsa_uses_dynamic_stack 0
		.amdhsa_enable_private_segment 0
		.amdhsa_system_sgpr_workgroup_id_x 1
		.amdhsa_system_sgpr_workgroup_id_y 1
		.amdhsa_system_sgpr_workgroup_id_z 1
		.amdhsa_system_sgpr_workgroup_info 0
		.amdhsa_system_vgpr_workitem_id 1
		.amdhsa_next_free_vgpr 91
		.amdhsa_next_free_sgpr 38
		.amdhsa_reserve_vcc 1
		.amdhsa_float_round_mode_32 0
		.amdhsa_float_round_mode_16_64 0
		.amdhsa_float_denorm_mode_32 3
		.amdhsa_float_denorm_mode_16_64 3
		.amdhsa_fp16_overflow 0
		.amdhsa_workgroup_processor_mode 1
		.amdhsa_memory_ordered 1
		.amdhsa_forward_progress 1
		.amdhsa_inst_pref_size 59
		.amdhsa_round_robin_scheduling 0
		.amdhsa_exception_fp_ieee_invalid_op 0
		.amdhsa_exception_fp_denorm_src 0
		.amdhsa_exception_fp_ieee_div_zero 0
		.amdhsa_exception_fp_ieee_overflow 0
		.amdhsa_exception_fp_ieee_underflow 0
		.amdhsa_exception_fp_ieee_inexact 0
		.amdhsa_exception_int_div_zero 0
	.end_amdhsa_kernel
	.section	.text._ZL13mul_mat_vec_qIL9ggml_type17ELi1ELb1ELb0EEvPKvS2_PKi31ggml_cuda_mm_fusion_args_devicePfj15HIP_vector_typeIjLj3EEjjjS8_jjjS8_jjjj,"axG",@progbits,_ZL13mul_mat_vec_qIL9ggml_type17ELi1ELb1ELb0EEvPKvS2_PKi31ggml_cuda_mm_fusion_args_devicePfj15HIP_vector_typeIjLj3EEjjjS8_jjjS8_jjjj,comdat
.Lfunc_end171:
	.size	_ZL13mul_mat_vec_qIL9ggml_type17ELi1ELb1ELb0EEvPKvS2_PKi31ggml_cuda_mm_fusion_args_devicePfj15HIP_vector_typeIjLj3EEjjjS8_jjjS8_jjjj, .Lfunc_end171-_ZL13mul_mat_vec_qIL9ggml_type17ELi1ELb1ELb0EEvPKvS2_PKi31ggml_cuda_mm_fusion_args_devicePfj15HIP_vector_typeIjLj3EEjjjS8_jjjS8_jjjj
                                        ; -- End function
	.set _ZL13mul_mat_vec_qIL9ggml_type17ELi1ELb1ELb0EEvPKvS2_PKi31ggml_cuda_mm_fusion_args_devicePfj15HIP_vector_typeIjLj3EEjjjS8_jjjS8_jjjj.num_vgpr, 91
	.set _ZL13mul_mat_vec_qIL9ggml_type17ELi1ELb1ELb0EEvPKvS2_PKi31ggml_cuda_mm_fusion_args_devicePfj15HIP_vector_typeIjLj3EEjjjS8_jjjS8_jjjj.num_agpr, 0
	.set _ZL13mul_mat_vec_qIL9ggml_type17ELi1ELb1ELb0EEvPKvS2_PKi31ggml_cuda_mm_fusion_args_devicePfj15HIP_vector_typeIjLj3EEjjjS8_jjjS8_jjjj.numbered_sgpr, 38
	.set _ZL13mul_mat_vec_qIL9ggml_type17ELi1ELb1ELb0EEvPKvS2_PKi31ggml_cuda_mm_fusion_args_devicePfj15HIP_vector_typeIjLj3EEjjjS8_jjjS8_jjjj.num_named_barrier, 0
	.set _ZL13mul_mat_vec_qIL9ggml_type17ELi1ELb1ELb0EEvPKvS2_PKi31ggml_cuda_mm_fusion_args_devicePfj15HIP_vector_typeIjLj3EEjjjS8_jjjS8_jjjj.private_seg_size, 0
	.set _ZL13mul_mat_vec_qIL9ggml_type17ELi1ELb1ELb0EEvPKvS2_PKi31ggml_cuda_mm_fusion_args_devicePfj15HIP_vector_typeIjLj3EEjjjS8_jjjS8_jjjj.uses_vcc, 1
	.set _ZL13mul_mat_vec_qIL9ggml_type17ELi1ELb1ELb0EEvPKvS2_PKi31ggml_cuda_mm_fusion_args_devicePfj15HIP_vector_typeIjLj3EEjjjS8_jjjS8_jjjj.uses_flat_scratch, 0
	.set _ZL13mul_mat_vec_qIL9ggml_type17ELi1ELb1ELb0EEvPKvS2_PKi31ggml_cuda_mm_fusion_args_devicePfj15HIP_vector_typeIjLj3EEjjjS8_jjjS8_jjjj.has_dyn_sized_stack, 0
	.set _ZL13mul_mat_vec_qIL9ggml_type17ELi1ELb1ELb0EEvPKvS2_PKi31ggml_cuda_mm_fusion_args_devicePfj15HIP_vector_typeIjLj3EEjjjS8_jjjS8_jjjj.has_recursion, 0
	.set _ZL13mul_mat_vec_qIL9ggml_type17ELi1ELb1ELb0EEvPKvS2_PKi31ggml_cuda_mm_fusion_args_devicePfj15HIP_vector_typeIjLj3EEjjjS8_jjjS8_jjjj.has_indirect_call, 0
	.section	.AMDGPU.csdata,"",@progbits
; Kernel info:
; codeLenInByte = 7464
; TotalNumSgprs: 40
; NumVgprs: 91
; ScratchSize: 0
; MemoryBound: 0
; FloatMode: 240
; IeeeMode: 1
; LDSByteSize: 0 bytes/workgroup (compile time only)
; SGPRBlocks: 0
; VGPRBlocks: 11
; NumSGPRsForWavesPerEU: 40
; NumVGPRsForWavesPerEU: 91
; Occupancy: 16
; WaveLimiterHint : 0
; COMPUTE_PGM_RSRC2:SCRATCH_EN: 0
; COMPUTE_PGM_RSRC2:USER_SGPR: 2
; COMPUTE_PGM_RSRC2:TRAP_HANDLER: 0
; COMPUTE_PGM_RSRC2:TGID_X_EN: 1
; COMPUTE_PGM_RSRC2:TGID_Y_EN: 1
; COMPUTE_PGM_RSRC2:TGID_Z_EN: 1
; COMPUTE_PGM_RSRC2:TIDIG_COMP_CNT: 1
	.section	.text._ZL13mul_mat_vec_qIL9ggml_type17ELi1ELb0ELb0EEvPKvS2_PKi31ggml_cuda_mm_fusion_args_devicePfj15HIP_vector_typeIjLj3EEjjjS8_jjjS8_jjjj,"axG",@progbits,_ZL13mul_mat_vec_qIL9ggml_type17ELi1ELb0ELb0EEvPKvS2_PKi31ggml_cuda_mm_fusion_args_devicePfj15HIP_vector_typeIjLj3EEjjjS8_jjjS8_jjjj,comdat
	.globl	_ZL13mul_mat_vec_qIL9ggml_type17ELi1ELb0ELb0EEvPKvS2_PKi31ggml_cuda_mm_fusion_args_devicePfj15HIP_vector_typeIjLj3EEjjjS8_jjjS8_jjjj ; -- Begin function _ZL13mul_mat_vec_qIL9ggml_type17ELi1ELb0ELb0EEvPKvS2_PKi31ggml_cuda_mm_fusion_args_devicePfj15HIP_vector_typeIjLj3EEjjjS8_jjjS8_jjjj
	.p2align	8
	.type	_ZL13mul_mat_vec_qIL9ggml_type17ELi1ELb0ELb0EEvPKvS2_PKi31ggml_cuda_mm_fusion_args_devicePfj15HIP_vector_typeIjLj3EEjjjS8_jjjS8_jjjj,@function
_ZL13mul_mat_vec_qIL9ggml_type17ELi1ELb0ELb0EEvPKvS2_PKi31ggml_cuda_mm_fusion_args_devicePfj15HIP_vector_typeIjLj3EEjjjS8_jjjS8_jjjj: ; @_ZL13mul_mat_vec_qIL9ggml_type17ELi1ELb0ELb0EEvPKvS2_PKi31ggml_cuda_mm_fusion_args_devicePfj15HIP_vector_typeIjLj3EEjjjS8_jjjS8_jjjj
; %bb.0:
	s_clause 0x1
	s_load_b64 s[2:3], s[0:1], 0x10
	s_load_b128 s[8:11], s[0:1], 0x40
	s_and_b32 s15, ttmp7, 0xffff
	s_wait_kmcnt 0x0
	s_cmp_lg_u64 s[2:3], 0
	s_cselect_b32 s12, -1, 0
	s_cmp_eq_u64 s[2:3], 0
	s_cbranch_scc1 .LBB172_13
; %bb.1:
	s_lshl_b32 s4, s15, 2
	s_load_b32 s19, s[2:3], s4 offset:0x0
	s_clause 0x1
	s_load_b128 s[4:7], s[0:1], 0x68
	s_load_b32 s20, s[0:1], 0x50
	s_cbranch_execnz .LBB172_3
.LBB172_2:
	s_load_b64 s[2:3], s[0:1], 0x5c
	s_wait_kmcnt 0x0
	s_mul_hi_u32 s2, s2, s15
	s_delay_alu instid0(SALU_CYCLE_1) | instskip(NEXT) | instid1(SALU_CYCLE_1)
	s_add_co_i32 s2, s15, s2
	s_lshr_b32 s19, s2, s3
.LBB172_3:
	s_load_b32 s21, s[0:1], 0x78
	s_and_not1_b32 vcc_lo, exec_lo, s12
	s_mov_b32 s2, s15
	s_cbranch_vccnz .LBB172_5
; %bb.4:
	s_mul_hi_u32 s2, s9, s15
	s_delay_alu instid0(SALU_CYCLE_1) | instskip(NEXT) | instid1(SALU_CYCLE_1)
	s_add_co_i32 s2, s15, s2
	s_lshr_b32 s2, s2, s10
	s_delay_alu instid0(SALU_CYCLE_1) | instskip(NEXT) | instid1(SALU_CYCLE_1)
	s_mul_i32 s2, s2, s11
	s_sub_co_i32 s2, s15, s2
.LBB172_5:
	s_load_b96 s[12:14], s[0:1], 0x80
	v_bfe_u32 v3, v0, 10, 10
	v_and_b32_e32 v2, 0x3ff, v0
	v_mov_b32_e32 v4, 0
	s_lshr_b32 s18, s8, 8
	s_lshr_b32 s16, ttmp7, 16
	s_mov_b32 s17, exec_lo
	v_lshl_or_b32 v0, v3, 5, v2
	s_delay_alu instid0(VALU_DEP_1) | instskip(NEXT) | instid1(VALU_DEP_1)
	v_lshrrev_b32_e32 v5, 3, v0
	v_cmpx_gt_u32_e64 s18, v5
	s_cbranch_execz .LBB172_9
; %bb.6:
	v_lshrrev_b32_e32 v0, 3, v0
	s_wait_kmcnt 0x0
	s_mul_i32 s2, s2, s5
	s_mov_b32 s3, 0
	v_and_b32_e32 v6, 7, v2
	s_mul_u64 s[8:9], s[2:3], 36
	s_mul_i32 s2, s13, s16
	v_mad_co_u64_u32 v[0:1], null, 0x120, v0, s[8:9]
	s_load_b128 s[8:11], s[0:1], 0x0
	v_dual_mov_b32 v4, 0 :: v_dual_lshlrev_b32 v7, 1, v2
	s_mul_i32 s20, s20, ttmp9
	s_delay_alu instid0(VALU_DEP_1)
	v_and_b32_e32 v7, 14, v7
	v_mad_co_u64_u32 v[0:1], null, s2, 36, v[0:1]
	s_mul_hi_u32 s2, s7, s16
	s_mul_i32 s7, s19, s4
	s_wait_alu 0xfffe
	s_add_co_i32 s2, s16, s2
	v_lshlrev_b32_e32 v7, 1, v7
	s_wait_alu 0xfffe
	s_lshr_b32 s2, s2, s21
	v_mad_co_u64_u32 v[0:1], null, v6, 36, v[0:1]
	s_wait_alu 0xfffe
	s_mul_i32 s2, s2, s12
	v_lshlrev_b32_e32 v7, 1, v7
	s_wait_alu 0xfffe
	s_add_co_i32 s2, s2, s20
	s_wait_alu 0xfffe
	s_add_co_i32 s7, s7, s2
	s_wait_kmcnt 0x0
	v_add_co_u32 v0, vcc_lo, s10, v0
	s_delay_alu instid0(VALU_DEP_1) | instskip(NEXT) | instid1(VALU_DEP_2)
	v_add_co_ci_u32_e64 v1, null, s11, v1, vcc_lo
	v_add_co_u32 v0, vcc_lo, v0, 32
	s_wait_alu 0xfffd
	s_delay_alu instid0(VALU_DEP_2)
	v_add_co_ci_u32_e64 v1, null, 0, v1, vcc_lo
.LBB172_7:                              ; =>This Inner Loop Header: Depth=1
	v_add_nc_u32_e32 v8, s7, v5
	s_getpc_b64 s[4:5]
	s_sext_i32_i16 s5, s5
	s_add_co_u32 s4, s4, _ZL10iq2xs_grid@rel32@lo+8
	s_add_co_ci_u32 s5, s5, _ZL10iq2xs_grid@rel32@hi+16
	v_add_nc_u32_e32 v5, 4, v5
	v_mad_co_i64_i32 v[9:10], null, 0x4a, v8, s[8:9]
	s_delay_alu instid0(VALU_DEP_2)
	v_cmp_le_u32_e64 s2, s18, v5
	s_or_b32 s3, s2, s3
	v_add_co_u32 v11, vcc_lo, v9, v7
	s_wait_alu 0xfffd
	v_add_co_ci_u32_e64 v12, null, 0, v10, vcc_lo
	global_load_b64 v[17:18], v[11:12], off offset:2
	v_add_co_u32 v11, vcc_lo, v9, v6
	s_wait_alu 0xfffd
	v_add_co_ci_u32_e64 v12, null, 0, v10, vcc_lo
	s_clause 0x1
	global_load_u8 v8, v[11:12], off offset:66
	global_load_u16 v27, v[9:10], off
	s_wait_loadcnt 0x2
	v_and_b32_e32 v9, 0x1ff, v17
	v_lshrrev_b32_e32 v10, 13, v17
	v_and_b32_e32 v11, 0x1ff, v18
	v_lshrrev_b32_e32 v12, 13, v18
	v_bfe_u32 v29, v17, 9, 7
	v_lshlrev_b32_e32 v9, 3, v9
	v_and_b32_e32 v10, 0xff8, v10
	v_lshlrev_b32_e32 v11, 3, v11
	v_and_b32_e32 v12, 0xff8, v12
	v_bcnt_u32_b32 v33, v29, 0
	s_clause 0x3
	global_load_b64 v[19:20], v9, s[4:5]
	global_load_b64 v[21:22], v10, s[4:5]
	;; [unrolled: 1-line block ×4, first 2 shown]
	s_clause 0x2
	global_load_b128 v[9:12], v[0:1], off offset:-32
	global_load_b128 v[13:16], v[0:1], off offset:-16
	global_load_b32 v28, v[0:1], off
	v_lshrrev_b32_e32 v30, 25, v17
	v_bfe_u32 v31, v18, 9, 7
	v_lshrrev_b32_e32 v32, 25, v18
	v_and_b32_e32 v33, 1, v33
	s_delay_alu instid0(VALU_DEP_4) | instskip(NEXT) | instid1(VALU_DEP_4)
	v_bcnt_u32_b32 v30, v30, 0
	v_bcnt_u32_b32 v34, v31, 0
	s_delay_alu instid0(VALU_DEP_4) | instskip(NEXT) | instid1(VALU_DEP_4)
	v_bcnt_u32_b32 v32, v32, 0
	v_lshl_or_b32 v29, v33, 7, v29
	s_delay_alu instid0(VALU_DEP_4) | instskip(NEXT) | instid1(VALU_DEP_4)
	v_and_b32_e32 v30, 1, v30
	v_and_b32_e32 v34, 1, v34
	s_delay_alu instid0(VALU_DEP_4) | instskip(NEXT) | instid1(VALU_DEP_4)
	v_and_b32_e32 v32, 1, v32
	v_mul_lo_u32 v29, 0x1010101, v29
	s_delay_alu instid0(VALU_DEP_4) | instskip(NEXT) | instid1(VALU_DEP_4)
	v_alignbit_b32 v17, v30, v17, 25
	v_lshl_or_b32 v30, v34, 7, v31
	s_delay_alu instid0(VALU_DEP_4) | instskip(NEXT) | instid1(VALU_DEP_3)
	v_alignbit_b32 v18, v32, v18, 25
	v_mul_lo_u32 v17, 0x1010101, v17
	v_and_b32_e32 v31, 0x8040201, v29
	v_and_b32_e32 v34, 0x80402010, v29
	v_mul_lo_u32 v30, 0x1010101, v30
	v_mul_lo_u32 v18, 0x1010101, v18
	v_lshrrev_b32_e32 v32, 18, v29
	v_lshrrev_b16 v47, 8, v31
	v_lshrrev_b32_e32 v31, 24, v31
	v_lshrrev_b16 v49, 8, v34
	v_and_b32_e32 v35, 0x8040201, v17
	v_lshrrev_b32_e32 v50, 24, v34
	v_cmp_ne_u16_e32 vcc_lo, 0, v47
	v_and_b32_e32 v38, 0x80402010, v17
	v_and_b32_e32 v39, 0x8040201, v30
	v_lshrrev_b16 v51, 8, v35
	v_lshrrev_b32_e32 v35, 24, v35
	s_wait_alu 0xfffd
	v_cndmask_b32_e64 v47, 0, -1, vcc_lo
	v_cmp_ne_u16_e32 vcc_lo, 0, v31
	v_lshrrev_b16 v53, 8, v38
	v_lshrrev_b32_e32 v54, 24, v38
	v_lshrrev_b16 v55, 8, v39
	v_and_b32_e32 v42, 0x80402010, v30
	s_wait_alu 0xfffd
	v_cndmask_b32_e64 v31, 0, -1, vcc_lo
	v_cmp_ne_u16_e32 vcc_lo, 0, v49
	v_lshrrev_b32_e32 v39, 24, v39
	v_and_b32_e32 v43, 0x8040201, v18
	v_lshrrev_b16 v57, 8, v42
	v_lshrrev_b32_e32 v58, 24, v42
	s_wait_alu 0xfffd
	v_cndmask_b32_e64 v49, 0, -1, vcc_lo
	v_cmp_ne_u16_e32 vcc_lo, 0, v50
	v_lshrrev_b16 v59, 8, v43
	v_and_b32_e32 v46, 0x80402010, v18
	v_lshrrev_b32_e32 v43, 24, v43
	v_bfe_i32 v33, v29, 0, 1
	s_wait_alu 0xfffd
	v_cndmask_b32_e64 v50, 0, -1, vcc_lo
	v_cmp_ne_u16_e32 vcc_lo, 0, v51
	v_lshrrev_b16 v61, 8, v46
	v_lshrrev_b32_e32 v29, 22, v29
	v_lshrrev_b32_e32 v36, 18, v17
	v_bfe_i32 v37, v17, 0, 1
	s_wait_alu 0xfffd
	v_cndmask_b32_e64 v51, 0, -1, vcc_lo
	v_cmp_ne_u16_e32 vcc_lo, 0, v35
	v_lshrrev_b32_e32 v17, 22, v17
	v_lshrrev_b32_e32 v40, 18, v30
	v_lshrrev_b16 v34, 4, v34
	v_lshrrev_b16 v38, 4, v38
	s_wait_alu 0xfffd
	v_cndmask_b32_e64 v35, 0, -1, vcc_lo
	v_cmp_ne_u16_e32 vcc_lo, 0, v53
	v_lshrrev_b32_e32 v62, 24, v46
	v_bfe_i32 v41, v30, 0, 1
	v_lshrrev_b32_e32 v30, 22, v30
	v_lshrrev_b32_e32 v44, 18, v18
	s_wait_alu 0xfffd
	v_cndmask_b32_e64 v53, 0, -1, vcc_lo
	v_cmp_ne_u16_e32 vcc_lo, 0, v54
	v_bfe_i32 v45, v18, 0, 1
	v_lshrrev_b32_e32 v18, 22, v18
	v_bfe_i32 v32, v32, 0, 1
	v_bfe_i32 v29, v29, 0, 1
	s_wait_alu 0xfffd
	v_cndmask_b32_e64 v54, 0, -1, vcc_lo
	v_cmp_ne_u16_e32 vcc_lo, 0, v55
	v_bfe_i32 v36, v36, 0, 1
	v_bfe_i32 v17, v17, 0, 1
	;; [unrolled: 1-line block ×3, first 2 shown]
	v_lshrrev_b16 v42, 4, v42
	s_wait_alu 0xfffd
	v_cndmask_b32_e64 v55, 0, -1, vcc_lo
	v_cmp_ne_u16_e32 vcc_lo, 0, v39
	v_lshrrev_b16 v46, 4, v46
	v_bfe_i32 v34, v34, 0, 1
	v_bfe_i32 v38, v38, 0, 1
	v_and_b32_e32 v48, 0xff, v33
	s_wait_alu 0xfffd
	v_cndmask_b32_e64 v39, 0, -1, vcc_lo
	v_cmp_ne_u16_e32 vcc_lo, 0, v57
	v_and_b32_e32 v52, 0xff, v37
	v_and_b32_e32 v56, 0xff, v41
	v_bfe_i32 v30, v30, 0, 1
	v_bfe_i32 v44, v44, 0, 1
	s_wait_alu 0xfffd
	v_cndmask_b32_e64 v57, 0, -1, vcc_lo
	v_cmp_ne_u16_e32 vcc_lo, 0, v58
	v_bfe_i32 v18, v18, 0, 1
	v_and_b32_e32 v63, 0xff, v32
	v_and_b32_e32 v64, 0xff, v29
	;; [unrolled: 1-line block ×3, first 2 shown]
	s_wait_alu 0xfffd
	v_cndmask_b32_e64 v58, 0, -1, vcc_lo
	v_cmp_ne_u16_e32 vcc_lo, 0, v59
	v_and_b32_e32 v66, 0xff, v17
	v_and_b32_e32 v67, 0xff, v40
	v_bfe_i32 v42, v42, 0, 1
	v_bfe_i32 v46, v46, 0, 1
	s_wait_alu 0xfffd
	v_cndmask_b32_e64 v59, 0, -1, vcc_lo
	v_cmp_ne_u16_e32 vcc_lo, 0, v43
	v_lshlrev_b16 v47, 8, v47
	v_lshlrev_b16 v31, 8, v31
	v_and_b32_e32 v71, 0xff, v34
	v_lshlrev_b16 v49, 8, v49
	s_wait_alu 0xfffd
	v_cndmask_b32_e64 v43, 0, -1, vcc_lo
	v_cmp_ne_u16_e32 vcc_lo, 0, v61
	v_lshlrev_b16 v50, 8, v50
	v_lshlrev_b16 v51, 8, v51
	;; [unrolled: 1-line block ×3, first 2 shown]
	v_and_b32_e32 v72, 0xff, v38
	s_wait_alu 0xfffd
	v_cndmask_b32_e64 v61, 0, -1, vcc_lo
	v_cmp_ne_u16_e32 vcc_lo, 0, v62
	v_lshlrev_b16 v53, 8, v53
	v_lshlrev_b16 v54, 8, v54
	;; [unrolled: 1-line block ×4, first 2 shown]
	s_wait_alu 0xfffd
	v_cndmask_b32_e64 v62, 0, -1, vcc_lo
	v_and_b32_e32 v60, 0xff, v45
	v_and_b32_e32 v68, 0xff, v30
	;; [unrolled: 1-line block ×5, first 2 shown]
	v_lshlrev_b16 v57, 8, v57
	v_lshlrev_b16 v58, 8, v58
	v_lshlrev_b16 v59, 8, v59
	v_lshlrev_b16 v43, 8, v43
	v_and_b32_e32 v74, 0xff, v46
	v_lshlrev_b16 v61, 8, v61
	v_lshlrev_b16 v62, 8, v62
	v_or_b32_e32 v48, v48, v47
	v_or_b32_e32 v63, v63, v31
	;; [unrolled: 1-line block ×16, first 2 shown]
	v_and_b32_e32 v48, 0xffff, v48
	v_lshlrev_b32_e32 v63, 16, v63
	v_and_b32_e32 v71, 0xffff, v71
	v_lshlrev_b32_e32 v64, 16, v64
	;; [unrolled: 2-line block ×8, first 2 shown]
	v_or_b32_e32 v48, v48, v63
	v_or_b32_e32 v63, v71, v64
	;; [unrolled: 1-line block ×8, first 2 shown]
	v_lshlrev_b16 v33, 8, v33
	v_lshlrev_b16 v37, 8, v37
	;; [unrolled: 1-line block ×16, first 2 shown]
	v_add_co_u32 v0, vcc_lo, 0x480, v0
	s_wait_alu 0xfffd
	v_add_co_ci_u32_e64 v1, null, 0, v1, vcc_lo
	s_wait_loadcnt 0x6
	v_xor_b32_e32 v19, v19, v48
	v_xor_b32_e32 v20, v20, v63
	s_wait_loadcnt 0x5
	v_xor_b32_e32 v21, v21, v52
	v_xor_b32_e32 v22, v22, v64
	s_wait_loadcnt 0x4
	v_xor_b32_e32 v23, v23, v56
	v_xor_b32_e32 v24, v24, v65
	s_wait_loadcnt 0x3
	v_xor_b32_e32 v25, v25, v60
	v_xor_b32_e32 v26, v26, v66
	v_lshrrev_b32_e32 v48, 16, v19
	v_and_b32_e32 v52, 0xffffff00, v19
	v_lshlrev_b16 v19, 8, v19
	v_lshrrev_b32_e32 v56, 16, v20
	v_and_b32_e32 v60, 0xffffff00, v20
	v_lshlrev_b16 v20, 8, v20
	;; [unrolled: 3-line block ×6, first 2 shown]
	v_sub_nc_i16 v47, v52, v47 clamp
	v_sub_nc_i16 v19, v19, v33 clamp
	v_and_b32_e32 v33, 0xffffff00, v48
	v_lshlrev_b16 v48, 8, v48
	v_sub_nc_i16 v20, v20, v34 clamp
	v_and_b32_e32 v34, 0xffffff00, v56
	v_lshlrev_b16 v52, 8, v56
	;; [unrolled: 3-line block ×3, first 2 shown]
	v_sub_nc_i16 v22, v22, v38 clamp
	v_and_b32_e32 v38, 0xffffff00, v65
	v_sub_nc_i16 v23, v23, v41 clamp
	v_and_b32_e32 v41, 0xffffff00, v67
	v_lshlrev_b16 v63, 8, v67
	v_lshrrev_b32_e32 v71, 16, v25
	v_and_b32_e32 v72, 0xffffff00, v25
	v_lshlrev_b16 v25, 8, v25
	v_sub_nc_i16 v51, v64, v51 clamp
	v_sub_nc_i16 v55, v68, v55 clamp
	;; [unrolled: 1-line block ×3, first 2 shown]
	v_and_b32_e32 v42, 0xffffff00, v69
	v_lshlrev_b16 v64, 8, v69
	v_sub_nc_i16 v31, v33, v31 clamp
	v_sub_nc_i16 v32, v48, v32 clamp
	;; [unrolled: 1-line block ×9, first 2 shown]
	v_lshrrev_b32_e32 v73, 16, v26
	v_and_b32_e32 v74, 0xffffff00, v26
	v_lshlrev_b16 v26, 8, v26
	v_sub_nc_i16 v49, v60, v49 clamp
	v_lshlrev_b16 v60, 8, v65
	v_sub_nc_i16 v57, v70, v57 clamp
	v_sub_nc_i16 v25, v25, v45 clamp
	v_and_b32_e32 v45, 0xffffff00, v71
	v_lshlrev_b16 v65, 8, v71
	v_perm_b32 v19, v19, v47, 0xc0c0105
	v_perm_b32 v23, v23, v55, 0xc0c0105
	v_sub_nc_i16 v39, v42, v58 clamp
	v_sub_nc_i16 v30, v64, v30 clamp
	v_perm_b32 v31, v32, v31, 0xc0c0105
	v_perm_b32 v29, v29, v33, 0xc0c0105
	;; [unrolled: 1-line block ×3, first 2 shown]
	v_sub_nc_i16 v53, v66, v53 clamp
	v_sub_nc_i16 v59, v72, v59 clamp
	;; [unrolled: 1-line block ×3, first 2 shown]
	v_and_b32_e32 v46, 0xffffff00, v73
	v_lshlrev_b16 v66, 8, v73
	v_perm_b32 v20, v20, v49, 0xc0c0105
	v_perm_b32 v24, v24, v57, 0xc0c0105
	v_sub_nc_i16 v40, v45, v43 clamp
	v_sub_nc_i16 v41, v65, v44 clamp
	v_perm_b32 v30, v30, v39, 0xc0c0105
	v_lshl_or_b32 v19, v31, 16, v19
	v_lshl_or_b32 v23, v33, 16, v23
	v_sub_nc_i16 v61, v74, v61 clamp
	v_perm_b32 v21, v21, v51, 0xc0c0105
	v_sub_nc_i16 v17, v60, v17 clamp
	v_perm_b32 v25, v25, v59, 0xc0c0105
	v_sub_nc_i16 v42, v46, v62 clamp
	v_sub_nc_i16 v18, v66, v18 clamp
	v_perm_b32 v32, v35, v34, 0xc0c0105
	v_perm_b32 v34, v41, v40, 0xc0c0105
	v_lshl_or_b32 v20, v29, 16, v20
	v_lshl_or_b32 v24, v30, 16, v24
	s_wait_loadcnt 0x2
	v_dot4_i32_iu8 v10, v19, v10, 0 neg_lo:[1,1,0]
	s_wait_loadcnt 0x1
	v_dot4_i32_iu8 v14, v23, v14, 0 neg_lo:[1,1,0]
	v_perm_b32 v22, v22, v53, 0xc0c0105
	v_perm_b32 v26, v26, v61, 0xc0c0105
	;; [unrolled: 1-line block ×4, first 2 shown]
	v_lshl_or_b32 v19, v32, 16, v21
	v_lshl_or_b32 v21, v34, 16, v25
	v_dot4_i32_iu8 v10, v20, v11, v10 neg_lo:[1,1,0]
	v_dot4_i32_iu8 v11, v24, v15, v14 neg_lo:[1,1,0]
	v_lshl_or_b32 v14, v17, 16, v22
	v_lshl_or_b32 v15, v18, 16, v26
	v_cvt_f32_f16_e32 v9, v9
	v_dot4_i32_iu8 v10, v19, v12, v10 neg_lo:[1,1,0]
	v_dot4_i32_iu8 v11, v21, v16, v11 neg_lo:[1,1,0]
	s_delay_alu instid0(VALU_DEP_2) | instskip(SKIP_1) | instid1(VALU_DEP_2)
	v_dot4_i32_iu8 v10, v14, v13, v10 neg_lo:[1,1,0]
	s_wait_loadcnt 0x0
	v_dot4_i32_iu8 v11, v15, v28, v11 neg_lo:[1,1,0]
	v_and_b32_e32 v13, 15, v8
	v_lshrrev_b32_e32 v8, 4, v8
	s_delay_alu instid0(VALU_DEP_3) | instskip(NEXT) | instid1(VALU_DEP_3)
	v_add_nc_u32_e32 v12, v11, v10
	v_mul_lo_u32 v10, v10, v13
	s_delay_alu instid0(VALU_DEP_3) | instskip(NEXT) | instid1(VALU_DEP_3)
	v_mul_lo_u32 v8, v11, v8
	v_lshrrev_b32_e32 v14, 31, v12
	s_delay_alu instid0(VALU_DEP_1) | instskip(NEXT) | instid1(VALU_DEP_1)
	v_add_nc_u32_e32 v12, v12, v14
	v_ashrrev_i32_e32 v11, 1, v12
	s_delay_alu instid0(VALU_DEP_1) | instskip(NEXT) | instid1(VALU_DEP_1)
	v_add3_u32 v8, v8, v10, v11
	v_ashrrev_i32_e32 v10, 31, v8
	s_delay_alu instid0(VALU_DEP_1) | instskip(NEXT) | instid1(VALU_DEP_1)
	v_lshrrev_b32_e32 v10, 30, v10
	v_add_nc_u32_e32 v8, v8, v10
	v_cvt_f32_f16_e32 v10, v27
	s_delay_alu instid0(VALU_DEP_2) | instskip(NEXT) | instid1(VALU_DEP_2)
	v_ashrrev_i32_e32 v8, 2, v8
	v_mul_f32_e32 v9, v10, v9
	s_delay_alu instid0(VALU_DEP_2) | instskip(NEXT) | instid1(VALU_DEP_1)
	v_cvt_f32_i32_e32 v8, v8
	v_fmac_f32_e32 v4, v9, v8
	s_wait_alu 0xfffe
	s_and_not1_b32 exec_lo, exec_lo, s3
	s_cbranch_execnz .LBB172_7
; %bb.8:
	s_or_b32 exec_lo, exec_lo, s3
.LBB172_9:
	s_delay_alu instid0(SALU_CYCLE_1)
	s_or_b32 exec_lo, exec_lo, s17
	; wave barrier
	global_inv scope:SCOPE_SE
	s_mov_b32 s2, exec_lo
	v_cmpx_eq_u32_e32 0, v3
	s_cbranch_execz .LBB172_12
; %bb.10:
	v_mbcnt_lo_u32_b32 v0, -1, 0
	s_delay_alu instid0(VALU_DEP_1) | instskip(SKIP_1) | instid1(VALU_DEP_2)
	v_xor_b32_e32 v1, 16, v0
	v_xor_b32_e32 v3, 8, v0
	v_cmp_gt_i32_e32 vcc_lo, 32, v1
	s_wait_alu 0xfffd
	v_cndmask_b32_e32 v1, v0, v1, vcc_lo
	s_delay_alu instid0(VALU_DEP_3) | instskip(NEXT) | instid1(VALU_DEP_2)
	v_cmp_gt_i32_e32 vcc_lo, 32, v3
	v_lshlrev_b32_e32 v1, 2, v1
	s_wait_alu 0xfffd
	v_cndmask_b32_e32 v3, v0, v3, vcc_lo
	ds_bpermute_b32 v1, v1, v4
	v_lshlrev_b32_e32 v3, 2, v3
	s_wait_dscnt 0x0
	v_add_f32_e32 v1, v4, v1
	v_xor_b32_e32 v4, 4, v0
	ds_bpermute_b32 v3, v3, v1
	v_cmp_gt_i32_e32 vcc_lo, 32, v4
	s_wait_alu 0xfffd
	v_cndmask_b32_e32 v4, v0, v4, vcc_lo
	s_wait_dscnt 0x0
	s_delay_alu instid0(VALU_DEP_1) | instskip(SKIP_2) | instid1(VALU_DEP_1)
	v_dual_add_f32 v1, v1, v3 :: v_dual_lshlrev_b32 v4, 2, v4
	ds_bpermute_b32 v3, v4, v1
	v_xor_b32_e32 v4, 2, v0
	v_cmp_gt_i32_e32 vcc_lo, 32, v4
	s_wait_alu 0xfffd
	v_cndmask_b32_e32 v4, v0, v4, vcc_lo
	s_wait_dscnt 0x0
	s_delay_alu instid0(VALU_DEP_1) | instskip(SKIP_2) | instid1(VALU_DEP_1)
	v_dual_add_f32 v1, v1, v3 :: v_dual_lshlrev_b32 v4, 2, v4
	ds_bpermute_b32 v3, v4, v1
	v_xor_b32_e32 v4, 1, v0
	v_cmp_gt_i32_e32 vcc_lo, 32, v4
	s_wait_alu 0xfffd
	v_cndmask_b32_e32 v0, v0, v4, vcc_lo
	v_cmp_eq_u32_e32 vcc_lo, 0, v2
	s_delay_alu instid0(VALU_DEP_2)
	v_lshlrev_b32_e32 v4, 2, v0
	s_wait_dscnt 0x0
	v_add_f32_e32 v0, v1, v3
	ds_bpermute_b32 v1, v4, v0
	s_and_b32 exec_lo, exec_lo, vcc_lo
	s_cbranch_execz .LBB172_12
; %bb.11:
	s_load_b64 s[0:1], s[0:1], 0x38
	s_wait_kmcnt 0x0
	s_mul_i32 s2, s6, s15
	s_mul_i32 s3, s14, s16
	s_wait_alu 0xfffe
	s_add_co_i32 s2, s2, ttmp9
	s_wait_dscnt 0x0
	v_dual_add_f32 v0, v0, v1 :: v_dual_mov_b32 v1, 0
	s_wait_alu 0xfffe
	s_add_co_i32 s2, s2, s3
	s_mov_b32 s3, 0
	s_wait_alu 0xfffe
	s_lshl_b64 s[2:3], s[2:3], 2
	s_wait_alu 0xfffe
	s_add_nc_u64 s[0:1], s[0:1], s[2:3]
	global_store_b32 v1, v0, s[0:1]
.LBB172_12:
	s_endpgm
.LBB172_13:
                                        ; implicit-def: $sgpr19
	s_clause 0x1
	s_load_b128 s[4:7], s[0:1], 0x68
	s_load_b32 s20, s[0:1], 0x50
	s_branch .LBB172_2
	.section	.rodata,"a",@progbits
	.p2align	6, 0x0
	.amdhsa_kernel _ZL13mul_mat_vec_qIL9ggml_type17ELi1ELb0ELb0EEvPKvS2_PKi31ggml_cuda_mm_fusion_args_devicePfj15HIP_vector_typeIjLj3EEjjjS8_jjjS8_jjjj
		.amdhsa_group_segment_fixed_size 0
		.amdhsa_private_segment_fixed_size 0
		.amdhsa_kernarg_size 144
		.amdhsa_user_sgpr_count 2
		.amdhsa_user_sgpr_dispatch_ptr 0
		.amdhsa_user_sgpr_queue_ptr 0
		.amdhsa_user_sgpr_kernarg_segment_ptr 1
		.amdhsa_user_sgpr_dispatch_id 0
		.amdhsa_user_sgpr_private_segment_size 0
		.amdhsa_wavefront_size32 1
		.amdhsa_uses_dynamic_stack 0
		.amdhsa_enable_private_segment 0
		.amdhsa_system_sgpr_workgroup_id_x 1
		.amdhsa_system_sgpr_workgroup_id_y 1
		.amdhsa_system_sgpr_workgroup_id_z 1
		.amdhsa_system_sgpr_workgroup_info 0
		.amdhsa_system_vgpr_workitem_id 1
		.amdhsa_next_free_vgpr 75
		.amdhsa_next_free_sgpr 22
		.amdhsa_reserve_vcc 1
		.amdhsa_float_round_mode_32 0
		.amdhsa_float_round_mode_16_64 0
		.amdhsa_float_denorm_mode_32 3
		.amdhsa_float_denorm_mode_16_64 3
		.amdhsa_fp16_overflow 0
		.amdhsa_workgroup_processor_mode 1
		.amdhsa_memory_ordered 1
		.amdhsa_forward_progress 1
		.amdhsa_inst_pref_size 28
		.amdhsa_round_robin_scheduling 0
		.amdhsa_exception_fp_ieee_invalid_op 0
		.amdhsa_exception_fp_denorm_src 0
		.amdhsa_exception_fp_ieee_div_zero 0
		.amdhsa_exception_fp_ieee_overflow 0
		.amdhsa_exception_fp_ieee_underflow 0
		.amdhsa_exception_fp_ieee_inexact 0
		.amdhsa_exception_int_div_zero 0
	.end_amdhsa_kernel
	.section	.text._ZL13mul_mat_vec_qIL9ggml_type17ELi1ELb0ELb0EEvPKvS2_PKi31ggml_cuda_mm_fusion_args_devicePfj15HIP_vector_typeIjLj3EEjjjS8_jjjS8_jjjj,"axG",@progbits,_ZL13mul_mat_vec_qIL9ggml_type17ELi1ELb0ELb0EEvPKvS2_PKi31ggml_cuda_mm_fusion_args_devicePfj15HIP_vector_typeIjLj3EEjjjS8_jjjS8_jjjj,comdat
.Lfunc_end172:
	.size	_ZL13mul_mat_vec_qIL9ggml_type17ELi1ELb0ELb0EEvPKvS2_PKi31ggml_cuda_mm_fusion_args_devicePfj15HIP_vector_typeIjLj3EEjjjS8_jjjS8_jjjj, .Lfunc_end172-_ZL13mul_mat_vec_qIL9ggml_type17ELi1ELb0ELb0EEvPKvS2_PKi31ggml_cuda_mm_fusion_args_devicePfj15HIP_vector_typeIjLj3EEjjjS8_jjjS8_jjjj
                                        ; -- End function
	.set _ZL13mul_mat_vec_qIL9ggml_type17ELi1ELb0ELb0EEvPKvS2_PKi31ggml_cuda_mm_fusion_args_devicePfj15HIP_vector_typeIjLj3EEjjjS8_jjjS8_jjjj.num_vgpr, 75
	.set _ZL13mul_mat_vec_qIL9ggml_type17ELi1ELb0ELb0EEvPKvS2_PKi31ggml_cuda_mm_fusion_args_devicePfj15HIP_vector_typeIjLj3EEjjjS8_jjjS8_jjjj.num_agpr, 0
	.set _ZL13mul_mat_vec_qIL9ggml_type17ELi1ELb0ELb0EEvPKvS2_PKi31ggml_cuda_mm_fusion_args_devicePfj15HIP_vector_typeIjLj3EEjjjS8_jjjS8_jjjj.numbered_sgpr, 22
	.set _ZL13mul_mat_vec_qIL9ggml_type17ELi1ELb0ELb0EEvPKvS2_PKi31ggml_cuda_mm_fusion_args_devicePfj15HIP_vector_typeIjLj3EEjjjS8_jjjS8_jjjj.num_named_barrier, 0
	.set _ZL13mul_mat_vec_qIL9ggml_type17ELi1ELb0ELb0EEvPKvS2_PKi31ggml_cuda_mm_fusion_args_devicePfj15HIP_vector_typeIjLj3EEjjjS8_jjjS8_jjjj.private_seg_size, 0
	.set _ZL13mul_mat_vec_qIL9ggml_type17ELi1ELb0ELb0EEvPKvS2_PKi31ggml_cuda_mm_fusion_args_devicePfj15HIP_vector_typeIjLj3EEjjjS8_jjjS8_jjjj.uses_vcc, 1
	.set _ZL13mul_mat_vec_qIL9ggml_type17ELi1ELb0ELb0EEvPKvS2_PKi31ggml_cuda_mm_fusion_args_devicePfj15HIP_vector_typeIjLj3EEjjjS8_jjjS8_jjjj.uses_flat_scratch, 0
	.set _ZL13mul_mat_vec_qIL9ggml_type17ELi1ELb0ELb0EEvPKvS2_PKi31ggml_cuda_mm_fusion_args_devicePfj15HIP_vector_typeIjLj3EEjjjS8_jjjS8_jjjj.has_dyn_sized_stack, 0
	.set _ZL13mul_mat_vec_qIL9ggml_type17ELi1ELb0ELb0EEvPKvS2_PKi31ggml_cuda_mm_fusion_args_devicePfj15HIP_vector_typeIjLj3EEjjjS8_jjjS8_jjjj.has_recursion, 0
	.set _ZL13mul_mat_vec_qIL9ggml_type17ELi1ELb0ELb0EEvPKvS2_PKi31ggml_cuda_mm_fusion_args_devicePfj15HIP_vector_typeIjLj3EEjjjS8_jjjS8_jjjj.has_indirect_call, 0
	.section	.AMDGPU.csdata,"",@progbits
; Kernel info:
; codeLenInByte = 3492
; TotalNumSgprs: 24
; NumVgprs: 75
; ScratchSize: 0
; MemoryBound: 0
; FloatMode: 240
; IeeeMode: 1
; LDSByteSize: 0 bytes/workgroup (compile time only)
; SGPRBlocks: 0
; VGPRBlocks: 9
; NumSGPRsForWavesPerEU: 24
; NumVGPRsForWavesPerEU: 75
; Occupancy: 16
; WaveLimiterHint : 0
; COMPUTE_PGM_RSRC2:SCRATCH_EN: 0
; COMPUTE_PGM_RSRC2:USER_SGPR: 2
; COMPUTE_PGM_RSRC2:TRAP_HANDLER: 0
; COMPUTE_PGM_RSRC2:TGID_X_EN: 1
; COMPUTE_PGM_RSRC2:TGID_Y_EN: 1
; COMPUTE_PGM_RSRC2:TGID_Z_EN: 1
; COMPUTE_PGM_RSRC2:TIDIG_COMP_CNT: 1
	.section	.text._ZL13mul_mat_vec_qIL9ggml_type17ELi2ELb0ELb0EEvPKvS2_PKi31ggml_cuda_mm_fusion_args_devicePfj15HIP_vector_typeIjLj3EEjjjS8_jjjS8_jjjj,"axG",@progbits,_ZL13mul_mat_vec_qIL9ggml_type17ELi2ELb0ELb0EEvPKvS2_PKi31ggml_cuda_mm_fusion_args_devicePfj15HIP_vector_typeIjLj3EEjjjS8_jjjS8_jjjj,comdat
	.globl	_ZL13mul_mat_vec_qIL9ggml_type17ELi2ELb0ELb0EEvPKvS2_PKi31ggml_cuda_mm_fusion_args_devicePfj15HIP_vector_typeIjLj3EEjjjS8_jjjS8_jjjj ; -- Begin function _ZL13mul_mat_vec_qIL9ggml_type17ELi2ELb0ELb0EEvPKvS2_PKi31ggml_cuda_mm_fusion_args_devicePfj15HIP_vector_typeIjLj3EEjjjS8_jjjS8_jjjj
	.p2align	8
	.type	_ZL13mul_mat_vec_qIL9ggml_type17ELi2ELb0ELb0EEvPKvS2_PKi31ggml_cuda_mm_fusion_args_devicePfj15HIP_vector_typeIjLj3EEjjjS8_jjjS8_jjjj,@function
_ZL13mul_mat_vec_qIL9ggml_type17ELi2ELb0ELb0EEvPKvS2_PKi31ggml_cuda_mm_fusion_args_devicePfj15HIP_vector_typeIjLj3EEjjjS8_jjjS8_jjjj: ; @_ZL13mul_mat_vec_qIL9ggml_type17ELi2ELb0ELb0EEvPKvS2_PKi31ggml_cuda_mm_fusion_args_devicePfj15HIP_vector_typeIjLj3EEjjjS8_jjjS8_jjjj
; %bb.0:
	s_clause 0x5
	s_load_b96 s[16:18], s[0:1], 0x80
	s_load_b32 s2, s[0:1], 0x40
	s_load_b128 s[4:7], s[0:1], 0x50
	s_load_b32 s24, s[0:1], 0x60
	s_load_b128 s[8:11], s[0:1], 0x68
	s_load_b32 s23, s[0:1], 0x78
	v_bfe_u32 v6, v0, 10, 10
	v_dual_mov_b32 v5, 0 :: v_dual_and_b32 v4, 0x3ff, v0
	v_mov_b32_e32 v8, 0
	s_and_b32 s19, ttmp7, 0xffff
	s_lshr_b32 s20, ttmp7, 16
	s_delay_alu instid0(VALU_DEP_2) | instskip(SKIP_1) | instid1(VALU_DEP_1)
	v_lshl_or_b32 v0, v6, 5, v4
	s_mov_b32 s22, exec_lo
	v_lshrrev_b32_e32 v7, 3, v0
	s_wait_kmcnt 0x0
	s_lshr_b32 s21, s2, 8
	s_delay_alu instid0(VALU_DEP_1) | instid1(SALU_CYCLE_1)
	v_cmpx_gt_u32_e64 s21, v7
	s_cbranch_execz .LBB173_4
; %bb.1:
	v_lshl_add_u32 v0, v6, 5, v4
	s_mov_b32 s3, 0
	s_mul_i32 s12, s9, s19
	s_mov_b32 s13, s3
	v_dual_mov_b32 v5, 0 :: v_dual_lshlrev_b32 v2, 1, v4
	v_lshrrev_b32_e32 v0, 3, v0
	s_mul_u64 s[26:27], s[12:13], 36
	s_load_b128 s[12:15], s[0:1], 0x0
	s_mul_i32 s2, s17, s20
	v_and_b32_e32 v2, 14, v2
	v_mad_co_u64_u32 v[0:1], null, 0x120, v0, s[26:27]
	v_and_b32_e32 v9, 7, v4
	s_mul_i32 s9, s4, ttmp9
	s_delay_alu instid0(VALU_DEP_3) | instskip(SKIP_3) | instid1(VALU_DEP_4)
	v_lshlrev_b32_e32 v8, 1, v2
	s_mul_hi_u32 s4, s7, s19
	s_mul_hi_u32 s7, s11, s20
	v_lshl_add_u32 v10, v7, 3, s5
	v_mad_co_u64_u32 v[0:1], null, s2, 36, v[0:1]
	v_dual_mov_b32 v8, 0 :: v_dual_lshlrev_b32 v11, 1, v8
	s_add_co_i32 s11, s19, s4
	s_mul_u64 s[4:5], s[2:3], 36
	s_add_co_i32 s7, s20, s7
	s_lshr_b32 s2, s11, s24
	s_delay_alu instid0(VALU_DEP_2)
	v_mad_co_u64_u32 v[0:1], null, v9, 36, v[0:1]
	s_wait_kmcnt 0x0
	s_wait_alu 0xfffe
	s_add_nc_u64 s[4:5], s[14:15], s[4:5]
	s_lshr_b32 s7, s7, s23
	s_wait_alu 0xfffe
	s_add_nc_u64 s[4:5], s[4:5], s[26:27]
	s_mul_i32 s2, s2, s8
	s_mul_i32 s7, s7, s16
	s_wait_alu 0xfffe
	s_add_co_i32 s2, s2, s9
	v_add_co_u32 v2, vcc_lo, s14, v0
	s_delay_alu instid0(VALU_DEP_1) | instskip(SKIP_1) | instid1(VALU_DEP_3)
	v_add_co_ci_u32_e64 v3, null, s15, v1, vcc_lo
	v_mad_co_u64_u32 v[0:1], null, v9, 36, s[4:5]
	v_add_co_u32 v2, vcc_lo, v2, 32
	s_wait_alu 0xfffd
	s_delay_alu instid0(VALU_DEP_3)
	v_add_co_ci_u32_e64 v3, null, 0, v3, vcc_lo
	s_wait_alu 0xfffe
	s_add_co_i32 s7, s7, s2
.LBB173_2:                              ; =>This Inner Loop Header: Depth=1
	s_delay_alu instid0(SALU_CYCLE_1)
	v_add_nc_u32_e32 v12, s7, v7
	s_getpc_b64 s[4:5]
	s_wait_alu 0xfffe
	s_sext_i32_i16 s5, s5
	s_add_co_u32 s4, s4, _ZL10iq2xs_grid@rel32@lo+12
	s_wait_alu 0xfffe
	s_add_co_ci_u32 s5, s5, _ZL10iq2xs_grid@rel32@hi+24
	v_mad_co_u64_u32 v[39:40], null, v10, 36, v[0:1]
	v_add_nc_u32_e32 v7, 4, v7
	v_mad_co_i64_i32 v[13:14], null, 0x4a, v12, s[12:13]
	v_add_nc_u32_e32 v10, 32, v10
	s_delay_alu instid0(VALU_DEP_3) | instskip(NEXT) | instid1(VALU_DEP_3)
	v_cmp_le_u32_e64 s2, s21, v7
	v_add_co_u32 v15, vcc_lo, v13, v11
	s_wait_alu 0xfffd
	s_delay_alu instid0(VALU_DEP_4)
	v_add_co_ci_u32_e64 v16, null, 0, v14, vcc_lo
	s_or_b32 s3, s2, s3
	global_load_b64 v[29:30], v[15:16], off offset:2
	v_add_co_u32 v15, vcc_lo, v13, v9
	s_wait_alu 0xfffd
	v_add_co_ci_u32_e64 v16, null, 0, v14, vcc_lo
	s_clause 0x1
	global_load_u8 v12, v[15:16], off offset:66
	global_load_u16 v41, v[13:14], off
	s_wait_loadcnt 0x2
	v_and_b32_e32 v13, 0x1ff, v29
	v_lshrrev_b32_e32 v14, 13, v29
	v_and_b32_e32 v15, 0x1ff, v30
	v_lshrrev_b32_e32 v16, 13, v30
	v_lshrrev_b32_e32 v43, 25, v29
	v_lshlrev_b32_e32 v13, 3, v13
	v_and_b32_e32 v14, 0xff8, v14
	v_lshlrev_b32_e32 v15, 3, v15
	v_and_b32_e32 v16, 0xff8, v16
	v_bfe_u32 v44, v30, 9, 7
	s_clause 0x3
	global_load_b64 v[31:32], v13, s[4:5]
	global_load_b64 v[33:34], v14, s[4:5]
	;; [unrolled: 1-line block ×4, first 2 shown]
	s_clause 0x1
	global_load_b128 v[13:16], v[2:3], off offset:-32
	global_load_b128 v[17:20], v[2:3], off offset:-16
	s_clause 0x1
	global_load_b128 v[21:24], v[39:40], off
	global_load_b128 v[25:28], v[39:40], off offset:16
	global_load_b32 v42, v[2:3], off
	global_load_b32 v39, v[39:40], off offset:32
	v_bfe_u32 v40, v29, 9, 7
	v_bcnt_u32_b32 v43, v43, 0
	v_bcnt_u32_b32 v47, v44, 0
	v_lshrrev_b32_e32 v45, 25, v30
	s_delay_alu instid0(VALU_DEP_4) | instskip(NEXT) | instid1(VALU_DEP_4)
	v_bcnt_u32_b32 v46, v40, 0
	v_and_b32_e32 v43, 1, v43
	s_delay_alu instid0(VALU_DEP_4) | instskip(NEXT) | instid1(VALU_DEP_4)
	v_and_b32_e32 v47, 1, v47
	v_bcnt_u32_b32 v45, v45, 0
	s_delay_alu instid0(VALU_DEP_4) | instskip(NEXT) | instid1(VALU_DEP_4)
	v_and_b32_e32 v46, 1, v46
	v_alignbit_b32 v29, v43, v29, 25
	s_delay_alu instid0(VALU_DEP_4) | instskip(NEXT) | instid1(VALU_DEP_4)
	v_lshl_or_b32 v43, v47, 7, v44
	v_and_b32_e32 v45, 1, v45
	s_delay_alu instid0(VALU_DEP_4) | instskip(NEXT) | instid1(VALU_DEP_4)
	v_lshl_or_b32 v40, v46, 7, v40
	v_mul_lo_u32 v29, 0x1010101, v29
	s_delay_alu instid0(VALU_DEP_4) | instskip(NEXT) | instid1(VALU_DEP_4)
	v_mul_lo_u32 v43, 0x1010101, v43
	v_alignbit_b32 v30, v45, v30, 25
	s_delay_alu instid0(VALU_DEP_4) | instskip(NEXT) | instid1(VALU_DEP_2)
	v_mul_lo_u32 v40, 0x1010101, v40
	v_mul_lo_u32 v30, 0x1010101, v30
	v_and_b32_e32 v48, 0x8040201, v29
	v_and_b32_e32 v51, 0x80402010, v29
	;; [unrolled: 1-line block ×6, first 2 shown]
	v_lshrrev_b16 v64, 8, v48
	v_lshrrev_b32_e32 v48, 24, v48
	v_lshrrev_b16 v66, 8, v51
	v_lshrrev_b16 v60, 8, v44
	v_lshrrev_b32_e32 v44, 24, v44
	v_lshrrev_b16 v62, 8, v47
	v_lshrrev_b32_e32 v63, 24, v47
	v_lshrrev_b32_e32 v67, 24, v51
	v_cmp_ne_u16_e32 vcc_lo, 0, v60
	v_lshrrev_b16 v68, 8, v52
	v_lshrrev_b32_e32 v52, 24, v52
	v_lshrrev_b16 v70, 8, v55
	v_and_b32_e32 v56, 0x8040201, v30
	s_wait_alu 0xfffd
	v_cndmask_b32_e64 v60, 0, -1, vcc_lo
	v_cmp_ne_u16_e32 vcc_lo, 0, v44
	v_lshrrev_b32_e32 v71, 24, v55
	v_and_b32_e32 v59, 0x80402010, v30
	v_lshrrev_b16 v72, 8, v56
	v_lshrrev_b32_e32 v56, 24, v56
	s_wait_alu 0xfffd
	v_cndmask_b32_e64 v44, 0, -1, vcc_lo
	v_cmp_ne_u16_e32 vcc_lo, 0, v62
	v_lshrrev_b16 v74, 8, v59
	v_lshrrev_b32_e32 v45, 18, v40
	v_bfe_i32 v46, v40, 0, 1
	v_lshrrev_b32_e32 v40, 22, v40
	s_wait_alu 0xfffd
	v_cndmask_b32_e64 v62, 0, -1, vcc_lo
	v_cmp_ne_u16_e32 vcc_lo, 0, v63
	v_lshrrev_b32_e32 v49, 18, v29
	v_bfe_i32 v50, v29, 0, 1
	v_lshrrev_b32_e32 v29, 22, v29
	v_lshrrev_b32_e32 v53, 18, v43
	s_wait_alu 0xfffd
	v_cndmask_b32_e64 v63, 0, -1, vcc_lo
	v_cmp_ne_u16_e32 vcc_lo, 0, v64
	v_lshrrev_b16 v47, 4, v47
	v_lshrrev_b16 v51, 4, v51
	v_lshrrev_b32_e32 v75, 24, v59
	v_bfe_i32 v54, v43, 0, 1
	s_wait_alu 0xfffd
	v_cndmask_b32_e64 v64, 0, -1, vcc_lo
	v_cmp_ne_u16_e32 vcc_lo, 0, v48
	v_lshrrev_b32_e32 v43, 22, v43
	v_lshrrev_b32_e32 v57, 18, v30
	v_bfe_i32 v58, v30, 0, 1
	v_lshrrev_b32_e32 v30, 22, v30
	s_wait_alu 0xfffd
	v_cndmask_b32_e64 v48, 0, -1, vcc_lo
	v_cmp_ne_u16_e32 vcc_lo, 0, v66
	v_bfe_i32 v45, v45, 0, 1
	v_bfe_i32 v40, v40, 0, 1
	;; [unrolled: 1-line block ×4, first 2 shown]
	s_wait_alu 0xfffd
	v_cndmask_b32_e64 v66, 0, -1, vcc_lo
	v_cmp_ne_u16_e32 vcc_lo, 0, v67
	v_bfe_i32 v53, v53, 0, 1
	v_lshrrev_b16 v55, 4, v55
	v_lshrrev_b16 v59, 4, v59
	v_bfe_i32 v47, v47, 0, 1
	s_wait_alu 0xfffd
	v_cndmask_b32_e64 v67, 0, -1, vcc_lo
	v_cmp_ne_u16_e32 vcc_lo, 0, v68
	v_bfe_i32 v51, v51, 0, 1
	v_and_b32_e32 v61, 0xff, v46
	v_and_b32_e32 v65, 0xff, v50
	;; [unrolled: 1-line block ×3, first 2 shown]
	s_wait_alu 0xfffd
	v_cndmask_b32_e64 v68, 0, -1, vcc_lo
	v_cmp_ne_u16_e32 vcc_lo, 0, v52
	v_bfe_i32 v43, v43, 0, 1
	v_bfe_i32 v57, v57, 0, 1
	;; [unrolled: 1-line block ×3, first 2 shown]
	v_and_b32_e32 v76, 0xff, v45
	s_wait_alu 0xfffd
	v_cndmask_b32_e64 v52, 0, -1, vcc_lo
	v_cmp_ne_u16_e32 vcc_lo, 0, v70
	v_and_b32_e32 v77, 0xff, v40
	v_and_b32_e32 v78, 0xff, v49
	;; [unrolled: 1-line block ×4, first 2 shown]
	s_wait_alu 0xfffd
	v_cndmask_b32_e64 v70, 0, -1, vcc_lo
	v_cmp_ne_u16_e32 vcc_lo, 0, v71
	v_bfe_i32 v55, v55, 0, 1
	v_bfe_i32 v59, v59, 0, 1
	v_lshlrev_b16 v60, 8, v60
	v_lshlrev_b16 v44, 8, v44
	s_wait_alu 0xfffd
	v_cndmask_b32_e64 v71, 0, -1, vcc_lo
	v_cmp_ne_u16_e32 vcc_lo, 0, v72
	v_and_b32_e32 v84, 0xff, v47
	v_lshlrev_b16 v62, 8, v62
	v_lshlrev_b16 v63, 8, v63
	;; [unrolled: 1-line block ×3, first 2 shown]
	s_wait_alu 0xfffd
	v_cndmask_b32_e64 v72, 0, -1, vcc_lo
	v_cmp_ne_u16_e32 vcc_lo, 0, v56
	v_lshlrev_b16 v48, 8, v48
	v_and_b32_e32 v85, 0xff, v51
	v_lshlrev_b16 v66, 8, v66
	v_lshlrev_b16 v67, 8, v67
	s_wait_alu 0xfffd
	v_cndmask_b32_e64 v56, 0, -1, vcc_lo
	v_cmp_ne_u16_e32 vcc_lo, 0, v74
	v_lshlrev_b16 v68, 8, v68
	v_lshlrev_b16 v52, 8, v52
	v_and_b32_e32 v73, 0xff, v58
	v_and_b32_e32 v81, 0xff, v43
	s_wait_alu 0xfffd
	v_cndmask_b32_e64 v74, 0, -1, vcc_lo
	v_cmp_ne_u16_e32 vcc_lo, 0, v75
	v_and_b32_e32 v82, 0xff, v57
	v_and_b32_e32 v83, 0xff, v30
	;; [unrolled: 1-line block ×3, first 2 shown]
	v_lshlrev_b16 v70, 8, v70
	s_wait_alu 0xfffd
	v_cndmask_b32_e64 v75, 0, -1, vcc_lo
	v_lshlrev_b16 v71, 8, v71
	v_lshlrev_b16 v72, 8, v72
	;; [unrolled: 1-line block ×3, first 2 shown]
	v_and_b32_e32 v87, 0xff, v59
	v_lshlrev_b16 v74, 8, v74
	v_lshlrev_b16 v75, 8, v75
	v_or_b32_e32 v61, v61, v60
	v_or_b32_e32 v76, v76, v44
	v_or_b32_e32 v84, v84, v62
	v_or_b32_e32 v77, v77, v63
	v_or_b32_e32 v65, v65, v64
	v_or_b32_e32 v78, v78, v48
	v_or_b32_e32 v85, v85, v66
	v_or_b32_e32 v79, v79, v67
	v_or_b32_e32 v69, v69, v68
	v_or_b32_e32 v80, v80, v52
	v_or_b32_e32 v86, v86, v70
	v_or_b32_e32 v81, v81, v71
	v_or_b32_e32 v73, v73, v72
	v_or_b32_e32 v82, v82, v56
	v_or_b32_e32 v87, v87, v74
	v_or_b32_e32 v83, v83, v75
	v_and_b32_e32 v61, 0xffff, v61
	v_lshlrev_b32_e32 v76, 16, v76
	v_and_b32_e32 v84, 0xffff, v84
	v_lshlrev_b32_e32 v77, 16, v77
	;; [unrolled: 2-line block ×8, first 2 shown]
	v_or_b32_e32 v61, v61, v76
	v_or_b32_e32 v76, v84, v77
	;; [unrolled: 1-line block ×8, first 2 shown]
	v_lshlrev_b16 v46, 8, v46
	v_lshlrev_b16 v50, 8, v50
	v_lshlrev_b16 v54, 8, v54
	v_lshlrev_b16 v47, 8, v47
	v_lshlrev_b16 v51, 8, v51
	v_lshlrev_b16 v45, 8, v45
	v_lshlrev_b16 v40, 8, v40
	v_lshlrev_b16 v49, 8, v49
	v_lshlrev_b16 v29, 8, v29
	v_lshlrev_b16 v53, 8, v53
	v_lshlrev_b16 v55, 8, v55
	v_lshlrev_b16 v58, 8, v58
	v_lshlrev_b16 v43, 8, v43
	v_lshlrev_b16 v57, 8, v57
	v_lshlrev_b16 v59, 8, v59
	v_lshlrev_b16 v30, 8, v30
	v_add_co_u32 v2, vcc_lo, 0x480, v2
	s_wait_alu 0xfffd
	v_add_co_ci_u32_e64 v3, null, 0, v3, vcc_lo
	s_wait_loadcnt 0x5
	v_cvt_f32_f16_e32 v13, v13
	v_xor_b32_e32 v31, v31, v61
	v_xor_b32_e32 v32, v32, v76
	;; [unrolled: 1-line block ×8, first 2 shown]
	v_lshrrev_b32_e32 v61, 16, v31
	v_and_b32_e32 v65, 0xffffff00, v31
	v_lshlrev_b16 v31, 8, v31
	v_lshrrev_b32_e32 v69, 16, v32
	v_and_b32_e32 v73, 0xffffff00, v32
	v_lshlrev_b16 v32, 8, v32
	;; [unrolled: 3-line block ×6, first 2 shown]
	v_sub_nc_i16 v60, v65, v60 clamp
	v_sub_nc_i16 v31, v31, v46 clamp
	v_and_b32_e32 v46, 0xffffff00, v61
	v_lshlrev_b16 v61, 8, v61
	v_sub_nc_i16 v62, v73, v62 clamp
	v_sub_nc_i16 v32, v32, v47 clamp
	v_and_b32_e32 v47, 0xffffff00, v69
	v_lshlrev_b16 v65, 8, v69
	v_sub_nc_i16 v33, v33, v50 clamp
	v_and_b32_e32 v50, 0xffffff00, v76
	v_lshlrev_b16 v69, 8, v76
	;; [unrolled: 3-line block ×4, first 2 shown]
	v_lshrrev_b32_e32 v84, 16, v37
	v_and_b32_e32 v85, 0xffffff00, v37
	v_lshlrev_b16 v37, 8, v37
	v_sub_nc_i16 v64, v77, v64 clamp
	v_sub_nc_i16 v66, v79, v66 clamp
	;; [unrolled: 1-line block ×4, first 2 shown]
	v_and_b32_e32 v55, 0xffffff00, v82
	v_lshlrev_b16 v77, 8, v82
	v_sub_nc_i16 v44, v46, v44 clamp
	v_sub_nc_i16 v45, v61, v45 clamp
	;; [unrolled: 1-line block ×10, first 2 shown]
	v_lshrrev_b32_e32 v86, 16, v38
	v_and_b32_e32 v87, 0xffffff00, v38
	v_lshlrev_b16 v38, 8, v38
	v_sub_nc_i16 v70, v83, v70 clamp
	v_sub_nc_i16 v37, v37, v58 clamp
	v_and_b32_e32 v58, 0xffffff00, v84
	v_lshlrev_b16 v78, 8, v84
	v_perm_b32 v31, v31, v60, 0xc0c0105
	v_perm_b32 v34, v34, v66, 0xc0c0105
	;; [unrolled: 1-line block ×3, first 2 shown]
	v_sub_nc_i16 v52, v55, v71 clamp
	v_sub_nc_i16 v43, v77, v43 clamp
	v_perm_b32 v44, v45, v44, 0xc0c0105
	v_perm_b32 v40, v40, v46, 0xc0c0105
	;; [unrolled: 1-line block ×4, first 2 shown]
	v_sub_nc_i16 v72, v85, v72 clamp
	v_sub_nc_i16 v38, v38, v59 clamp
	v_and_b32_e32 v59, 0xffffff00, v86
	v_lshlrev_b16 v79, 8, v86
	v_perm_b32 v32, v32, v62, 0xc0c0105
	v_perm_b32 v36, v36, v70, 0xc0c0105
	v_sub_nc_i16 v53, v58, v56 clamp
	v_sub_nc_i16 v54, v78, v57 clamp
	v_perm_b32 v43, v43, v52, 0xc0c0105
	v_lshl_or_b32 v31, v44, 16, v31
	v_lshl_or_b32 v29, v29, 16, v34
	;; [unrolled: 1-line block ×3, first 2 shown]
	v_sub_nc_i16 v74, v87, v74 clamp
	v_perm_b32 v33, v33, v64, 0xc0c0105
	v_perm_b32 v37, v37, v72, 0xc0c0105
	v_sub_nc_i16 v55, v59, v75 clamp
	v_sub_nc_i16 v30, v79, v30 clamp
	v_perm_b32 v45, v48, v47, 0xc0c0105
	v_perm_b32 v47, v54, v53, 0xc0c0105
	v_lshl_or_b32 v32, v40, 16, v32
	v_lshl_or_b32 v35, v43, 16, v36
	v_dot4_i32_iu8 v14, v31, v14, 0 neg_lo:[1,1,0]
	s_wait_loadcnt 0x4
	v_dot4_i32_iu8 v18, v34, v18, 0 neg_lo:[1,1,0]
	s_wait_loadcnt 0x3
	;; [unrolled: 2-line block ×3, first 2 shown]
	v_dot4_i32_iu8 v26, v34, v26, 0 neg_lo:[1,1,0]
	v_perm_b32 v38, v38, v74, 0xc0c0105
	v_perm_b32 v30, v30, v55, 0xc0c0105
	v_lshl_or_b32 v33, v45, 16, v33
	v_lshl_or_b32 v36, v47, 16, v37
	v_dot4_i32_iu8 v14, v32, v15, v14 neg_lo:[1,1,0]
	v_dot4_i32_iu8 v15, v35, v19, v18 neg_lo:[1,1,0]
	;; [unrolled: 1-line block ×4, first 2 shown]
	v_lshl_or_b32 v30, v30, 16, v38
	v_dot4_i32_iu8 v14, v33, v16, v14 neg_lo:[1,1,0]
	v_dot4_i32_iu8 v15, v36, v20, v15 neg_lo:[1,1,0]
	;; [unrolled: 1-line block ×4, first 2 shown]
	s_delay_alu instid0(VALU_DEP_4)
	v_dot4_i32_iu8 v14, v29, v17, v14 neg_lo:[1,1,0]
	s_wait_loadcnt 0x1
	v_dot4_i32_iu8 v15, v30, v42, v15 neg_lo:[1,1,0]
	v_dot4_i32_iu8 v16, v29, v25, v16 neg_lo:[1,1,0]
	s_wait_loadcnt 0x0
	v_dot4_i32_iu8 v17, v30, v39, v18 neg_lo:[1,1,0]
	v_and_b32_e32 v18, 15, v12
	v_lshrrev_b32_e32 v12, 4, v12
	v_add_nc_u32_e32 v19, v15, v14
	s_delay_alu instid0(VALU_DEP_4) | instskip(NEXT) | instid1(VALU_DEP_4)
	v_add_nc_u32_e32 v20, v17, v16
	v_mul_lo_u32 v14, v14, v18
	v_mul_lo_u32 v16, v16, v18
	s_delay_alu instid0(VALU_DEP_4) | instskip(SKIP_3) | instid1(VALU_DEP_4)
	v_lshrrev_b32_e32 v22, 31, v19
	v_mul_lo_u32 v15, v15, v12
	v_lshrrev_b32_e32 v23, 31, v20
	v_mul_lo_u32 v12, v17, v12
	v_add_nc_u32_e32 v18, v19, v22
	s_delay_alu instid0(VALU_DEP_3) | instskip(NEXT) | instid1(VALU_DEP_2)
	v_add_nc_u32_e32 v19, v20, v23
	v_ashrrev_i32_e32 v17, 1, v18
	s_delay_alu instid0(VALU_DEP_2) | instskip(NEXT) | instid1(VALU_DEP_2)
	v_ashrrev_i32_e32 v18, 1, v19
	v_add3_u32 v14, v15, v14, v17
	s_delay_alu instid0(VALU_DEP_2) | instskip(NEXT) | instid1(VALU_DEP_2)
	v_add3_u32 v12, v12, v16, v18
	v_ashrrev_i32_e32 v15, 31, v14
	s_delay_alu instid0(VALU_DEP_2) | instskip(NEXT) | instid1(VALU_DEP_2)
	v_ashrrev_i32_e32 v16, 31, v12
	v_lshrrev_b32_e32 v15, 30, v15
	s_delay_alu instid0(VALU_DEP_2) | instskip(NEXT) | instid1(VALU_DEP_2)
	v_lshrrev_b32_e32 v16, 30, v16
	v_add_nc_u32_e32 v14, v14, v15
	v_cvt_f32_f16_e32 v15, v21
	s_delay_alu instid0(VALU_DEP_3) | instskip(SKIP_1) | instid1(VALU_DEP_4)
	v_add_nc_u32_e32 v12, v12, v16
	v_cvt_f32_f16_e32 v16, v41
	v_ashrrev_i32_e32 v14, 2, v14
	s_delay_alu instid0(VALU_DEP_3) | instskip(NEXT) | instid1(VALU_DEP_3)
	v_ashrrev_i32_e32 v12, 2, v12
	v_mul_f32_e32 v13, v16, v13
	v_mul_f32_e32 v15, v16, v15
	s_delay_alu instid0(VALU_DEP_4) | instskip(NEXT) | instid1(VALU_DEP_4)
	v_cvt_f32_i32_e32 v14, v14
	v_cvt_f32_i32_e32 v12, v12
	s_delay_alu instid0(VALU_DEP_1)
	v_dual_fmac_f32 v8, v13, v14 :: v_dual_fmac_f32 v5, v15, v12
	s_wait_alu 0xfffe
	s_and_not1_b32 exec_lo, exec_lo, s3
	s_cbranch_execnz .LBB173_2
; %bb.3:
	s_or_b32 exec_lo, exec_lo, s3
.LBB173_4:
	s_delay_alu instid0(SALU_CYCLE_1)
	s_or_b32 exec_lo, exec_lo, s22
	s_mov_b32 s3, 0
	; wave barrier
	global_inv scope:SCOPE_SE
	s_mov_b32 s2, exec_lo
	v_cmpx_eq_u32_e32 0, v6
	s_cbranch_execz .LBB173_9
; %bb.5:
	v_mbcnt_lo_u32_b32 v6, -1, 0
	s_load_b64 s[0:1], s[0:1], 0x38
	s_mul_i32 s2, s10, s19
	s_mul_i32 s4, s18, s20
	s_wait_alu 0xfffe
	s_add_co_i32 s2, s2, ttmp9
	v_xor_b32_e32 v0, 16, v6
	v_xor_b32_e32 v1, 8, v6
	;; [unrolled: 1-line block ×3, first 2 shown]
	s_wait_alu 0xfffe
	s_add_co_i32 s2, s2, s4
	s_wait_alu 0xfffe
	s_lshl_b64 s[2:3], s[2:3], 2
	v_cmp_gt_i32_e32 vcc_lo, 32, v0
	s_wait_alu 0xfffd
	v_cndmask_b32_e32 v0, v6, v0, vcc_lo
	v_cmp_gt_i32_e32 vcc_lo, 32, v1
	s_wait_kmcnt 0x0
	s_wait_alu 0xfffe
	s_add_nc_u64 s[0:1], s[0:1], s[2:3]
	s_wait_alu 0xfffd
	v_cndmask_b32_e32 v1, v6, v1, vcc_lo
	s_delay_alu instid0(VALU_DEP_1)
	v_lshlrev_b32_e32 v1, 2, v1
	v_lshlrev_b32_e32 v0, 2, v0
	ds_bpermute_b32 v2, v0, v8
	s_wait_dscnt 0x0
	v_add_f32_e32 v3, v8, v2
	v_xor_b32_e32 v2, 4, v6
	ds_bpermute_b32 v7, v1, v3
	v_cmp_gt_i32_e32 vcc_lo, 32, v2
	s_wait_dscnt 0x0
	s_wait_alu 0xfffd
	v_dual_cndmask_b32 v2, v6, v2 :: v_dual_add_f32 v7, v3, v7
	s_delay_alu instid0(VALU_DEP_1)
	v_lshlrev_b32_e32 v2, 2, v2
	v_xor_b32_e32 v3, 2, v6
	ds_bpermute_b32 v8, v2, v7
	v_cmp_gt_i32_e32 vcc_lo, 32, v3
	s_wait_alu 0xfffd
	v_cndmask_b32_e32 v3, v6, v3, vcc_lo
	v_cmp_gt_i32_e32 vcc_lo, 32, v9
	s_wait_alu 0xfffd
	v_cndmask_b32_e32 v6, v6, v9, vcc_lo
	v_cmp_eq_u32_e32 vcc_lo, 0, v4
	s_delay_alu instid0(VALU_DEP_2)
	v_lshlrev_b32_e32 v6, 2, v6
	v_lshlrev_b32_e32 v3, 2, v3
	s_wait_dscnt 0x0
	v_add_f32_e32 v7, v7, v8
	ds_bpermute_b32 v8, v3, v7
	s_wait_dscnt 0x0
	v_add_f32_e32 v7, v7, v8
	ds_bpermute_b32 v8, v6, v7
	s_and_saveexec_b32 s2, vcc_lo
	s_cbranch_execz .LBB173_7
; %bb.6:
	s_wait_dscnt 0x0
	v_dual_add_f32 v4, v7, v8 :: v_dual_mov_b32 v7, 0
	global_store_b32 v7, v4, s[0:1]
.LBB173_7:
	s_wait_alu 0xfffe
	s_or_b32 exec_lo, exec_lo, s2
	ds_bpermute_b32 v0, v0, v5
	s_wait_dscnt 0x0
	v_add_f32_e32 v0, v5, v0
	ds_bpermute_b32 v1, v1, v0
	s_wait_dscnt 0x0
	v_add_f32_e32 v0, v0, v1
	;; [unrolled: 3-line block ×4, first 2 shown]
	ds_bpermute_b32 v1, v6, v0
	s_and_b32 exec_lo, exec_lo, vcc_lo
	s_cbranch_execz .LBB173_9
; %bb.8:
	s_mov_b32 s7, 0
	s_wait_dscnt 0x0
	v_dual_add_f32 v0, v0, v1 :: v_dual_mov_b32 v1, 0
	s_wait_alu 0xfffe
	s_lshl_b64 s[2:3], s[6:7], 2
	s_wait_alu 0xfffe
	s_add_nc_u64 s[0:1], s[0:1], s[2:3]
	global_store_b32 v1, v0, s[0:1]
.LBB173_9:
	s_endpgm
	.section	.rodata,"a",@progbits
	.p2align	6, 0x0
	.amdhsa_kernel _ZL13mul_mat_vec_qIL9ggml_type17ELi2ELb0ELb0EEvPKvS2_PKi31ggml_cuda_mm_fusion_args_devicePfj15HIP_vector_typeIjLj3EEjjjS8_jjjS8_jjjj
		.amdhsa_group_segment_fixed_size 0
		.amdhsa_private_segment_fixed_size 0
		.amdhsa_kernarg_size 144
		.amdhsa_user_sgpr_count 2
		.amdhsa_user_sgpr_dispatch_ptr 0
		.amdhsa_user_sgpr_queue_ptr 0
		.amdhsa_user_sgpr_kernarg_segment_ptr 1
		.amdhsa_user_sgpr_dispatch_id 0
		.amdhsa_user_sgpr_private_segment_size 0
		.amdhsa_wavefront_size32 1
		.amdhsa_uses_dynamic_stack 0
		.amdhsa_enable_private_segment 0
		.amdhsa_system_sgpr_workgroup_id_x 1
		.amdhsa_system_sgpr_workgroup_id_y 1
		.amdhsa_system_sgpr_workgroup_id_z 1
		.amdhsa_system_sgpr_workgroup_info 0
		.amdhsa_system_vgpr_workitem_id 1
		.amdhsa_next_free_vgpr 88
		.amdhsa_next_free_sgpr 28
		.amdhsa_reserve_vcc 1
		.amdhsa_float_round_mode_32 0
		.amdhsa_float_round_mode_16_64 0
		.amdhsa_float_denorm_mode_32 3
		.amdhsa_float_denorm_mode_16_64 3
		.amdhsa_fp16_overflow 0
		.amdhsa_workgroup_processor_mode 1
		.amdhsa_memory_ordered 1
		.amdhsa_forward_progress 1
		.amdhsa_inst_pref_size 30
		.amdhsa_round_robin_scheduling 0
		.amdhsa_exception_fp_ieee_invalid_op 0
		.amdhsa_exception_fp_denorm_src 0
		.amdhsa_exception_fp_ieee_div_zero 0
		.amdhsa_exception_fp_ieee_overflow 0
		.amdhsa_exception_fp_ieee_underflow 0
		.amdhsa_exception_fp_ieee_inexact 0
		.amdhsa_exception_int_div_zero 0
	.end_amdhsa_kernel
	.section	.text._ZL13mul_mat_vec_qIL9ggml_type17ELi2ELb0ELb0EEvPKvS2_PKi31ggml_cuda_mm_fusion_args_devicePfj15HIP_vector_typeIjLj3EEjjjS8_jjjS8_jjjj,"axG",@progbits,_ZL13mul_mat_vec_qIL9ggml_type17ELi2ELb0ELb0EEvPKvS2_PKi31ggml_cuda_mm_fusion_args_devicePfj15HIP_vector_typeIjLj3EEjjjS8_jjjS8_jjjj,comdat
.Lfunc_end173:
	.size	_ZL13mul_mat_vec_qIL9ggml_type17ELi2ELb0ELb0EEvPKvS2_PKi31ggml_cuda_mm_fusion_args_devicePfj15HIP_vector_typeIjLj3EEjjjS8_jjjS8_jjjj, .Lfunc_end173-_ZL13mul_mat_vec_qIL9ggml_type17ELi2ELb0ELb0EEvPKvS2_PKi31ggml_cuda_mm_fusion_args_devicePfj15HIP_vector_typeIjLj3EEjjjS8_jjjS8_jjjj
                                        ; -- End function
	.set _ZL13mul_mat_vec_qIL9ggml_type17ELi2ELb0ELb0EEvPKvS2_PKi31ggml_cuda_mm_fusion_args_devicePfj15HIP_vector_typeIjLj3EEjjjS8_jjjS8_jjjj.num_vgpr, 88
	.set _ZL13mul_mat_vec_qIL9ggml_type17ELi2ELb0ELb0EEvPKvS2_PKi31ggml_cuda_mm_fusion_args_devicePfj15HIP_vector_typeIjLj3EEjjjS8_jjjS8_jjjj.num_agpr, 0
	.set _ZL13mul_mat_vec_qIL9ggml_type17ELi2ELb0ELb0EEvPKvS2_PKi31ggml_cuda_mm_fusion_args_devicePfj15HIP_vector_typeIjLj3EEjjjS8_jjjS8_jjjj.numbered_sgpr, 28
	.set _ZL13mul_mat_vec_qIL9ggml_type17ELi2ELb0ELb0EEvPKvS2_PKi31ggml_cuda_mm_fusion_args_devicePfj15HIP_vector_typeIjLj3EEjjjS8_jjjS8_jjjj.num_named_barrier, 0
	.set _ZL13mul_mat_vec_qIL9ggml_type17ELi2ELb0ELb0EEvPKvS2_PKi31ggml_cuda_mm_fusion_args_devicePfj15HIP_vector_typeIjLj3EEjjjS8_jjjS8_jjjj.private_seg_size, 0
	.set _ZL13mul_mat_vec_qIL9ggml_type17ELi2ELb0ELb0EEvPKvS2_PKi31ggml_cuda_mm_fusion_args_devicePfj15HIP_vector_typeIjLj3EEjjjS8_jjjS8_jjjj.uses_vcc, 1
	.set _ZL13mul_mat_vec_qIL9ggml_type17ELi2ELb0ELb0EEvPKvS2_PKi31ggml_cuda_mm_fusion_args_devicePfj15HIP_vector_typeIjLj3EEjjjS8_jjjS8_jjjj.uses_flat_scratch, 0
	.set _ZL13mul_mat_vec_qIL9ggml_type17ELi2ELb0ELb0EEvPKvS2_PKi31ggml_cuda_mm_fusion_args_devicePfj15HIP_vector_typeIjLj3EEjjjS8_jjjS8_jjjj.has_dyn_sized_stack, 0
	.set _ZL13mul_mat_vec_qIL9ggml_type17ELi2ELb0ELb0EEvPKvS2_PKi31ggml_cuda_mm_fusion_args_devicePfj15HIP_vector_typeIjLj3EEjjjS8_jjjS8_jjjj.has_recursion, 0
	.set _ZL13mul_mat_vec_qIL9ggml_type17ELi2ELb0ELb0EEvPKvS2_PKi31ggml_cuda_mm_fusion_args_devicePfj15HIP_vector_typeIjLj3EEjjjS8_jjjS8_jjjj.has_indirect_call, 0
	.section	.AMDGPU.csdata,"",@progbits
; Kernel info:
; codeLenInByte = 3768
; TotalNumSgprs: 30
; NumVgprs: 88
; ScratchSize: 0
; MemoryBound: 0
; FloatMode: 240
; IeeeMode: 1
; LDSByteSize: 0 bytes/workgroup (compile time only)
; SGPRBlocks: 0
; VGPRBlocks: 10
; NumSGPRsForWavesPerEU: 30
; NumVGPRsForWavesPerEU: 88
; Occupancy: 16
; WaveLimiterHint : 0
; COMPUTE_PGM_RSRC2:SCRATCH_EN: 0
; COMPUTE_PGM_RSRC2:USER_SGPR: 2
; COMPUTE_PGM_RSRC2:TRAP_HANDLER: 0
; COMPUTE_PGM_RSRC2:TGID_X_EN: 1
; COMPUTE_PGM_RSRC2:TGID_Y_EN: 1
; COMPUTE_PGM_RSRC2:TGID_Z_EN: 1
; COMPUTE_PGM_RSRC2:TIDIG_COMP_CNT: 1
	.section	.text._ZL13mul_mat_vec_qIL9ggml_type17ELi3ELb0ELb0EEvPKvS2_PKi31ggml_cuda_mm_fusion_args_devicePfj15HIP_vector_typeIjLj3EEjjjS8_jjjS8_jjjj,"axG",@progbits,_ZL13mul_mat_vec_qIL9ggml_type17ELi3ELb0ELb0EEvPKvS2_PKi31ggml_cuda_mm_fusion_args_devicePfj15HIP_vector_typeIjLj3EEjjjS8_jjjS8_jjjj,comdat
	.globl	_ZL13mul_mat_vec_qIL9ggml_type17ELi3ELb0ELb0EEvPKvS2_PKi31ggml_cuda_mm_fusion_args_devicePfj15HIP_vector_typeIjLj3EEjjjS8_jjjS8_jjjj ; -- Begin function _ZL13mul_mat_vec_qIL9ggml_type17ELi3ELb0ELb0EEvPKvS2_PKi31ggml_cuda_mm_fusion_args_devicePfj15HIP_vector_typeIjLj3EEjjjS8_jjjS8_jjjj
	.p2align	8
	.type	_ZL13mul_mat_vec_qIL9ggml_type17ELi3ELb0ELb0EEvPKvS2_PKi31ggml_cuda_mm_fusion_args_devicePfj15HIP_vector_typeIjLj3EEjjjS8_jjjS8_jjjj,@function
_ZL13mul_mat_vec_qIL9ggml_type17ELi3ELb0ELb0EEvPKvS2_PKi31ggml_cuda_mm_fusion_args_devicePfj15HIP_vector_typeIjLj3EEjjjS8_jjjS8_jjjj: ; @_ZL13mul_mat_vec_qIL9ggml_type17ELi3ELb0ELb0EEvPKvS2_PKi31ggml_cuda_mm_fusion_args_devicePfj15HIP_vector_typeIjLj3EEjjjS8_jjjS8_jjjj
; %bb.0:
	s_clause 0x5
	s_load_b96 s[16:18], s[0:1], 0x80
	s_load_b32 s12, s[0:1], 0x40
	s_load_b128 s[4:7], s[0:1], 0x50
	s_load_b32 s3, s[0:1], 0x60
	s_load_b128 s[8:11], s[0:1], 0x68
	s_load_b32 s2, s[0:1], 0x78
	v_bfe_u32 v6, v0, 10, 10
	v_dual_mov_b32 v5, 0 :: v_dual_and_b32 v4, 0x3ff, v0
	v_mov_b32_e32 v7, 0
	v_mov_b32_e32 v9, 0
	s_and_b32 s19, ttmp7, 0xffff
	s_delay_alu instid0(VALU_DEP_3) | instskip(SKIP_2) | instid1(VALU_DEP_1)
	v_lshl_or_b32 v0, v6, 5, v4
	s_lshr_b32 s22, ttmp7, 16
	s_mov_b32 s23, exec_lo
	v_lshrrev_b32_e32 v8, 3, v0
	s_wait_kmcnt 0x0
	s_lshr_b32 s24, s12, 8
	s_delay_alu instid0(VALU_DEP_1) | instid1(SALU_CYCLE_1)
	v_cmpx_gt_u32_e64 s24, v8
	s_cbranch_execz .LBB174_4
; %bb.1:
	v_lshl_add_u32 v0, v6, 5, v4
	s_mov_b32 s21, 0
	s_mul_i32 s26, s9, s19
	s_mov_b32 s27, s21
	s_load_b128 s[12:15], s[0:1], 0x0
	v_lshrrev_b32_e32 v0, 3, v0
	s_mul_u64 s[26:27], s[26:27], 36
	s_mul_i32 s20, s17, s22
	v_lshlrev_b32_e32 v2, 1, v4
	v_and_b32_e32 v10, 7, v4
	v_mad_co_u64_u32 v[0:1], null, 0x120, v0, s[26:27]
	v_lshlrev_b32_e32 v7, 3, v8
	s_mul_hi_u32 s7, s7, s19
	v_and_b32_e32 v5, 14, v2
	s_add_co_i32 s7, s19, s7
	s_mul_hi_u32 s9, s11, s22
	v_add_nc_u32_e32 v11, s5, v7
	s_delay_alu instid0(VALU_DEP_4)
	v_mad_co_u64_u32 v[0:1], null, s20, 36, v[0:1]
	v_lshl_add_u32 v12, s5, 1, v7
	v_mov_b32_e32 v7, 0
	s_lshr_b32 s7, s7, s3
	s_add_co_i32 s3, s22, s9
	v_lshlrev_b32_e32 v9, 1, v5
	s_lshr_b32 s9, s3, s2
	s_delay_alu instid0(VALU_DEP_4)
	v_mad_co_u64_u32 v[2:3], null, v10, 36, v[0:1]
	s_mul_u64 s[2:3], s[20:21], 36
	s_mul_i32 s4, s4, ttmp9
	s_wait_kmcnt 0x0
	s_add_nc_u64 s[2:3], s[14:15], s[2:3]
	s_mul_i32 s7, s7, s8
	s_add_nc_u64 s[2:3], s[2:3], s[26:27]
	v_mov_b32_e32 v5, 0
	v_add_co_u32 v2, vcc_lo, s14, v2
	s_delay_alu instid0(VALU_DEP_1) | instskip(SKIP_1) | instid1(VALU_DEP_3)
	v_add_co_ci_u32_e64 v3, null, s15, v3, vcc_lo
	v_mad_co_u64_u32 v[0:1], null, v10, 36, s[2:3]
	v_add_co_u32 v2, vcc_lo, v2, 16
	s_wait_alu 0xfffd
	s_delay_alu instid0(VALU_DEP_3)
	v_add_co_ci_u32_e64 v3, null, 0, v3, vcc_lo
	v_lshlrev_b32_e32 v13, 1, v9
	v_mov_b32_e32 v9, 0
	s_mul_i32 s8, s9, s16
	s_wait_alu 0xfffe
	s_add_co_i32 s7, s7, s4
	s_delay_alu instid0(SALU_CYCLE_1)
	s_add_co_i32 s7, s8, s7
.LBB174_2:                              ; =>This Inner Loop Header: Depth=1
	s_delay_alu instid0(SALU_CYCLE_1) | instskip(SKIP_2) | instid1(VALU_DEP_3)
	v_add_nc_u32_e32 v22, s7, v8
	v_mad_co_u64_u32 v[30:31], null, v11, 36, v[0:1]
	v_mad_co_u64_u32 v[34:35], null, v12, 36, v[0:1]
	v_mad_co_i64_i32 v[38:39], null, 0x4a, v22, s[12:13]
	s_clause 0x2
	global_load_b32 v48, v[2:3], off offset:16
	global_load_b128 v[14:17], v[2:3], off offset:-16
	global_load_b128 v[18:21], v[2:3], off
	s_clause 0x5
	global_load_b128 v[22:25], v[30:31], off
	global_load_b128 v[26:29], v[30:31], off offset:16
	global_load_b32 v49, v[30:31], off offset:32
	global_load_b128 v[30:33], v[34:35], off
	global_load_b32 v50, v[34:35], off offset:32
	global_load_b128 v[34:37], v[34:35], off offset:16
	s_getpc_b64 s[4:5]
	s_wait_alu 0xfffe
	s_sext_i32_i16 s5, s5
	s_add_co_u32 s4, s4, _ZL10iq2xs_grid@rel32@lo+12
	s_wait_alu 0xfffe
	s_add_co_ci_u32 s5, s5, _ZL10iq2xs_grid@rel32@hi+24
	v_add_co_u32 v2, vcc_lo, 0x480, v2
	v_add_co_u32 v40, s2, v38, v13
	s_wait_alu 0xf1ff
	v_add_co_ci_u32_e64 v41, null, 0, v39, s2
	v_add_co_u32 v42, s2, v38, v10
	s_wait_alu 0xf1ff
	v_add_co_ci_u32_e64 v43, null, 0, v39, s2
	s_clause 0x2
	global_load_b64 v[40:41], v[40:41], off offset:2
	global_load_u8 v42, v[42:43], off offset:66
	global_load_u16 v51, v[38:39], off
	s_wait_alu 0xfffd
	v_add_co_ci_u32_e64 v3, null, 0, v3, vcc_lo
	s_wait_loadcnt 0x8
	v_cvt_f32_f16_e32 v22, v22
	v_cvt_f32_f16_e32 v14, v14
	s_wait_loadcnt 0x2
	v_and_b32_e32 v38, 0x1ff, v40
	v_lshrrev_b32_e32 v39, 13, v40
	v_and_b32_e32 v44, 0x1ff, v41
	v_lshrrev_b32_e32 v45, 13, v41
	v_lshrrev_b32_e32 v43, 25, v40
	v_lshrrev_b32_e32 v46, 25, v41
	v_lshlrev_b32_e32 v38, 3, v38
	s_wait_loadcnt 0x1
	v_lshrrev_b32_e32 v54, 4, v42
	v_and_b32_e32 v55, 15, v42
	v_and_b32_e32 v42, 0xff8, v39
	v_lshlrev_b32_e32 v44, 3, v44
	v_and_b32_e32 v47, 0xff8, v45
	v_bcnt_u32_b32 v57, v43, 0
	v_bcnt_u32_b32 v59, v46, 0
	s_clause 0x3
	global_load_b64 v[38:39], v38, s[4:5]
	global_load_b64 v[42:43], v42, s[4:5]
	;; [unrolled: 1-line block ×4, first 2 shown]
	v_bfe_u32 v52, v40, 9, 7
	v_bfe_u32 v53, v41, 9, 7
	v_and_b32_e32 v57, 1, v57
	v_and_b32_e32 v59, 1, v59
	s_delay_alu instid0(VALU_DEP_4) | instskip(NEXT) | instid1(VALU_DEP_4)
	v_bcnt_u32_b32 v56, v52, 0
	v_bcnt_u32_b32 v58, v53, 0
	s_delay_alu instid0(VALU_DEP_4) | instskip(NEXT) | instid1(VALU_DEP_4)
	v_alignbit_b32 v40, v57, v40, 25
	v_alignbit_b32 v41, v59, v41, 25
	s_delay_alu instid0(VALU_DEP_4) | instskip(NEXT) | instid1(VALU_DEP_4)
	v_and_b32_e32 v56, 1, v56
	v_and_b32_e32 v58, 1, v58
	s_delay_alu instid0(VALU_DEP_4) | instskip(NEXT) | instid1(VALU_DEP_4)
	v_mul_lo_u32 v40, 0x1010101, v40
	v_mul_lo_u32 v41, 0x1010101, v41
	s_delay_alu instid0(VALU_DEP_4) | instskip(NEXT) | instid1(VALU_DEP_4)
	v_lshl_or_b32 v52, v56, 7, v52
	v_lshl_or_b32 v53, v58, 7, v53
	s_delay_alu instid0(VALU_DEP_2) | instskip(SKIP_2) | instid1(VALU_DEP_4)
	v_mul_lo_u32 v52, 0x1010101, v52
	v_and_b32_e32 v60, 0x8040201, v40
	v_and_b32_e32 v63, 0x80402010, v40
	v_mul_lo_u32 v53, 0x1010101, v53
	v_lshrrev_b32_e32 v61, 18, v40
	v_bfe_i32 v62, v40, 0, 1
	v_lshrrev_b16 v76, 8, v60
	v_lshrrev_b32_e32 v60, 24, v60
	v_and_b32_e32 v56, 0x8040201, v52
	v_and_b32_e32 v59, 0x80402010, v52
	v_lshrrev_b16 v78, 8, v63
	v_and_b32_e32 v64, 0x8040201, v53
	v_lshrrev_b32_e32 v79, 24, v63
	v_lshrrev_b16 v72, 8, v56
	v_lshrrev_b32_e32 v56, 24, v56
	v_lshrrev_b16 v74, 8, v59
	;; [unrolled: 2-line block ×3, first 2 shown]
	v_cmp_ne_u16_e64 s2, 0, v72
	v_lshrrev_b32_e32 v64, 24, v64
	v_lshrrev_b32_e32 v57, 18, v52
	v_lshrrev_b32_e32 v65, 18, v53
	v_bfe_i32 v58, v52, 0, 1
	s_wait_alu 0xf1ff
	v_cndmask_b32_e64 v72, 0, -1, s2
	v_cmp_ne_u16_e64 s2, 0, v56
	v_bfe_i32 v66, v53, 0, 1
	v_and_b32_e32 v67, 0x80402010, v53
	v_bfe_i32 v57, v57, 0, 1
	v_bfe_i32 v65, v65, 0, 1
	s_wait_alu 0xf1ff
	v_cndmask_b32_e64 v56, 0, -1, s2
	v_cmp_ne_u16_e64 s2, 0, v74
	v_and_b32_e32 v68, 0x8040201, v41
	v_and_b32_e32 v73, 0xff, v58
	v_bfe_i32 v61, v61, 0, 1
	v_and_b32_e32 v81, 0xff, v66
	s_wait_alu 0xf1ff
	v_cndmask_b32_e64 v74, 0, -1, s2
	v_cmp_ne_u16_e64 s2, 0, v75
	v_lshrrev_b16 v82, 8, v67
	v_lshrrev_b32_e32 v83, 24, v67
	v_and_b32_e32 v88, 0xff, v57
	v_and_b32_e32 v92, 0xff, v65
	s_wait_alu 0xf1ff
	v_cndmask_b32_e64 v75, 0, -1, s2
	v_cmp_ne_u16_e64 s2, 0, v76
	v_lshlrev_b16 v72, 8, v72
	v_lshlrev_b16 v56, 8, v56
	v_lshrrev_b32_e32 v52, 22, v52
	v_lshrrev_b32_e32 v53, 22, v53
	s_wait_alu 0xf1ff
	v_cndmask_b32_e64 v76, 0, -1, s2
	v_cmp_ne_u16_e64 s2, 0, v60
	v_and_b32_e32 v71, 0x80402010, v41
	v_lshrrev_b16 v59, 4, v59
	v_and_b32_e32 v77, 0xff, v62
	v_lshrrev_b16 v67, 4, v67
	s_wait_alu 0xf1ff
	v_cndmask_b32_e64 v60, 0, -1, s2
	v_cmp_ne_u16_e64 s2, 0, v78
	v_lshrrev_b16 v84, 8, v68
	v_lshrrev_b32_e32 v68, 24, v68
	v_and_b32_e32 v90, 0xff, v61
	v_cmp_ne_u16_e64 s3, 0, v83
	s_wait_alu 0xf1ff
	v_cndmask_b32_e64 v78, 0, -1, s2
	v_cmp_ne_u16_e64 s2, 0, v79
	v_or_b32_e32 v73, v73, v72
	v_or_b32_e32 v88, v88, v56
	v_lshlrev_b16 v76, 8, v76
	v_lshlrev_b16 v60, 8, v60
	s_wait_alu 0xf1ff
	v_cndmask_b32_e64 v79, 0, -1, s2
	v_cmp_ne_u16_e64 s2, 0, v80
	v_lshrrev_b32_e32 v40, 22, v40
	v_lshrrev_b32_e32 v69, 18, v41
	v_bfe_i32 v52, v52, 0, 1
	v_lshrrev_b16 v63, 4, v63
	s_wait_alu 0xf1ff
	v_cndmask_b32_e64 v80, 0, -1, s2
	v_cmp_ne_u16_e64 s2, 0, v64
	v_bfe_i32 v53, v53, 0, 1
	v_lshrrev_b32_e32 v87, 24, v71
	v_bfe_i32 v59, v59, 0, 1
	v_lshlrev_b16 v80, 8, v80
	s_wait_alu 0xf1ff
	v_cndmask_b32_e64 v64, 0, -1, s2
	v_cmp_ne_u16_e64 s2, 0, v82
	v_bfe_i32 v67, v67, 0, 1
	v_cndmask_b32_e64 v83, 0, -1, s3
	v_or_b32_e32 v81, v81, v80
	v_lshlrev_b16 v64, 8, v64
	s_wait_alu 0xf1ff
	v_cndmask_b32_e64 v82, 0, -1, s2
	v_cmp_ne_u16_e64 s3, 0, v84
	v_cmp_ne_u16_e64 s4, 0, v68
	v_and_b32_e32 v73, 0xffff, v73
	v_or_b32_e32 v92, v92, v64
	v_lshlrev_b32_e32 v88, 16, v88
	v_or_b32_e32 v77, v77, v76
	v_or_b32_e32 v90, v90, v60
	v_and_b32_e32 v81, 0xffff, v81
	v_lshlrev_b32_e32 v92, 16, v92
	v_bfe_i32 v70, v41, 0, 1
	v_bfe_i32 v40, v40, 0, 1
	;; [unrolled: 1-line block ×3, first 2 shown]
	v_lshrrev_b16 v86, 8, v71
	v_and_b32_e32 v89, 0xff, v52
	v_bfe_i32 v63, v63, 0, 1
	v_cmp_ne_u16_e64 s2, 0, v87
	v_and_b32_e32 v87, 0xff, v53
	s_wait_alu 0xf1ff
	v_cndmask_b32_e64 v84, 0, -1, s3
	v_cndmask_b32_e64 v68, 0, -1, s4
	v_or_b32_e32 v73, v73, v88
	v_and_b32_e32 v88, 0xff, v59
	v_lshlrev_b16 v74, 8, v74
	v_lshlrev_b16 v75, 8, v75
	v_and_b32_e32 v77, 0xffff, v77
	v_lshlrev_b32_e32 v90, 16, v90
	v_or_b32_e32 v81, v81, v92
	v_and_b32_e32 v92, 0xff, v67
	v_lshlrev_b16 v82, 8, v82
	v_lshlrev_b16 v83, 8, v83
	v_and_b32_e32 v85, 0xff, v70
	v_and_b32_e32 v91, 0xff, v40
	v_cmp_ne_u16_e64 s3, 0, v86
	v_and_b32_e32 v86, 0xff, v69
	v_or_b32_e32 v88, v88, v74
	v_or_b32_e32 v89, v89, v75
	;; [unrolled: 1-line block ×3, first 2 shown]
	v_and_b32_e32 v90, 0xff, v63
	v_lshlrev_b16 v78, 8, v78
	v_lshlrev_b16 v79, 8, v79
	v_or_b32_e32 v92, v92, v82
	v_or_b32_e32 v87, v87, v83
	v_lshlrev_b16 v84, 8, v84
	v_lshlrev_b16 v68, 8, v68
	v_lshrrev_b32_e32 v41, 22, v41
	v_lshrrev_b16 v71, 4, v71
	v_and_b32_e32 v88, 0xffff, v88
	v_lshlrev_b32_e32 v89, 16, v89
	v_or_b32_e32 v90, v90, v78
	v_or_b32_e32 v91, v91, v79
	v_and_b32_e32 v92, 0xffff, v92
	v_lshlrev_b32_e32 v87, 16, v87
	v_or_b32_e32 v85, v85, v84
	v_or_b32_e32 v86, v86, v68
	v_bfe_i32 v41, v41, 0, 1
	v_bfe_i32 v71, v71, 0, 1
	v_or_b32_e32 v88, v88, v89
	s_wait_alu 0xf1ff
	v_cndmask_b32_e64 v89, 0, -1, s3
	v_and_b32_e32 v90, 0xffff, v90
	v_lshlrev_b32_e32 v91, 16, v91
	v_or_b32_e32 v87, v92, v87
	v_cndmask_b32_e64 v92, 0, -1, s2
	v_and_b32_e32 v85, 0xffff, v85
	v_lshlrev_b32_e32 v86, 16, v86
	v_or_b32_e32 v90, v90, v91
	v_and_b32_e32 v91, 0xff, v41
	v_lshlrev_b16 v89, 8, v89
	v_lshlrev_b16 v92, 8, v92
	v_or_b32_e32 v85, v85, v86
	v_and_b32_e32 v86, 0xff, v71
	v_lshlrev_b16 v58, 8, v58
	v_lshlrev_b16 v66, 8, v66
	v_or_b32_e32 v91, v91, v92
	v_lshlrev_b16 v63, 8, v63
	v_or_b32_e32 v86, v86, v89
	v_lshlrev_b16 v67, 8, v67
	v_lshlrev_b16 v57, 8, v57
	v_lshlrev_b32_e32 v91, 16, v91
	v_lshlrev_b16 v61, 8, v61
	v_and_b32_e32 v86, 0xffff, v86
	v_lshlrev_b16 v40, 8, v40
	v_lshlrev_b16 v65, 8, v65
	;; [unrolled: 1-line block ×4, first 2 shown]
	v_or_b32_e32 v86, v86, v91
	v_lshlrev_b16 v70, 8, v70
	v_lshlrev_b16 v52, 8, v52
	;; [unrolled: 1-line block ×6, first 2 shown]
	s_wait_loadcnt 0x3
	v_xor_b32_e32 v38, v38, v73
	v_xor_b32_e32 v39, v39, v88
	s_wait_loadcnt 0x2
	v_xor_b32_e32 v42, v42, v77
	v_xor_b32_e32 v43, v43, v90
	s_wait_loadcnt 0x1
	v_xor_b32_e32 v44, v44, v81
	v_xor_b32_e32 v45, v45, v87
	s_wait_loadcnt 0x0
	v_xor_b32_e32 v46, v46, v85
	v_lshrrev_b32_e32 v73, 16, v38
	v_and_b32_e32 v77, 0xffffff00, v38
	v_lshlrev_b16 v38, 8, v38
	v_and_b32_e32 v85, 0xffffff00, v39
	v_xor_b32_e32 v47, v47, v86
	v_lshrrev_b32_e32 v86, 16, v42
	v_and_b32_e32 v87, 0xffffff00, v42
	v_lshrrev_b32_e32 v88, 16, v43
	v_and_b32_e32 v90, 0xffffff00, v43
	v_lshlrev_b16 v43, 8, v43
	v_lshrrev_b32_e32 v91, 16, v44
	v_sub_nc_i16 v72, v77, v72 clamp
	v_and_b32_e32 v77, 0xffffff00, v44
	v_lshlrev_b16 v44, 8, v44
	v_sub_nc_i16 v38, v38, v58 clamp
	v_lshrrev_b32_e32 v58, 16, v45
	v_sub_nc_i16 v74, v85, v74 clamp
	v_and_b32_e32 v85, 0xffffff00, v45
	v_lshlrev_b16 v45, 8, v45
	v_lshrrev_b32_e32 v81, 16, v39
	v_lshlrev_b16 v39, 8, v39
	v_sub_nc_i16 v76, v87, v76 clamp
	v_and_b32_e32 v87, 0xffffff00, v46
	v_sub_nc_i16 v43, v43, v63 clamp
	v_and_b32_e32 v63, 0xffffff00, v73
	v_lshlrev_b16 v73, 8, v73
	v_sub_nc_i16 v44, v44, v66 clamp
	v_and_b32_e32 v66, 0xffffff00, v86
	v_lshlrev_b16 v86, 8, v86
	;; [unrolled: 3-line block ×4, first 2 shown]
	v_lshlrev_b16 v42, 8, v42
	v_sub_nc_i16 v39, v39, v59 clamp
	v_lshrrev_b32_e32 v59, 16, v46
	v_lshlrev_b16 v46, 8, v46
	v_sub_nc_i16 v78, v90, v78 clamp
	v_sub_nc_i16 v77, v77, v80 clamp
	v_and_b32_e32 v80, 0xffffff00, v81
	v_lshlrev_b16 v81, 8, v81
	v_sub_nc_i16 v84, v87, v84 clamp
	v_and_b32_e32 v87, 0xffffff00, v58
	v_lshlrev_b16 v58, 8, v58
	v_sub_nc_i16 v56, v63, v56 clamp
	v_sub_nc_i16 v57, v73, v57 clamp
	v_sub_nc_i16 v60, v66, v60 clamp
	v_sub_nc_i16 v61, v86, v61 clamp
	v_sub_nc_i16 v66, v85, v79 clamp
	v_sub_nc_i16 v40, v88, v40 clamp
	v_sub_nc_i16 v64, v67, v64 clamp
	v_sub_nc_i16 v65, v91, v65 clamp
	v_sub_nc_i16 v42, v42, v62 clamp
	v_lshrrev_b32_e32 v62, 16, v47
	v_and_b32_e32 v90, 0xffffff00, v47
	v_lshlrev_b16 v47, 8, v47
	v_sub_nc_i16 v46, v46, v70 clamp
	v_and_b32_e32 v70, 0xffffff00, v59
	v_lshlrev_b16 v59, 8, v59
	v_perm_b32 v38, v38, v72, 0xc0c0105
	v_sub_nc_i16 v63, v80, v75 clamp
	v_sub_nc_i16 v52, v81, v52 clamp
	v_perm_b32 v43, v43, v78, 0xc0c0105
	v_perm_b32 v44, v44, v77, 0xc0c0105
	v_sub_nc_i16 v67, v87, v83 clamp
	v_sub_nc_i16 v53, v58, v53 clamp
	v_perm_b32 v56, v57, v56, 0xc0c0105
	v_perm_b32 v57, v61, v60, 0xc0c0105
	v_perm_b32 v40, v40, v66, 0xc0c0105
	v_perm_b32 v60, v65, v64, 0xc0c0105
	v_sub_nc_i16 v47, v47, v71 clamp
	v_and_b32_e32 v71, 0xffffff00, v62
	v_lshlrev_b16 v62, 8, v62
	v_perm_b32 v39, v39, v74, 0xc0c0105
	v_perm_b32 v45, v45, v82, 0xc0c0105
	v_sub_nc_i16 v58, v70, v68 clamp
	v_sub_nc_i16 v59, v59, v69 clamp
	v_perm_b32 v52, v52, v63, 0xc0c0105
	v_perm_b32 v53, v53, v67, 0xc0c0105
	v_lshl_or_b32 v38, v56, 16, v38
	v_lshl_or_b32 v40, v40, 16, v43
	;; [unrolled: 1-line block ×3, first 2 shown]
	v_sub_nc_i16 v89, v90, v89 clamp
	v_perm_b32 v42, v42, v76, 0xc0c0105
	v_perm_b32 v46, v46, v84, 0xc0c0105
	v_sub_nc_i16 v68, v71, v92 clamp
	v_sub_nc_i16 v41, v62, v41 clamp
	v_perm_b32 v58, v59, v58, 0xc0c0105
	v_lshl_or_b32 v39, v52, 16, v39
	v_lshl_or_b32 v44, v53, 16, v45
	v_dot4_i32_iu8 v15, v38, v15, 0 neg_lo:[1,1,0]
	v_dot4_i32_iu8 v19, v43, v19, 0 neg_lo:[1,1,0]
	;; [unrolled: 1-line block ×6, first 2 shown]
	v_perm_b32 v47, v47, v89, 0xc0c0105
	v_perm_b32 v41, v41, v68, 0xc0c0105
	v_lshl_or_b32 v42, v57, 16, v42
	v_lshl_or_b32 v45, v58, 16, v46
	v_dot4_i32_iu8 v15, v39, v16, v15 neg_lo:[1,1,0]
	v_dot4_i32_iu8 v16, v44, v20, v19 neg_lo:[1,1,0]
	;; [unrolled: 1-line block ×6, first 2 shown]
	v_lshl_or_b32 v41, v41, 16, v47
	v_dot4_i32_iu8 v15, v42, v17, v15 neg_lo:[1,1,0]
	v_dot4_i32_iu8 v16, v45, v21, v16 neg_lo:[1,1,0]
	;; [unrolled: 1-line block ×12, first 2 shown]
	v_mul_lo_u32 v21, v15, v55
	v_mul_lo_u32 v23, v16, v54
	v_add_nc_u32_e32 v15, v16, v15
	v_add_nc_u32_e32 v16, v18, v17
	;; [unrolled: 1-line block ×3, first 2 shown]
	v_mul_lo_u32 v17, v17, v55
	v_mul_lo_u32 v18, v18, v54
	v_lshrrev_b32_e32 v25, 31, v15
	v_lshrrev_b32_e32 v26, 31, v16
	v_lshrrev_b32_e32 v27, 31, v24
	v_mul_lo_u32 v19, v19, v55
	v_mul_lo_u32 v20, v20, v54
	v_add_nc_u32_e32 v15, v15, v25
	v_add_nc_u32_e32 v16, v16, v26
	;; [unrolled: 1-line block ×3, first 2 shown]
	s_delay_alu instid0(VALU_DEP_3) | instskip(NEXT) | instid1(VALU_DEP_3)
	v_ashrrev_i32_e32 v15, 1, v15
	v_ashrrev_i32_e32 v16, 1, v16
	s_delay_alu instid0(VALU_DEP_3) | instskip(NEXT) | instid1(VALU_DEP_3)
	v_ashrrev_i32_e32 v24, 1, v24
	v_add3_u32 v15, v23, v21, v15
	s_delay_alu instid0(VALU_DEP_3) | instskip(NEXT) | instid1(VALU_DEP_3)
	v_add3_u32 v16, v18, v17, v16
	v_add3_u32 v17, v20, v19, v24
	v_cvt_f32_f16_e32 v18, v30
	v_cvt_f32_f16_e32 v23, v51
	v_ashrrev_i32_e32 v19, 31, v15
	v_ashrrev_i32_e32 v20, 31, v16
	;; [unrolled: 1-line block ×3, first 2 shown]
	v_add_nc_u32_e32 v8, 4, v8
	v_dual_mul_f32 v14, v23, v14 :: v_dual_add_nc_u32 v11, 32, v11
	v_lshrrev_b32_e32 v19, 30, v19
	v_lshrrev_b32_e32 v20, 30, v20
	;; [unrolled: 1-line block ×3, first 2 shown]
	v_mul_f32_e32 v18, v23, v18
	s_delay_alu instid0(VALU_DEP_4) | instskip(NEXT) | instid1(VALU_DEP_4)
	v_add_nc_u32_e32 v15, v15, v19
	v_add_nc_u32_e32 v16, v16, v20
	s_delay_alu instid0(VALU_DEP_4)
	v_add_nc_u32_e32 v17, v17, v21
	v_mul_f32_e32 v19, v23, v22
	v_cmp_le_u32_e32 vcc_lo, s24, v8
	v_ashrrev_i32_e32 v15, 2, v15
	v_ashrrev_i32_e32 v16, 2, v16
	;; [unrolled: 1-line block ×3, first 2 shown]
	s_or_b32 s21, vcc_lo, s21
	s_delay_alu instid0(VALU_DEP_3) | instskip(NEXT) | instid1(VALU_DEP_3)
	v_cvt_f32_i32_e32 v15, v15
	v_cvt_f32_i32_e32 v16, v16
	s_delay_alu instid0(VALU_DEP_3) | instskip(NEXT) | instid1(VALU_DEP_3)
	v_cvt_f32_i32_e32 v17, v17
	v_dual_fmac_f32 v9, v14, v15 :: v_dual_add_nc_u32 v12, 32, v12
	s_delay_alu instid0(VALU_DEP_3) | instskip(NEXT) | instid1(VALU_DEP_3)
	v_fmac_f32_e32 v7, v19, v16
	v_fmac_f32_e32 v5, v18, v17
	s_wait_alu 0xfffe
	s_and_not1_b32 exec_lo, exec_lo, s21
	s_cbranch_execnz .LBB174_2
; %bb.3:
	s_or_b32 exec_lo, exec_lo, s21
.LBB174_4:
	s_delay_alu instid0(SALU_CYCLE_1)
	s_or_b32 exec_lo, exec_lo, s23
	s_mov_b32 s3, 0
	; wave barrier
	global_inv scope:SCOPE_SE
	s_mov_b32 s2, exec_lo
	v_cmpx_eq_u32_e32 0, v6
	s_cbranch_execz .LBB174_11
; %bb.5:
	v_mbcnt_lo_u32_b32 v6, -1, 0
	s_load_b64 s[0:1], s[0:1], 0x38
	s_mul_i32 s2, s10, s19
	s_mul_i32 s4, s18, s22
	s_wait_alu 0xfffe
	s_add_co_i32 s2, s2, ttmp9
	v_xor_b32_e32 v0, 16, v6
	v_xor_b32_e32 v1, 8, v6
	;; [unrolled: 1-line block ×3, first 2 shown]
	s_wait_alu 0xfffe
	s_add_co_i32 s2, s2, s4
	s_wait_alu 0xfffe
	s_lshl_b64 s[2:3], s[2:3], 2
	v_cmp_gt_i32_e32 vcc_lo, 32, v0
	s_wait_alu 0xfffd
	v_cndmask_b32_e32 v0, v6, v0, vcc_lo
	v_cmp_gt_i32_e32 vcc_lo, 32, v1
	s_wait_kmcnt 0x0
	s_wait_alu 0xfffe
	s_add_nc_u64 s[0:1], s[0:1], s[2:3]
	s_wait_alu 0xfffd
	v_cndmask_b32_e32 v1, v6, v1, vcc_lo
	s_delay_alu instid0(VALU_DEP_1)
	v_lshlrev_b32_e32 v1, 2, v1
	v_lshlrev_b32_e32 v0, 2, v0
	ds_bpermute_b32 v2, v0, v9
	s_wait_dscnt 0x0
	v_add_f32_e32 v3, v9, v2
	v_xor_b32_e32 v2, 4, v6
	ds_bpermute_b32 v8, v1, v3
	v_cmp_gt_i32_e32 vcc_lo, 32, v2
	s_wait_alu 0xfffd
	v_cndmask_b32_e32 v2, v6, v2, vcc_lo
	s_wait_dscnt 0x0
	v_add_f32_e32 v8, v3, v8
	v_xor_b32_e32 v3, 2, v6
	s_delay_alu instid0(VALU_DEP_1) | instskip(SKIP_3) | instid1(VALU_DEP_2)
	v_cmp_gt_i32_e32 vcc_lo, 32, v3
	s_wait_alu 0xfffd
	v_cndmask_b32_e32 v3, v6, v3, vcc_lo
	v_cmp_gt_i32_e32 vcc_lo, 32, v10
	v_lshlrev_b32_e32 v3, 2, v3
	v_lshlrev_b32_e32 v2, 2, v2
	s_wait_alu 0xfffd
	v_cndmask_b32_e32 v6, v6, v10, vcc_lo
	v_cmp_eq_u32_e32 vcc_lo, 0, v4
	ds_bpermute_b32 v9, v2, v8
	v_lshlrev_b32_e32 v6, 2, v6
	s_wait_dscnt 0x0
	v_add_f32_e32 v8, v8, v9
	ds_bpermute_b32 v9, v3, v8
	s_wait_dscnt 0x0
	v_add_f32_e32 v8, v8, v9
	ds_bpermute_b32 v9, v6, v8
	s_and_saveexec_b32 s2, vcc_lo
	s_cbranch_execz .LBB174_7
; %bb.6:
	s_wait_dscnt 0x0
	v_add_f32_e32 v4, v8, v9
	v_mov_b32_e32 v8, 0
	global_store_b32 v8, v4, s[0:1]
.LBB174_7:
	s_wait_alu 0xfffe
	s_or_b32 exec_lo, exec_lo, s2
	ds_bpermute_b32 v4, v0, v7
	s_wait_dscnt 0x0
	v_add_f32_e32 v4, v7, v4
	ds_bpermute_b32 v7, v1, v4
	s_wait_dscnt 0x0
	v_add_f32_e32 v4, v4, v7
	;; [unrolled: 3-line block ×4, first 2 shown]
	ds_bpermute_b32 v7, v6, v4
	s_and_saveexec_b32 s2, vcc_lo
	s_cbranch_execz .LBB174_9
; %bb.8:
	s_mov_b32 s7, 0
	s_wait_dscnt 0x0
	v_dual_add_f32 v4, v4, v7 :: v_dual_mov_b32 v7, 0
	s_wait_alu 0xfffe
	s_lshl_b64 s[4:5], s[6:7], 2
	s_wait_alu 0xfffe
	s_add_nc_u64 s[4:5], s[0:1], s[4:5]
	global_store_b32 v7, v4, s[4:5]
.LBB174_9:
	s_wait_alu 0xfffe
	s_or_b32 exec_lo, exec_lo, s2
	ds_bpermute_b32 v0, v0, v5
	s_wait_dscnt 0x0
	v_add_f32_e32 v0, v5, v0
	ds_bpermute_b32 v1, v1, v0
	s_wait_dscnt 0x0
	v_add_f32_e32 v0, v0, v1
	;; [unrolled: 3-line block ×4, first 2 shown]
	ds_bpermute_b32 v1, v6, v0
	s_and_b32 exec_lo, exec_lo, vcc_lo
	s_cbranch_execz .LBB174_11
; %bb.10:
	s_lshl_b32 s2, s6, 1
	s_mov_b32 s3, 0
	s_wait_dscnt 0x0
	v_dual_add_f32 v0, v0, v1 :: v_dual_mov_b32 v1, 0
	s_wait_alu 0xfffe
	s_lshl_b64 s[2:3], s[2:3], 2
	s_wait_alu 0xfffe
	s_add_nc_u64 s[0:1], s[0:1], s[2:3]
	global_store_b32 v1, v0, s[0:1]
.LBB174_11:
	s_endpgm
	.section	.rodata,"a",@progbits
	.p2align	6, 0x0
	.amdhsa_kernel _ZL13mul_mat_vec_qIL9ggml_type17ELi3ELb0ELb0EEvPKvS2_PKi31ggml_cuda_mm_fusion_args_devicePfj15HIP_vector_typeIjLj3EEjjjS8_jjjS8_jjjj
		.amdhsa_group_segment_fixed_size 0
		.amdhsa_private_segment_fixed_size 0
		.amdhsa_kernarg_size 144
		.amdhsa_user_sgpr_count 2
		.amdhsa_user_sgpr_dispatch_ptr 0
		.amdhsa_user_sgpr_queue_ptr 0
		.amdhsa_user_sgpr_kernarg_segment_ptr 1
		.amdhsa_user_sgpr_dispatch_id 0
		.amdhsa_user_sgpr_private_segment_size 0
		.amdhsa_wavefront_size32 1
		.amdhsa_uses_dynamic_stack 0
		.amdhsa_enable_private_segment 0
		.amdhsa_system_sgpr_workgroup_id_x 1
		.amdhsa_system_sgpr_workgroup_id_y 1
		.amdhsa_system_sgpr_workgroup_id_z 1
		.amdhsa_system_sgpr_workgroup_info 0
		.amdhsa_system_vgpr_workitem_id 1
		.amdhsa_next_free_vgpr 93
		.amdhsa_next_free_sgpr 28
		.amdhsa_reserve_vcc 1
		.amdhsa_float_round_mode_32 0
		.amdhsa_float_round_mode_16_64 0
		.amdhsa_float_denorm_mode_32 3
		.amdhsa_float_denorm_mode_16_64 3
		.amdhsa_fp16_overflow 0
		.amdhsa_workgroup_processor_mode 1
		.amdhsa_memory_ordered 1
		.amdhsa_forward_progress 1
		.amdhsa_inst_pref_size 33
		.amdhsa_round_robin_scheduling 0
		.amdhsa_exception_fp_ieee_invalid_op 0
		.amdhsa_exception_fp_denorm_src 0
		.amdhsa_exception_fp_ieee_div_zero 0
		.amdhsa_exception_fp_ieee_overflow 0
		.amdhsa_exception_fp_ieee_underflow 0
		.amdhsa_exception_fp_ieee_inexact 0
		.amdhsa_exception_int_div_zero 0
	.end_amdhsa_kernel
	.section	.text._ZL13mul_mat_vec_qIL9ggml_type17ELi3ELb0ELb0EEvPKvS2_PKi31ggml_cuda_mm_fusion_args_devicePfj15HIP_vector_typeIjLj3EEjjjS8_jjjS8_jjjj,"axG",@progbits,_ZL13mul_mat_vec_qIL9ggml_type17ELi3ELb0ELb0EEvPKvS2_PKi31ggml_cuda_mm_fusion_args_devicePfj15HIP_vector_typeIjLj3EEjjjS8_jjjS8_jjjj,comdat
.Lfunc_end174:
	.size	_ZL13mul_mat_vec_qIL9ggml_type17ELi3ELb0ELb0EEvPKvS2_PKi31ggml_cuda_mm_fusion_args_devicePfj15HIP_vector_typeIjLj3EEjjjS8_jjjS8_jjjj, .Lfunc_end174-_ZL13mul_mat_vec_qIL9ggml_type17ELi3ELb0ELb0EEvPKvS2_PKi31ggml_cuda_mm_fusion_args_devicePfj15HIP_vector_typeIjLj3EEjjjS8_jjjS8_jjjj
                                        ; -- End function
	.set _ZL13mul_mat_vec_qIL9ggml_type17ELi3ELb0ELb0EEvPKvS2_PKi31ggml_cuda_mm_fusion_args_devicePfj15HIP_vector_typeIjLj3EEjjjS8_jjjS8_jjjj.num_vgpr, 93
	.set _ZL13mul_mat_vec_qIL9ggml_type17ELi3ELb0ELb0EEvPKvS2_PKi31ggml_cuda_mm_fusion_args_devicePfj15HIP_vector_typeIjLj3EEjjjS8_jjjS8_jjjj.num_agpr, 0
	.set _ZL13mul_mat_vec_qIL9ggml_type17ELi3ELb0ELb0EEvPKvS2_PKi31ggml_cuda_mm_fusion_args_devicePfj15HIP_vector_typeIjLj3EEjjjS8_jjjS8_jjjj.numbered_sgpr, 28
	.set _ZL13mul_mat_vec_qIL9ggml_type17ELi3ELb0ELb0EEvPKvS2_PKi31ggml_cuda_mm_fusion_args_devicePfj15HIP_vector_typeIjLj3EEjjjS8_jjjS8_jjjj.num_named_barrier, 0
	.set _ZL13mul_mat_vec_qIL9ggml_type17ELi3ELb0ELb0EEvPKvS2_PKi31ggml_cuda_mm_fusion_args_devicePfj15HIP_vector_typeIjLj3EEjjjS8_jjjS8_jjjj.private_seg_size, 0
	.set _ZL13mul_mat_vec_qIL9ggml_type17ELi3ELb0ELb0EEvPKvS2_PKi31ggml_cuda_mm_fusion_args_devicePfj15HIP_vector_typeIjLj3EEjjjS8_jjjS8_jjjj.uses_vcc, 1
	.set _ZL13mul_mat_vec_qIL9ggml_type17ELi3ELb0ELb0EEvPKvS2_PKi31ggml_cuda_mm_fusion_args_devicePfj15HIP_vector_typeIjLj3EEjjjS8_jjjS8_jjjj.uses_flat_scratch, 0
	.set _ZL13mul_mat_vec_qIL9ggml_type17ELi3ELb0ELb0EEvPKvS2_PKi31ggml_cuda_mm_fusion_args_devicePfj15HIP_vector_typeIjLj3EEjjjS8_jjjS8_jjjj.has_dyn_sized_stack, 0
	.set _ZL13mul_mat_vec_qIL9ggml_type17ELi3ELb0ELb0EEvPKvS2_PKi31ggml_cuda_mm_fusion_args_devicePfj15HIP_vector_typeIjLj3EEjjjS8_jjjS8_jjjj.has_recursion, 0
	.set _ZL13mul_mat_vec_qIL9ggml_type17ELi3ELb0ELb0EEvPKvS2_PKi31ggml_cuda_mm_fusion_args_devicePfj15HIP_vector_typeIjLj3EEjjjS8_jjjS8_jjjj.has_indirect_call, 0
	.section	.AMDGPU.csdata,"",@progbits
; Kernel info:
; codeLenInByte = 4112
; TotalNumSgprs: 30
; NumVgprs: 93
; ScratchSize: 0
; MemoryBound: 0
; FloatMode: 240
; IeeeMode: 1
; LDSByteSize: 0 bytes/workgroup (compile time only)
; SGPRBlocks: 0
; VGPRBlocks: 11
; NumSGPRsForWavesPerEU: 30
; NumVGPRsForWavesPerEU: 93
; Occupancy: 16
; WaveLimiterHint : 0
; COMPUTE_PGM_RSRC2:SCRATCH_EN: 0
; COMPUTE_PGM_RSRC2:USER_SGPR: 2
; COMPUTE_PGM_RSRC2:TRAP_HANDLER: 0
; COMPUTE_PGM_RSRC2:TGID_X_EN: 1
; COMPUTE_PGM_RSRC2:TGID_Y_EN: 1
; COMPUTE_PGM_RSRC2:TGID_Z_EN: 1
; COMPUTE_PGM_RSRC2:TIDIG_COMP_CNT: 1
	.section	.text._ZL13mul_mat_vec_qIL9ggml_type17ELi4ELb0ELb0EEvPKvS2_PKi31ggml_cuda_mm_fusion_args_devicePfj15HIP_vector_typeIjLj3EEjjjS8_jjjS8_jjjj,"axG",@progbits,_ZL13mul_mat_vec_qIL9ggml_type17ELi4ELb0ELb0EEvPKvS2_PKi31ggml_cuda_mm_fusion_args_devicePfj15HIP_vector_typeIjLj3EEjjjS8_jjjS8_jjjj,comdat
	.globl	_ZL13mul_mat_vec_qIL9ggml_type17ELi4ELb0ELb0EEvPKvS2_PKi31ggml_cuda_mm_fusion_args_devicePfj15HIP_vector_typeIjLj3EEjjjS8_jjjS8_jjjj ; -- Begin function _ZL13mul_mat_vec_qIL9ggml_type17ELi4ELb0ELb0EEvPKvS2_PKi31ggml_cuda_mm_fusion_args_devicePfj15HIP_vector_typeIjLj3EEjjjS8_jjjS8_jjjj
	.p2align	8
	.type	_ZL13mul_mat_vec_qIL9ggml_type17ELi4ELb0ELb0EEvPKvS2_PKi31ggml_cuda_mm_fusion_args_devicePfj15HIP_vector_typeIjLj3EEjjjS8_jjjS8_jjjj,@function
_ZL13mul_mat_vec_qIL9ggml_type17ELi4ELb0ELb0EEvPKvS2_PKi31ggml_cuda_mm_fusion_args_devicePfj15HIP_vector_typeIjLj3EEjjjS8_jjjS8_jjjj: ; @_ZL13mul_mat_vec_qIL9ggml_type17ELi4ELb0ELb0EEvPKvS2_PKi31ggml_cuda_mm_fusion_args_devicePfj15HIP_vector_typeIjLj3EEjjjS8_jjjS8_jjjj
; %bb.0:
	s_clause 0x5
	s_load_b96 s[16:18], s[0:1], 0x80
	s_load_b32 s3, s[0:1], 0x40
	s_load_b128 s[4:7], s[0:1], 0x50
	s_load_b32 s2, s[0:1], 0x60
	s_load_b128 s[8:11], s[0:1], 0x68
	s_load_b32 s23, s[0:1], 0x78
	v_bfe_u32 v8, v0, 10, 10
	v_dual_mov_b32 v6, 0 :: v_dual_and_b32 v5, 0x3ff, v0
	v_mov_b32_e32 v7, 0
	v_mov_b32_e32 v9, 0
	;; [unrolled: 1-line block ×3, first 2 shown]
	s_delay_alu instid0(VALU_DEP_4) | instskip(SKIP_3) | instid1(VALU_DEP_1)
	v_lshl_or_b32 v0, v8, 5, v5
	s_and_b32 s19, ttmp7, 0xffff
	s_lshr_b32 s20, ttmp7, 16
	s_mov_b32 s21, exec_lo
	v_lshrrev_b32_e32 v10, 3, v0
	s_wait_kmcnt 0x0
	s_lshr_b32 s22, s3, 8
	s_delay_alu instid0(VALU_DEP_1) | instid1(SALU_CYCLE_1)
	v_cmpx_gt_u32_e64 s22, v10
	s_cbranch_execz .LBB175_4
; %bb.1:
	v_lshl_add_u32 v0, v8, 5, v5
	s_mul_hi_u32 s3, s7, s19
	s_mul_i32 s24, s9, s19
	s_add_co_i32 s7, s19, s3
	s_mov_b32 s3, 0
	v_lshrrev_b32_e32 v0, 3, v0
	s_mov_b32 s25, s3
	s_lshr_b32 s2, s7, s2
	s_mul_u64 s[24:25], s[24:25], 36
	s_load_b128 s[12:15], s[0:1], 0x0
	v_mad_co_u64_u32 v[0:1], null, 0x120, v0, s[24:25]
	s_mul_i32 s7, s2, s8
	s_mul_hi_u32 s2, s11, s20
	v_dual_mov_b32 v11, 0 :: v_dual_and_b32 v12, 7, v5
	s_add_co_i32 s8, s20, s2
	s_mul_i32 s2, s17, s20
	v_lshlrev_b32_e32 v2, 1, v5
	v_mad_co_u64_u32 v[0:1], null, s2, 36, v[0:1]
	v_lshlrev_b32_e32 v4, 3, v10
	s_lshr_b32 s11, s8, s23
	s_delay_alu instid0(VALU_DEP_3) | instskip(SKIP_3) | instid1(VALU_DEP_4)
	v_and_b32_e32 v2, 14, v2
	s_mul_u64 s[8:9], s[2:3], 36
	s_mul_i32 s4, s4, ttmp9
	v_mov_b32_e32 v6, 0
	v_mad_co_u64_u32 v[14:15], null, v12, 36, v[0:1]
	v_lshlrev_b32_e32 v7, 1, v2
	v_mad_co_u64_u32 v[2:3], null, s5, 3, v[4:5]
	s_wait_kmcnt 0x0
	s_add_nc_u64 s[8:9], s[14:15], s[8:9]
	v_add_nc_u32_e32 v13, s5, v4
	s_add_nc_u64 s[8:9], s[8:9], s[24:25]
	s_delay_alu instid0(VALU_DEP_4) | instskip(NEXT) | instid1(VALU_DEP_1)
	v_add_co_u32 v3, vcc_lo, s14, v14
	v_add_co_ci_u32_e64 v9, null, s15, v15, vcc_lo
	v_mad_co_u64_u32 v[0:1], null, v12, 36, s[8:9]
	s_delay_alu instid0(VALU_DEP_3)
	v_add_co_u32 v3, vcc_lo, v3, 16
	v_lshl_add_u32 v14, s5, 1, v4
	s_wait_alu 0xfffd
	v_add_co_ci_u32_e64 v4, null, 0, v9, vcc_lo
	v_lshlrev_b32_e32 v15, 1, v7
	v_mov_b32_e32 v7, 0
	v_mov_b32_e32 v9, 0
	s_mul_i32 s2, s11, s16
	s_add_co_i32 s7, s7, s4
	s_wait_alu 0xfffe
	s_add_co_i32 s7, s2, s7
.LBB175_2:                              ; =>This Inner Loop Header: Depth=1
	s_delay_alu instid0(SALU_CYCLE_1) | instskip(SKIP_2) | instid1(VALU_DEP_3)
	v_add_nc_u32_e32 v24, s7, v10
	v_mad_co_u64_u32 v[32:33], null, v13, 36, v[0:1]
	v_mad_co_u64_u32 v[36:37], null, v14, 36, v[0:1]
	v_mad_co_i64_i32 v[46:47], null, 0x4a, v24, s[12:13]
	v_mad_co_u64_u32 v[44:45], null, v2, 36, v[0:1]
	s_clause 0x1
	global_load_b128 v[16:19], v[3:4], off offset:-16
	global_load_b128 v[20:23], v[3:4], off
	s_clause 0x6
	global_load_b128 v[24:27], v[32:33], off
	global_load_b128 v[28:31], v[32:33], off offset:16
	global_load_b32 v56, v[32:33], off offset:32
	global_load_b128 v[32:35], v[36:37], off
	global_load_b32 v57, v[36:37], off offset:32
	global_load_b128 v[36:39], v[36:37], off offset:16
	global_load_b128 v[40:43], v[44:45], off
	s_getpc_b64 s[4:5]
	s_wait_alu 0xfffe
	s_sext_i32_i16 s5, s5
	s_add_co_u32 s4, s4, _ZL10iq2xs_grid@rel32@lo+12
	s_wait_alu 0xfffe
	s_add_co_ci_u32 s5, s5, _ZL10iq2xs_grid@rel32@hi+24
	v_add_nc_u32_e32 v10, 4, v10
	v_add_co_u32 v48, vcc_lo, v46, v15
	s_wait_alu 0xfffd
	v_add_co_ci_u32_e64 v49, null, 0, v47, vcc_lo
	v_add_co_u32 v50, vcc_lo, v46, v12
	s_wait_alu 0xfffd
	v_add_co_ci_u32_e64 v51, null, 0, v47, vcc_lo
	s_clause 0x2
	global_load_b64 v[48:49], v[48:49], off offset:2
	global_load_u8 v58, v[50:51], off offset:66
	global_load_u16 v59, v[46:47], off
	v_add_nc_u32_e32 v13, 32, v13
	v_add_nc_u32_e32 v2, 32, v2
	;; [unrolled: 1-line block ×3, first 2 shown]
	s_wait_loadcnt 0x9
	v_cvt_f32_f16_e32 v24, v24
	s_wait_loadcnt 0x6
	v_cvt_f32_f16_e32 v32, v32
	v_cvt_f32_f16_e32 v16, v16
	s_wait_loadcnt 0x2
	v_and_b32_e32 v46, 0x1ff, v48
	v_lshrrev_b32_e32 v47, 13, v48
	v_and_b32_e32 v51, 0x1ff, v49
	v_lshrrev_b32_e32 v52, 13, v49
	v_lshrrev_b32_e32 v50, 25, v48
	;; [unrolled: 1-line block ×3, first 2 shown]
	v_lshlrev_b32_e32 v46, 3, v46
	v_and_b32_e32 v54, 0xff8, v47
	v_lshlrev_b32_e32 v55, 3, v51
	v_and_b32_e32 v65, 0xff8, v52
	v_bcnt_u32_b32 v63, v50, 0
	v_bcnt_u32_b32 v66, v53, 0
	s_clause 0x3
	global_load_b64 v[46:47], v46, s[4:5]
	global_load_b64 v[50:51], v54, s[4:5]
	;; [unrolled: 1-line block ×4, first 2 shown]
	v_bfe_u32 v60, v48, 9, 7
	v_bfe_u32 v61, v49, 9, 7
	v_and_b32_e32 v63, 1, v63
	v_and_b32_e32 v65, 1, v66
	s_delay_alu instid0(VALU_DEP_4) | instskip(NEXT) | instid1(VALU_DEP_4)
	v_bcnt_u32_b32 v62, v60, 0
	v_bcnt_u32_b32 v64, v61, 0
	s_delay_alu instid0(VALU_DEP_4) | instskip(NEXT) | instid1(VALU_DEP_4)
	v_alignbit_b32 v48, v63, v48, 25
	v_alignbit_b32 v49, v65, v49, 25
	s_delay_alu instid0(VALU_DEP_4) | instskip(NEXT) | instid1(VALU_DEP_4)
	v_and_b32_e32 v62, 1, v62
	v_and_b32_e32 v64, 1, v64
	s_delay_alu instid0(VALU_DEP_4) | instskip(NEXT) | instid1(VALU_DEP_4)
	v_mul_lo_u32 v48, 0x1010101, v48
	v_mul_lo_u32 v49, 0x1010101, v49
	s_delay_alu instid0(VALU_DEP_4) | instskip(NEXT) | instid1(VALU_DEP_4)
	v_lshl_or_b32 v60, v62, 7, v60
	v_lshl_or_b32 v61, v64, 7, v61
	s_delay_alu instid0(VALU_DEP_2)
	v_mul_lo_u32 v60, 0x1010101, v60
	v_and_b32_e32 v66, 0x8040201, v48
	v_lshrrev_b32_e32 v67, 18, v48
	v_bfe_i32 v68, v48, 0, 1
	v_and_b32_e32 v69, 0x80402010, v48
	v_mul_lo_u32 v61, 0x1010101, v61
	v_lshrrev_b16 v82, 8, v66
	v_lshrrev_b32_e32 v66, 24, v66
	v_and_b32_e32 v62, 0x8040201, v60
	v_lshrrev_b32_e32 v63, 18, v60
	v_bfe_i32 v64, v60, 0, 1
	v_and_b32_e32 v65, 0x80402010, v60
	v_lshrrev_b32_e32 v60, 22, v60
	v_lshrrev_b16 v78, 8, v62
	v_lshrrev_b32_e32 v62, 24, v62
	v_bfe_i32 v63, v63, 0, 1
	v_and_b32_e32 v79, 0xff, v64
	v_lshrrev_b16 v80, 8, v65
	v_cmp_ne_u16_e32 vcc_lo, 0, v78
	v_lshrrev_b32_e32 v81, 24, v65
	v_and_b32_e32 v92, 0xff, v63
	v_lshrrev_b16 v65, 4, v65
	v_bfe_i32 v60, v60, 0, 1
	s_wait_alu 0xfffd
	v_cndmask_b32_e64 v78, 0, -1, vcc_lo
	v_cmp_ne_u16_e32 vcc_lo, 0, v62
	v_cmp_ne_u16_e64 s2, 0, v81
	v_bfe_i32 v65, v65, 0, 1
	v_bfe_i32 v67, v67, 0, 1
	v_lshlrev_b16 v78, 8, v78
	s_wait_alu 0xfffd
	v_cndmask_b32_e64 v62, 0, -1, vcc_lo
	v_cmp_ne_u16_e32 vcc_lo, 0, v80
	s_wait_alu 0xf1ff
	v_cndmask_b32_e64 v81, 0, -1, s2
	v_and_b32_e32 v83, 0xff, v68
	v_or_b32_e32 v79, v79, v78
	v_lshlrev_b16 v62, 8, v62
	s_wait_alu 0xfffd
	v_cndmask_b32_e64 v80, 0, -1, vcc_lo
	v_cmp_ne_u16_e32 vcc_lo, 0, v82
	v_and_b32_e32 v82, 0xff, v60
	v_and_b32_e32 v79, 0xffff, v79
	v_or_b32_e32 v92, v92, v62
	v_lshlrev_b16 v80, 8, v80
	v_lshlrev_b16 v81, 8, v81
	v_lshrrev_b16 v84, 8, v69
	v_lshrrev_b32_e32 v85, 24, v69
	v_lshlrev_b32_e32 v92, 16, v92
	v_lshrrev_b32_e32 v48, 22, v48
	v_or_b32_e32 v82, v82, v81
	v_and_b32_e32 v70, 0x8040201, v61
	v_lshrrev_b16 v69, 4, v69
	v_or_b32_e32 v79, v79, v92
	v_and_b32_e32 v92, 0xff, v65
	v_lshlrev_b32_e32 v82, 16, v82
	v_cmp_ne_u16_e64 s2, 0, v85
	v_bfe_i32 v48, v48, 0, 1
	v_lshrrev_b16 v86, 8, v70
	v_or_b32_e32 v92, v92, v80
	v_bfe_i32 v69, v69, 0, 1
	s_wait_alu 0xf1ff
	v_cndmask_b32_e64 v85, 0, -1, s2
	v_lshrrev_b32_e32 v70, 24, v70
	v_lshrrev_b32_e32 v71, 18, v61
	v_and_b32_e32 v92, 0xffff, v92
	v_bfe_i32 v72, v61, 0, 1
	v_lshlrev_b16 v85, 8, v85
	v_and_b32_e32 v73, 0x80402010, v61
	v_bfe_i32 v71, v71, 0, 1
	v_or_b32_e32 v82, v92, v82
	v_and_b32_e32 v87, 0xff, v72
	v_lshrrev_b32_e32 v61, 22, v61
	v_lshrrev_b16 v88, 8, v73
	v_lshrrev_b32_e32 v89, 24, v73
	v_and_b32_e32 v74, 0x8040201, v49
	v_lshrrev_b16 v73, 4, v73
	v_bfe_i32 v61, v61, 0, 1
	v_lshrrev_b32_e32 v75, 18, v49
	v_cmp_ne_u16_e64 s2, 0, v89
	v_lshrrev_b16 v90, 8, v74
	v_lshrrev_b32_e32 v74, 24, v74
	v_bfe_i32 v73, v73, 0, 1
	v_and_b32_e32 v77, 0x80402010, v49
	s_wait_alu 0xf1ff
	v_cndmask_b32_e64 v89, 0, -1, s2
	v_cmp_ne_u16_e64 s2, 0, v90
	v_bfe_i32 v76, v49, 0, 1
	v_bfe_i32 v75, v75, 0, 1
	v_lshrrev_b16 v92, 8, v77
	v_lshlrev_b16 v89, 8, v89
	s_wait_alu 0xf1ff
	v_cndmask_b32_e64 v90, 0, -1, s2
	v_and_b32_e32 v91, 0xff, v76
	v_lshrrev_b32_e32 v49, 22, v49
	v_cmp_ne_u16_e64 s2, 0, v92
	v_and_b32_e32 v92, 0xff, v75
	v_lshlrev_b16 v90, 8, v90
	v_lshlrev_b16 v76, 8, v76
	v_bfe_i32 v49, v49, 0, 1
	v_lshlrev_b16 v64, 8, v64
	v_lshlrev_b16 v65, 8, v65
	v_or_b32_e32 v91, v91, v90
	v_lshlrev_b16 v63, 8, v63
	v_lshlrev_b16 v68, 8, v68
	;; [unrolled: 1-line block ×4, first 2 shown]
	v_and_b32_e32 v91, 0xffff, v91
	v_lshlrev_b16 v75, 8, v75
	s_wait_loadcnt 0x3
	v_xor_b32_e32 v79, v46, v79
	s_wait_alu 0xfffd
	v_cndmask_b32_e64 v46, 0, -1, vcc_lo
	v_cmp_ne_u16_e32 vcc_lo, 0, v66
	v_xor_b32_e32 v82, v47, v82
	v_and_b32_e32 v47, 0xff, v67
	v_lshlrev_b16 v67, 8, v67
	v_lshlrev_b16 v46, 8, v46
	s_wait_alu 0xfffd
	v_cndmask_b32_e64 v66, 0, -1, vcc_lo
	v_cmp_ne_u16_e32 vcc_lo, 0, v84
	s_delay_alu instid0(VALU_DEP_3) | instskip(NEXT) | instid1(VALU_DEP_3)
	v_or_b32_e32 v83, v83, v46
	v_lshlrev_b16 v66, 8, v66
	s_wait_alu 0xfffd
	v_cndmask_b32_e64 v84, 0, -1, vcc_lo
	v_cmp_ne_u16_e32 vcc_lo, 0, v86
	v_and_b32_e32 v86, 0xff, v48
	v_and_b32_e32 v83, 0xffff, v83
	v_or_b32_e32 v47, v47, v66
	v_lshlrev_b16 v84, 8, v84
	v_lshlrev_b16 v48, 8, v48
	v_or_b32_e32 v86, v86, v85
	s_delay_alu instid0(VALU_DEP_4) | instskip(NEXT) | instid1(VALU_DEP_2)
	v_lshlrev_b32_e32 v47, 16, v47
	v_lshlrev_b32_e32 v86, 16, v86
	s_delay_alu instid0(VALU_DEP_2) | instskip(SKIP_3) | instid1(VALU_DEP_3)
	v_or_b32_e32 v47, v83, v47
	v_and_b32_e32 v83, 0xff, v69
	v_lshlrev_b16 v69, 8, v69
	s_wait_loadcnt 0x2
	v_xor_b32_e32 v50, v50, v47
	s_delay_alu instid0(VALU_DEP_3) | instskip(SKIP_3) | instid1(VALU_DEP_3)
	v_or_b32_e32 v83, v83, v84
	s_wait_alu 0xfffd
	v_cndmask_b32_e64 v47, 0, -1, vcc_lo
	v_cmp_ne_u16_e32 vcc_lo, 0, v70
	v_and_b32_e32 v83, 0xffff, v83
	s_delay_alu instid0(VALU_DEP_3)
	v_lshlrev_b16 v47, 8, v47
	s_wait_alu 0xfffd
	v_cndmask_b32_e64 v70, 0, -1, vcc_lo
	v_cmp_ne_u16_e32 vcc_lo, 0, v88
	v_or_b32_e32 v83, v83, v86
	v_or_b32_e32 v87, v87, v47
	s_delay_alu instid0(VALU_DEP_4)
	v_lshlrev_b16 v70, 8, v70
	s_wait_alu 0xfffd
	v_cndmask_b32_e64 v88, 0, -1, vcc_lo
	v_cmp_ne_u16_e32 vcc_lo, 0, v74
	v_xor_b32_e32 v51, v51, v83
	v_and_b32_e32 v83, 0xff, v71
	v_and_b32_e32 v87, 0xffff, v87
	;; [unrolled: 1-line block ×3, first 2 shown]
	v_lshlrev_b16 v88, 8, v88
	v_lshrrev_b32_e32 v86, 24, v77
	v_or_b32_e32 v83, v83, v70
	v_lshrrev_b16 v77, 4, v77
	v_or_b32_e32 v74, v74, v89
	v_lshlrev_b16 v71, 8, v71
	v_lshlrev_b16 v61, 8, v61
	v_lshlrev_b32_e32 v83, 16, v83
	v_bfe_i32 v77, v77, 0, 1
	v_lshlrev_b32_e32 v74, 16, v74
	s_delay_alu instid0(VALU_DEP_3) | instskip(SKIP_3) | instid1(VALU_DEP_3)
	v_or_b32_e32 v83, v87, v83
	v_and_b32_e32 v87, 0xff, v73
	v_lshlrev_b16 v73, 8, v73
	s_wait_loadcnt 0x1
	v_xor_b32_e32 v52, v52, v83
	s_delay_alu instid0(VALU_DEP_3) | instskip(SKIP_2) | instid1(VALU_DEP_3)
	v_or_b32_e32 v87, v87, v88
	v_and_b32_e32 v83, 0xff, v49
	v_lshlrev_b16 v49, 8, v49
	v_and_b32_e32 v87, 0xffff, v87
	s_delay_alu instid0(VALU_DEP_1) | instskip(SKIP_3) | instid1(VALU_DEP_3)
	v_or_b32_e32 v74, v87, v74
	s_wait_alu 0xfffd
	v_cndmask_b32_e64 v87, 0, -1, vcc_lo
	v_cmp_ne_u16_e32 vcc_lo, 0, v86
	v_xor_b32_e32 v53, v53, v74
	s_delay_alu instid0(VALU_DEP_3)
	v_lshlrev_b16 v87, 8, v87
	s_wait_alu 0xf1ff
	v_cndmask_b32_e64 v74, 0, -1, s2
	s_wait_alu 0xfffd
	v_cndmask_b32_e64 v86, 0, -1, vcc_lo
	v_or_b32_e32 v92, v92, v87
	s_delay_alu instid0(VALU_DEP_3) | instskip(NEXT) | instid1(VALU_DEP_3)
	v_lshlrev_b16 v74, 8, v74
	v_lshlrev_b16 v86, 8, v86
	s_delay_alu instid0(VALU_DEP_3) | instskip(NEXT) | instid1(VALU_DEP_2)
	v_lshlrev_b32_e32 v92, 16, v92
	v_or_b32_e32 v83, v83, v86
	s_delay_alu instid0(VALU_DEP_2) | instskip(SKIP_1) | instid1(VALU_DEP_3)
	v_or_b32_e32 v91, v91, v92
	v_and_b32_e32 v92, 0xff, v77
	v_lshlrev_b32_e32 v83, 16, v83
	v_lshlrev_b16 v77, 8, v77
	s_wait_loadcnt 0x0
	v_xor_b32_e32 v54, v54, v91
	v_or_b32_e32 v92, v92, v74
	v_lshlrev_b16 v91, 8, v79
	s_delay_alu instid0(VALU_DEP_2) | instskip(NEXT) | instid1(VALU_DEP_2)
	v_and_b32_e32 v92, 0xffff, v92
	v_sub_nc_i16 v64, v91, v64 clamp
	v_lshlrev_b16 v91, 8, v82
	s_delay_alu instid0(VALU_DEP_3)
	v_or_b32_e32 v83, v92, v83
	global_load_b32 v92, v[44:45], off offset:32
	v_sub_nc_i16 v65, v91, v65 clamp
	v_lshlrev_b16 v91, 8, v50
	v_xor_b32_e32 v55, v55, v83
	v_and_b32_e32 v83, 0xffffff00, v79
	v_lshrrev_b32_e32 v79, 16, v79
	s_delay_alu instid0(VALU_DEP_4) | instskip(SKIP_1) | instid1(VALU_DEP_4)
	v_sub_nc_i16 v68, v91, v68 clamp
	v_lshlrev_b16 v91, 8, v51
	v_sub_nc_i16 v78, v83, v78 clamp
	v_and_b32_e32 v83, 0xffffff00, v82
	s_delay_alu instid0(VALU_DEP_3) | instskip(SKIP_1) | instid1(VALU_DEP_4)
	v_sub_nc_i16 v69, v91, v69 clamp
	v_lshlrev_b16 v91, 8, v52
	v_perm_b32 v64, v64, v78, 0xc0c0105
	s_delay_alu instid0(VALU_DEP_4)
	v_sub_nc_i16 v80, v83, v80 clamp
	v_and_b32_e32 v83, 0xffffff00, v50
	v_and_b32_e32 v78, 0xffffff00, v79
	v_lshlrev_b16 v79, 8, v79
	v_lshrrev_b32_e32 v50, 16, v50
	v_perm_b32 v65, v65, v80, 0xc0c0105
	v_sub_nc_i16 v83, v83, v46 clamp
	v_and_b32_e32 v46, 0xffffff00, v51
	v_sub_nc_i16 v62, v78, v62 clamp
	global_load_b32 v78, v[3:4], off offset:16
	v_sub_nc_i16 v63, v79, v63 clamp
	v_lshrrev_b32_e32 v79, 16, v82
	v_sub_nc_i16 v84, v46, v84 clamp
	v_and_b32_e32 v46, 0xffffff00, v52
	v_lshrrev_b32_e32 v51, 16, v51
	v_lshrrev_b32_e32 v52, 16, v52
	v_and_b32_e32 v80, 0xffffff00, v79
	v_lshlrev_b16 v79, 8, v79
	v_sub_nc_i16 v93, v46, v47 clamp
	v_and_b32_e32 v46, 0xffffff00, v53
	v_lshlrev_b16 v47, 8, v53
	v_sub_nc_i16 v80, v80, v81 clamp
	v_sub_nc_i16 v60, v79, v60 clamp
	v_and_b32_e32 v79, 0xffffff00, v50
	v_sub_nc_i16 v88, v46, v88 clamp
	v_and_b32_e32 v46, 0xffffff00, v54
	v_sub_nc_i16 v73, v47, v73 clamp
	v_lshlrev_b16 v47, 8, v54
	v_lshlrev_b16 v50, 8, v50
	v_lshrrev_b32_e32 v53, 16, v53
	v_sub_nc_i16 v90, v46, v90 clamp
	v_and_b32_e32 v46, 0xffffff00, v55
	v_sub_nc_i16 v76, v47, v76 clamp
	v_lshlrev_b16 v47, 8, v55
	v_lshrrev_b32_e32 v54, 16, v54
	v_lshrrev_b32_e32 v55, 16, v55
	v_sub_nc_i16 v74, v46, v74 clamp
	v_sub_nc_i16 v50, v50, v67 clamp
	;; [unrolled: 1-line block ×3, first 2 shown]
	global_load_b128 v[44:47], v[44:45], off offset:16
	v_and_b32_e32 v67, 0xffffff00, v51
	v_lshlrev_b16 v51, 8, v51
	v_and_b32_e32 v81, 0xffffff00, v52
	v_lshlrev_b16 v52, 8, v52
	v_sub_nc_i16 v72, v91, v72 clamp
	v_perm_b32 v68, v68, v83, 0xc0c0105
	v_and_b32_e32 v82, 0xffffff00, v53
	v_lshlrev_b16 v53, 8, v53
	v_sub_nc_i16 v48, v51, v48 clamp
	v_and_b32_e32 v51, 0xffffff00, v54
	v_lshlrev_b16 v54, 8, v54
	v_and_b32_e32 v83, 0xffffff00, v55
	v_lshlrev_b16 v55, 8, v55
	v_sub_nc_i16 v70, v81, v70 clamp
	v_sub_nc_i16 v52, v52, v71 clamp
	v_perm_b32 v72, v72, v93, 0xc0c0105
	v_perm_b32 v71, v73, v88, 0xc0c0105
	v_sub_nc_i16 v73, v82, v89 clamp
	v_sub_nc_i16 v53, v53, v61 clamp
	;; [unrolled: 1-line block ×5, first 2 shown]
	v_perm_b32 v55, v63, v62, 0xc0c0105
	v_perm_b32 v52, v52, v70, 0xc0c0105
	v_sub_nc_i16 v66, v79, v66 clamp
	v_perm_b32 v60, v60, v80, 0xc0c0105
	v_perm_b32 v53, v53, v73, 0xc0c0105
	;; [unrolled: 1-line block ×3, first 2 shown]
	v_lshl_or_b32 v54, v55, 16, v64
	v_lshl_or_b32 v52, v52, 16, v72
	v_sub_nc_i16 v67, v67, v85 clamp
	v_perm_b32 v61, v76, v90, 0xc0c0105
	v_sub_nc_i16 v75, v83, v86 clamp
	v_perm_b32 v50, v50, v66, 0xc0c0105
	v_lshl_or_b32 v55, v60, 16, v65
	v_lshl_or_b32 v53, v53, 16, v71
	v_dot4_i32_iu8 v17, v54, v17, 0 neg_lo:[1,1,0]
	v_dot4_i32_iu8 v21, v52, v21, 0 neg_lo:[1,1,0]
	;; [unrolled: 1-line block ×7, first 2 shown]
	v_perm_b32 v69, v69, v84, 0xc0c0105
	v_perm_b32 v74, v77, v74, 0xc0c0105
	;; [unrolled: 1-line block ×4, first 2 shown]
	v_lshl_or_b32 v50, v50, 16, v68
	v_lshl_or_b32 v51, v51, 16, v61
	v_dot4_i32_iu8 v17, v55, v18, v17 neg_lo:[1,1,0]
	v_dot4_i32_iu8 v18, v53, v22, v21 neg_lo:[1,1,0]
	;; [unrolled: 1-line block ×7, first 2 shown]
	v_lshl_or_b32 v48, v48, 16, v69
	v_lshl_or_b32 v49, v49, 16, v74
	v_dot4_i32_iu8 v17, v50, v19, v17 neg_lo:[1,1,0]
	v_dot4_i32_iu8 v18, v51, v23, v18 neg_lo:[1,1,0]
	;; [unrolled: 1-line block ×7, first 2 shown]
	v_lshrrev_b32_e32 v79, 4, v58
	v_and_b32_e32 v58, 15, v58
	v_dot4_i32_iu8 v17, v48, v20, v17 neg_lo:[1,1,0]
	v_dot4_i32_iu8 v19, v48, v28, v19 neg_lo:[1,1,0]
	;; [unrolled: 1-line block ×5, first 2 shown]
	v_add_co_u32 v3, vcc_lo, 0x480, v3
	s_delay_alu instid0(VALU_DEP_4)
	v_mul_lo_u32 v28, v20, v79
	s_wait_alu 0xfffd
	v_add_co_ci_u32_e64 v4, null, 0, v4, vcc_lo
	v_cmp_le_u32_e32 vcc_lo, s22, v10
	s_or_b32 s3, vcc_lo, s3
	s_wait_loadcnt 0x1
	v_dot4_i32_iu8 v18, v49, v78, v18 neg_lo:[1,1,0]
	s_delay_alu instid0(VALU_DEP_1) | instskip(SKIP_3) | instid1(VALU_DEP_2)
	v_mul_lo_u32 v27, v18, v79
	s_wait_loadcnt 0x0
	v_dot4_i32_iu8 v45, v52, v45, 0 neg_lo:[1,1,0]
	v_dot4_i32_iu8 v23, v48, v44, v25 neg_lo:[1,1,0]
	;; [unrolled: 1-line block ×3, first 2 shown]
	s_delay_alu instid0(VALU_DEP_1) | instskip(NEXT) | instid1(VALU_DEP_1)
	v_dot4_i32_iu8 v26, v51, v47, v30 neg_lo:[1,1,0]
	v_dot4_i32_iu8 v25, v49, v92, v26 neg_lo:[1,1,0]
	v_mul_lo_u32 v26, v17, v58
	v_add_nc_u32_e32 v17, v18, v17
	v_mul_lo_u32 v18, v19, v58
	v_add_nc_u32_e32 v19, v20, v19
	;; [unrolled: 2-line block ×3, first 2 shown]
	v_add_nc_u32_e32 v29, v25, v23
	v_lshrrev_b32_e32 v30, 31, v17
	v_lshrrev_b32_e32 v31, 31, v19
	v_mul_lo_u32 v22, v22, v79
	v_lshrrev_b32_e32 v33, 31, v21
	v_lshrrev_b32_e32 v34, 31, v29
	v_add_nc_u32_e32 v17, v17, v30
	v_add_nc_u32_e32 v19, v19, v31
	v_mul_lo_u32 v23, v23, v58
	v_add_nc_u32_e32 v21, v21, v33
	v_add_nc_u32_e32 v29, v29, v34
	v_mul_lo_u32 v25, v25, v79
	v_ashrrev_i32_e32 v17, 1, v17
	v_ashrrev_i32_e32 v19, 1, v19
	v_ashrrev_i32_e32 v21, 1, v21
	v_ashrrev_i32_e32 v29, 1, v29
	v_cvt_f32_f16_e32 v30, v40
	v_add3_u32 v17, v27, v26, v17
	v_add3_u32 v18, v28, v18, v19
	;; [unrolled: 1-line block ×4, first 2 shown]
	v_cvt_f32_f16_e32 v21, v59
	v_ashrrev_i32_e32 v22, 31, v17
	v_ashrrev_i32_e32 v23, 31, v18
	;; [unrolled: 1-line block ×4, first 2 shown]
	v_mul_f32_e32 v16, v21, v16
	v_lshrrev_b32_e32 v22, 30, v22
	v_lshrrev_b32_e32 v23, 30, v23
	;; [unrolled: 1-line block ×4, first 2 shown]
	v_mul_f32_e32 v24, v21, v24
	v_add_nc_u32_e32 v17, v17, v22
	v_add_nc_u32_e32 v18, v18, v23
	v_add_nc_u32_e32 v19, v19, v25
	v_add_nc_u32_e32 v20, v20, v26
	v_mul_f32_e32 v22, v21, v32
	v_ashrrev_i32_e32 v17, 2, v17
	v_ashrrev_i32_e32 v18, 2, v18
	;; [unrolled: 1-line block ×4, first 2 shown]
	v_mul_f32_e32 v21, v21, v30
	v_cvt_f32_i32_e32 v17, v17
	v_cvt_f32_i32_e32 v18, v18
	;; [unrolled: 1-line block ×4, first 2 shown]
	s_delay_alu instid0(VALU_DEP_4) | instskip(NEXT) | instid1(VALU_DEP_4)
	v_fmac_f32_e32 v11, v16, v17
	v_fmac_f32_e32 v9, v24, v18
	s_delay_alu instid0(VALU_DEP_3)
	v_dual_fmac_f32 v7, v22, v19 :: v_dual_fmac_f32 v6, v21, v20
	s_wait_alu 0xfffe
	s_and_not1_b32 exec_lo, exec_lo, s3
	s_cbranch_execnz .LBB175_2
; %bb.3:
	s_or_b32 exec_lo, exec_lo, s3
.LBB175_4:
	s_delay_alu instid0(SALU_CYCLE_1)
	s_or_b32 exec_lo, exec_lo, s21
	s_mov_b32 s3, 0
	; wave barrier
	global_inv scope:SCOPE_SE
	s_mov_b32 s2, exec_lo
	v_cmpx_eq_u32_e32 0, v8
	s_cbranch_execz .LBB175_13
; %bb.5:
	v_mbcnt_lo_u32_b32 v4, -1, 0
	s_load_b64 s[0:1], s[0:1], 0x38
	s_mul_i32 s2, s10, s19
	s_mul_i32 s4, s18, s20
	s_wait_alu 0xfffe
	s_add_co_i32 s2, s2, ttmp9
	v_xor_b32_e32 v0, 16, v4
	v_xor_b32_e32 v1, 8, v4
	s_wait_alu 0xfffe
	s_add_co_i32 s2, s2, s4
	s_wait_alu 0xfffe
	s_lshl_b64 s[2:3], s[2:3], 2
	v_cmp_gt_i32_e32 vcc_lo, 32, v0
	s_wait_alu 0xfffd
	v_cndmask_b32_e32 v0, v4, v0, vcc_lo
	v_cmp_gt_i32_e32 vcc_lo, 32, v1
	s_wait_alu 0xfffd
	v_cndmask_b32_e32 v1, v4, v1, vcc_lo
	s_wait_kmcnt 0x0
	s_wait_alu 0xfffe
	s_add_nc_u64 s[0:1], s[0:1], s[2:3]
	s_delay_alu instid0(VALU_DEP_1)
	v_lshlrev_b32_e32 v1, 2, v1
	v_lshlrev_b32_e32 v0, 2, v0
	ds_bpermute_b32 v2, v0, v11
	s_wait_dscnt 0x0
	v_add_f32_e32 v3, v11, v2
	v_xor_b32_e32 v2, 4, v4
	v_xor_b32_e32 v11, 1, v4
	ds_bpermute_b32 v8, v1, v3
	v_cmp_gt_i32_e32 vcc_lo, 32, v2
	s_wait_alu 0xfffd
	v_cndmask_b32_e32 v2, v4, v2, vcc_lo
	s_wait_dscnt 0x0
	v_add_f32_e32 v8, v3, v8
	v_xor_b32_e32 v3, 2, v4
	s_delay_alu instid0(VALU_DEP_1) | instskip(SKIP_3) | instid1(VALU_DEP_2)
	v_cmp_gt_i32_e32 vcc_lo, 32, v3
	s_wait_alu 0xfffd
	v_cndmask_b32_e32 v3, v4, v3, vcc_lo
	v_cmp_gt_i32_e32 vcc_lo, 32, v11
	v_lshlrev_b32_e32 v3, 2, v3
	v_lshlrev_b32_e32 v2, 2, v2
	s_wait_alu 0xfffd
	v_cndmask_b32_e32 v4, v4, v11, vcc_lo
	v_cmp_eq_u32_e32 vcc_lo, 0, v5
	ds_bpermute_b32 v10, v2, v8
	v_lshlrev_b32_e32 v4, 2, v4
	s_wait_dscnt 0x0
	v_add_f32_e32 v8, v8, v10
	ds_bpermute_b32 v10, v3, v8
	s_wait_dscnt 0x0
	v_add_f32_e32 v8, v8, v10
	ds_bpermute_b32 v10, v4, v8
	s_and_saveexec_b32 s2, vcc_lo
	s_cbranch_execz .LBB175_7
; %bb.6:
	s_wait_dscnt 0x0
	v_dual_add_f32 v5, v8, v10 :: v_dual_mov_b32 v8, 0
	global_store_b32 v8, v5, s[0:1]
.LBB175_7:
	s_wait_alu 0xfffe
	s_or_b32 exec_lo, exec_lo, s2
	ds_bpermute_b32 v5, v0, v9
	s_wait_dscnt 0x0
	v_add_f32_e32 v5, v9, v5
	ds_bpermute_b32 v8, v1, v5
	s_wait_dscnt 0x0
	v_add_f32_e32 v5, v5, v8
	;; [unrolled: 3-line block ×4, first 2 shown]
	ds_bpermute_b32 v8, v4, v5
	s_and_saveexec_b32 s2, vcc_lo
	s_cbranch_execz .LBB175_9
; %bb.8:
	s_mov_b32 s7, 0
	s_wait_dscnt 0x0
	v_dual_add_f32 v5, v5, v8 :: v_dual_mov_b32 v8, 0
	s_wait_alu 0xfffe
	s_lshl_b64 s[4:5], s[6:7], 2
	s_wait_alu 0xfffe
	s_add_nc_u64 s[4:5], s[0:1], s[4:5]
	global_store_b32 v8, v5, s[4:5]
.LBB175_9:
	s_wait_alu 0xfffe
	s_or_b32 exec_lo, exec_lo, s2
	ds_bpermute_b32 v5, v0, v7
	s_wait_dscnt 0x0
	v_add_f32_e32 v5, v7, v5
	ds_bpermute_b32 v7, v1, v5
	s_wait_dscnt 0x0
	v_add_f32_e32 v5, v5, v7
	;; [unrolled: 3-line block ×4, first 2 shown]
	ds_bpermute_b32 v7, v4, v5
	s_and_saveexec_b32 s2, vcc_lo
	s_cbranch_execz .LBB175_11
; %bb.10:
	s_lshl_b32 s4, s6, 1
	s_mov_b32 s5, 0
	s_wait_dscnt 0x0
	v_add_f32_e32 v5, v5, v7
	v_mov_b32_e32 v7, 0
	s_wait_alu 0xfffe
	s_lshl_b64 s[4:5], s[4:5], 2
	s_wait_alu 0xfffe
	s_add_nc_u64 s[4:5], s[0:1], s[4:5]
	global_store_b32 v7, v5, s[4:5]
.LBB175_11:
	s_wait_alu 0xfffe
	s_or_b32 exec_lo, exec_lo, s2
	ds_bpermute_b32 v0, v0, v6
	s_wait_dscnt 0x0
	v_add_f32_e32 v0, v6, v0
	ds_bpermute_b32 v1, v1, v0
	s_wait_dscnt 0x0
	v_add_f32_e32 v0, v0, v1
	;; [unrolled: 3-line block ×4, first 2 shown]
	ds_bpermute_b32 v1, v4, v0
	s_and_b32 exec_lo, exec_lo, vcc_lo
	s_cbranch_execz .LBB175_13
; %bb.12:
	s_mul_i32 s2, s6, 3
	s_mov_b32 s3, 0
	s_wait_dscnt 0x0
	v_dual_add_f32 v0, v0, v1 :: v_dual_mov_b32 v1, 0
	s_wait_alu 0xfffe
	s_lshl_b64 s[2:3], s[2:3], 2
	s_wait_alu 0xfffe
	s_add_nc_u64 s[0:1], s[0:1], s[2:3]
	global_store_b32 v1, v0, s[0:1]
.LBB175_13:
	s_endpgm
	.section	.rodata,"a",@progbits
	.p2align	6, 0x0
	.amdhsa_kernel _ZL13mul_mat_vec_qIL9ggml_type17ELi4ELb0ELb0EEvPKvS2_PKi31ggml_cuda_mm_fusion_args_devicePfj15HIP_vector_typeIjLj3EEjjjS8_jjjS8_jjjj
		.amdhsa_group_segment_fixed_size 0
		.amdhsa_private_segment_fixed_size 0
		.amdhsa_kernarg_size 144
		.amdhsa_user_sgpr_count 2
		.amdhsa_user_sgpr_dispatch_ptr 0
		.amdhsa_user_sgpr_queue_ptr 0
		.amdhsa_user_sgpr_kernarg_segment_ptr 1
		.amdhsa_user_sgpr_dispatch_id 0
		.amdhsa_user_sgpr_private_segment_size 0
		.amdhsa_wavefront_size32 1
		.amdhsa_uses_dynamic_stack 0
		.amdhsa_enable_private_segment 0
		.amdhsa_system_sgpr_workgroup_id_x 1
		.amdhsa_system_sgpr_workgroup_id_y 1
		.amdhsa_system_sgpr_workgroup_id_z 1
		.amdhsa_system_sgpr_workgroup_info 0
		.amdhsa_system_vgpr_workitem_id 1
		.amdhsa_next_free_vgpr 94
		.amdhsa_next_free_sgpr 26
		.amdhsa_reserve_vcc 1
		.amdhsa_float_round_mode_32 0
		.amdhsa_float_round_mode_16_64 0
		.amdhsa_float_denorm_mode_32 3
		.amdhsa_float_denorm_mode_16_64 3
		.amdhsa_fp16_overflow 0
		.amdhsa_workgroup_processor_mode 1
		.amdhsa_memory_ordered 1
		.amdhsa_forward_progress 1
		.amdhsa_inst_pref_size 35
		.amdhsa_round_robin_scheduling 0
		.amdhsa_exception_fp_ieee_invalid_op 0
		.amdhsa_exception_fp_denorm_src 0
		.amdhsa_exception_fp_ieee_div_zero 0
		.amdhsa_exception_fp_ieee_overflow 0
		.amdhsa_exception_fp_ieee_underflow 0
		.amdhsa_exception_fp_ieee_inexact 0
		.amdhsa_exception_int_div_zero 0
	.end_amdhsa_kernel
	.section	.text._ZL13mul_mat_vec_qIL9ggml_type17ELi4ELb0ELb0EEvPKvS2_PKi31ggml_cuda_mm_fusion_args_devicePfj15HIP_vector_typeIjLj3EEjjjS8_jjjS8_jjjj,"axG",@progbits,_ZL13mul_mat_vec_qIL9ggml_type17ELi4ELb0ELb0EEvPKvS2_PKi31ggml_cuda_mm_fusion_args_devicePfj15HIP_vector_typeIjLj3EEjjjS8_jjjS8_jjjj,comdat
.Lfunc_end175:
	.size	_ZL13mul_mat_vec_qIL9ggml_type17ELi4ELb0ELb0EEvPKvS2_PKi31ggml_cuda_mm_fusion_args_devicePfj15HIP_vector_typeIjLj3EEjjjS8_jjjS8_jjjj, .Lfunc_end175-_ZL13mul_mat_vec_qIL9ggml_type17ELi4ELb0ELb0EEvPKvS2_PKi31ggml_cuda_mm_fusion_args_devicePfj15HIP_vector_typeIjLj3EEjjjS8_jjjS8_jjjj
                                        ; -- End function
	.set _ZL13mul_mat_vec_qIL9ggml_type17ELi4ELb0ELb0EEvPKvS2_PKi31ggml_cuda_mm_fusion_args_devicePfj15HIP_vector_typeIjLj3EEjjjS8_jjjS8_jjjj.num_vgpr, 94
	.set _ZL13mul_mat_vec_qIL9ggml_type17ELi4ELb0ELb0EEvPKvS2_PKi31ggml_cuda_mm_fusion_args_devicePfj15HIP_vector_typeIjLj3EEjjjS8_jjjS8_jjjj.num_agpr, 0
	.set _ZL13mul_mat_vec_qIL9ggml_type17ELi4ELb0ELb0EEvPKvS2_PKi31ggml_cuda_mm_fusion_args_devicePfj15HIP_vector_typeIjLj3EEjjjS8_jjjS8_jjjj.numbered_sgpr, 26
	.set _ZL13mul_mat_vec_qIL9ggml_type17ELi4ELb0ELb0EEvPKvS2_PKi31ggml_cuda_mm_fusion_args_devicePfj15HIP_vector_typeIjLj3EEjjjS8_jjjS8_jjjj.num_named_barrier, 0
	.set _ZL13mul_mat_vec_qIL9ggml_type17ELi4ELb0ELb0EEvPKvS2_PKi31ggml_cuda_mm_fusion_args_devicePfj15HIP_vector_typeIjLj3EEjjjS8_jjjS8_jjjj.private_seg_size, 0
	.set _ZL13mul_mat_vec_qIL9ggml_type17ELi4ELb0ELb0EEvPKvS2_PKi31ggml_cuda_mm_fusion_args_devicePfj15HIP_vector_typeIjLj3EEjjjS8_jjjS8_jjjj.uses_vcc, 1
	.set _ZL13mul_mat_vec_qIL9ggml_type17ELi4ELb0ELb0EEvPKvS2_PKi31ggml_cuda_mm_fusion_args_devicePfj15HIP_vector_typeIjLj3EEjjjS8_jjjS8_jjjj.uses_flat_scratch, 0
	.set _ZL13mul_mat_vec_qIL9ggml_type17ELi4ELb0ELb0EEvPKvS2_PKi31ggml_cuda_mm_fusion_args_devicePfj15HIP_vector_typeIjLj3EEjjjS8_jjjS8_jjjj.has_dyn_sized_stack, 0
	.set _ZL13mul_mat_vec_qIL9ggml_type17ELi4ELb0ELb0EEvPKvS2_PKi31ggml_cuda_mm_fusion_args_devicePfj15HIP_vector_typeIjLj3EEjjjS8_jjjS8_jjjj.has_recursion, 0
	.set _ZL13mul_mat_vec_qIL9ggml_type17ELi4ELb0ELb0EEvPKvS2_PKi31ggml_cuda_mm_fusion_args_devicePfj15HIP_vector_typeIjLj3EEjjjS8_jjjS8_jjjj.has_indirect_call, 0
	.section	.AMDGPU.csdata,"",@progbits
; Kernel info:
; codeLenInByte = 4476
; TotalNumSgprs: 28
; NumVgprs: 94
; ScratchSize: 0
; MemoryBound: 0
; FloatMode: 240
; IeeeMode: 1
; LDSByteSize: 0 bytes/workgroup (compile time only)
; SGPRBlocks: 0
; VGPRBlocks: 11
; NumSGPRsForWavesPerEU: 28
; NumVGPRsForWavesPerEU: 94
; Occupancy: 16
; WaveLimiterHint : 0
; COMPUTE_PGM_RSRC2:SCRATCH_EN: 0
; COMPUTE_PGM_RSRC2:USER_SGPR: 2
; COMPUTE_PGM_RSRC2:TRAP_HANDLER: 0
; COMPUTE_PGM_RSRC2:TGID_X_EN: 1
; COMPUTE_PGM_RSRC2:TGID_Y_EN: 1
; COMPUTE_PGM_RSRC2:TGID_Z_EN: 1
; COMPUTE_PGM_RSRC2:TIDIG_COMP_CNT: 1
	.section	.text._ZL13mul_mat_vec_qIL9ggml_type17ELi5ELb0ELb0EEvPKvS2_PKi31ggml_cuda_mm_fusion_args_devicePfj15HIP_vector_typeIjLj3EEjjjS8_jjjS8_jjjj,"axG",@progbits,_ZL13mul_mat_vec_qIL9ggml_type17ELi5ELb0ELb0EEvPKvS2_PKi31ggml_cuda_mm_fusion_args_devicePfj15HIP_vector_typeIjLj3EEjjjS8_jjjS8_jjjj,comdat
	.globl	_ZL13mul_mat_vec_qIL9ggml_type17ELi5ELb0ELb0EEvPKvS2_PKi31ggml_cuda_mm_fusion_args_devicePfj15HIP_vector_typeIjLj3EEjjjS8_jjjS8_jjjj ; -- Begin function _ZL13mul_mat_vec_qIL9ggml_type17ELi5ELb0ELb0EEvPKvS2_PKi31ggml_cuda_mm_fusion_args_devicePfj15HIP_vector_typeIjLj3EEjjjS8_jjjS8_jjjj
	.p2align	8
	.type	_ZL13mul_mat_vec_qIL9ggml_type17ELi5ELb0ELb0EEvPKvS2_PKi31ggml_cuda_mm_fusion_args_devicePfj15HIP_vector_typeIjLj3EEjjjS8_jjjS8_jjjj,@function
_ZL13mul_mat_vec_qIL9ggml_type17ELi5ELb0ELb0EEvPKvS2_PKi31ggml_cuda_mm_fusion_args_devicePfj15HIP_vector_typeIjLj3EEjjjS8_jjjS8_jjjj: ; @_ZL13mul_mat_vec_qIL9ggml_type17ELi5ELb0ELb0EEvPKvS2_PKi31ggml_cuda_mm_fusion_args_devicePfj15HIP_vector_typeIjLj3EEjjjS8_jjjS8_jjjj
; %bb.0:
	s_clause 0x5
	s_load_b96 s[16:18], s[0:1], 0x80
	s_load_b32 s2, s[0:1], 0x40
	s_load_b128 s[4:7], s[0:1], 0x50
	s_load_b32 s23, s[0:1], 0x60
	s_load_b128 s[8:11], s[0:1], 0x68
	s_load_b32 s24, s[0:1], 0x78
	v_bfe_u32 v9, v0, 10, 10
	v_dual_mov_b32 v5, 0 :: v_dual_and_b32 v6, 0x3ff, v0
	v_dual_mov_b32 v7, 0 :: v_dual_mov_b32 v8, 0
	v_mov_b32_e32 v10, 0
	s_delay_alu instid0(VALU_DEP_3)
	v_lshl_or_b32 v0, v9, 5, v6
	v_mov_b32_e32 v12, 0
	s_and_b32 s19, ttmp7, 0xffff
	s_lshr_b32 s20, ttmp7, 16
	s_mov_b32 s21, exec_lo
	v_lshrrev_b32_e32 v11, 3, v0
	s_wait_kmcnt 0x0
	s_lshr_b32 s22, s2, 8
	s_delay_alu instid0(VALU_DEP_1) | instid1(SALU_CYCLE_1)
	v_cmpx_gt_u32_e64 s22, v11
	s_cbranch_execz .LBB176_4
; %bb.1:
	v_lshl_add_u32 v0, v9, 5, v6
	s_mov_b32 s3, 0
	s_mul_i32 s26, s9, s19
	s_mov_b32 s27, s3
	s_load_b128 s[12:15], s[0:1], 0x0
	v_lshrrev_b32_e32 v0, 3, v0
	s_mul_u64 s[26:27], s[26:27], 36
	s_mul_i32 s2, s17, s20
	v_and_b32_e32 v13, 7, v6
	v_dual_mov_b32 v5, 0 :: v_dual_lshlrev_b32 v2, 1, v6
	v_mad_co_u64_u32 v[0:1], null, 0x120, v0, s[26:27]
	s_mul_hi_u32 s7, s7, s19
	v_and_b32_e32 v2, 14, v2
	v_lshlrev_b32_e32 v4, 3, v11
	s_mul_hi_u32 s11, s11, s20
	s_add_co_i32 s7, s19, s7
	s_mul_u64 s[28:29], s[2:3], 36
	v_mad_co_u64_u32 v[0:1], null, s2, 36, v[0:1]
	s_add_co_i32 s9, s20, s11
	s_lshr_b32 s7, s7, s23
	v_lshlrev_b32_e32 v10, 1, v2
	v_mad_co_u64_u32 v[2:3], null, s5, 3, v[4:5]
	s_lshr_b32 s11, s9, s24
	v_mad_co_u64_u32 v[7:8], null, v13, 36, v[0:1]
	s_mul_i32 s7, s7, s8
	s_wait_kmcnt 0x0
	s_add_nc_u64 s[8:9], s[14:15], s[28:29]
	s_mul_i32 s4, s4, ttmp9
	s_add_nc_u64 s[8:9], s[8:9], s[26:27]
	v_add_nc_u32_e32 v14, s5, v4
	v_lshl_add_u32 v15, s5, 2, v4
	v_add_co_u32 v3, vcc_lo, s14, v7
	s_delay_alu instid0(VALU_DEP_1) | instskip(SKIP_2) | instid1(VALU_DEP_4)
	v_add_co_ci_u32_e64 v7, null, s15, v8, vcc_lo
	v_mov_b32_e32 v8, 0
	v_mad_co_u64_u32 v[0:1], null, v13, 36, s[8:9]
	v_add_co_u32 v3, vcc_lo, v3, 16
	v_lshl_add_u32 v16, s5, 1, v4
	s_wait_alu 0xfffd
	v_add_co_ci_u32_e64 v4, null, 0, v7, vcc_lo
	v_dual_mov_b32 v10, 0 :: v_dual_lshlrev_b32 v17, 1, v10
	v_dual_mov_b32 v7, 0 :: v_dual_mov_b32 v12, 0
	s_mul_i32 s2, s11, s16
	s_wait_alu 0xfffe
	s_add_co_i32 s7, s7, s4
	s_delay_alu instid0(SALU_CYCLE_1)
	s_add_co_i32 s7, s2, s7
.LBB176_2:                              ; =>This Inner Loop Header: Depth=1
	s_delay_alu instid0(SALU_CYCLE_1)
	v_add_nc_u32_e32 v18, s7, v11
	s_getpc_b64 s[4:5]
	s_wait_alu 0xfffe
	s_sext_i32_i16 s5, s5
	s_add_co_u32 s4, s4, _ZL10iq2xs_grid@rel32@lo+12
	s_wait_alu 0xfffe
	s_add_co_ci_u32 s5, s5, _ZL10iq2xs_grid@rel32@hi+24
	v_add_nc_u32_e32 v11, 4, v11
	v_mad_co_i64_i32 v[29:30], null, 0x4a, v18, s[12:13]
	s_delay_alu instid0(VALU_DEP_1) | instskip(SKIP_1) | instid1(VALU_DEP_2)
	v_add_co_u32 v18, vcc_lo, v29, v17
	s_wait_alu 0xfffd
	v_add_co_ci_u32_e64 v19, null, 0, v30, vcc_lo
	global_load_b64 v[23:24], v[18:19], off offset:2
	v_add_co_u32 v18, vcc_lo, v29, v13
	s_wait_alu 0xfffd
	v_add_co_ci_u32_e64 v19, null, 0, v30, vcc_lo
	global_load_u8 v28, v[18:19], off offset:66
	s_wait_loadcnt 0x1
	v_and_b32_e32 v18, 0x1ff, v23
	v_bfe_u32 v20, v23, 9, 7
	s_delay_alu instid0(VALU_DEP_2) | instskip(NEXT) | instid1(VALU_DEP_2)
	v_lshlrev_b32_e32 v18, 3, v18
	v_bcnt_u32_b32 v21, v20, 0
	global_load_b64 v[18:19], v18, s[4:5]
	v_and_b32_e32 v21, 1, v21
	s_delay_alu instid0(VALU_DEP_1) | instskip(NEXT) | instid1(VALU_DEP_1)
	v_lshl_or_b32 v20, v21, 7, v20
	v_mul_lo_u32 v20, 0x1010101, v20
	s_delay_alu instid0(VALU_DEP_1) | instskip(NEXT) | instid1(VALU_DEP_1)
	v_and_b32_e32 v21, 0x8040201, v20
	v_lshrrev_b16 v22, 8, v21
	v_lshrrev_b32_e32 v21, 24, v21
	s_delay_alu instid0(VALU_DEP_2) | instskip(NEXT) | instid1(VALU_DEP_2)
	v_cmp_ne_u16_e64 s2, 0, v22
	v_cmp_ne_u16_e32 vcc_lo, 0, v21
	v_lshrrev_b32_e32 v21, 18, v20
	v_bfe_i32 v22, v20, 0, 1
	s_wait_alu 0xf1ff
	v_cndmask_b32_e64 v26, 0, -1, s2
	s_wait_alu 0xfffd
	v_cndmask_b32_e64 v31, 0, -1, vcc_lo
	v_bfe_i32 v21, v21, 0, 1
	v_and_b32_e32 v25, 0xff, v22
	v_lshlrev_b16 v22, 8, v22
	v_lshlrev_b16 v26, 8, v26
	;; [unrolled: 1-line block ×3, first 2 shown]
	v_and_b32_e32 v27, 0xff, v21
	v_lshlrev_b16 v21, 8, v21
	s_delay_alu instid0(VALU_DEP_4) | instskip(NEXT) | instid1(VALU_DEP_3)
	v_or_b32_e32 v25, v25, v26
	v_or_b32_e32 v27, v27, v31
	s_delay_alu instid0(VALU_DEP_2) | instskip(NEXT) | instid1(VALU_DEP_2)
	v_and_b32_e32 v25, 0xffff, v25
	v_lshlrev_b32_e32 v27, 16, v27
	s_delay_alu instid0(VALU_DEP_1) | instskip(SKIP_1) | instid1(VALU_DEP_1)
	v_or_b32_e32 v25, v25, v27
	s_wait_loadcnt 0x0
	v_xor_b32_e32 v18, v18, v25
	s_delay_alu instid0(VALU_DEP_1) | instskip(SKIP_2) | instid1(VALU_DEP_2)
	v_lshrrev_b32_e32 v25, 16, v18
	v_and_b32_e32 v27, 0xffffff00, v18
	v_lshlrev_b16 v18, 8, v18
	v_sub_nc_i16 v26, v27, v26 clamp
	s_delay_alu instid0(VALU_DEP_2) | instskip(SKIP_2) | instid1(VALU_DEP_3)
	v_sub_nc_i16 v18, v18, v22 clamp
	v_and_b32_e32 v22, 0xffffff00, v25
	v_lshlrev_b16 v25, 8, v25
	v_perm_b32 v18, v18, v26, 0xc0c0105
	s_delay_alu instid0(VALU_DEP_3) | instskip(NEXT) | instid1(VALU_DEP_3)
	v_sub_nc_i16 v22, v22, v31 clamp
	v_sub_nc_i16 v21, v25, v21 clamp
	s_delay_alu instid0(VALU_DEP_1) | instskip(NEXT) | instid1(VALU_DEP_1)
	v_perm_b32 v21, v21, v22, 0xc0c0105
	v_lshl_or_b32 v18, v21, 16, v18
	v_and_b32_e32 v21, 0x80402010, v20
	v_lshrrev_b32_e32 v20, 22, v20
	s_delay_alu instid0(VALU_DEP_2) | instskip(SKIP_2) | instid1(VALU_DEP_4)
	v_lshrrev_b16 v22, 8, v21
	v_lshrrev_b32_e32 v25, 24, v21
	v_lshrrev_b16 v21, 4, v21
	v_bfe_i32 v20, v20, 0, 1
	s_delay_alu instid0(VALU_DEP_4) | instskip(NEXT) | instid1(VALU_DEP_4)
	v_cmp_ne_u16_e64 s2, 0, v22
	v_cmp_ne_u16_e32 vcc_lo, 0, v25
	s_delay_alu instid0(VALU_DEP_4) | instskip(NEXT) | instid1(VALU_DEP_4)
	v_bfe_i32 v21, v21, 0, 1
	v_and_b32_e32 v26, 0xff, v20
	v_lshlrev_b16 v20, 8, v20
	s_wait_alu 0xf1ff
	v_cndmask_b32_e64 v25, 0, -1, s2
	s_wait_alu 0xfffd
	v_cndmask_b32_e64 v27, 0, -1, vcc_lo
	v_and_b32_e32 v22, 0xff, v21
	v_lshlrev_b16 v21, 8, v21
	v_lshlrev_b16 v25, 8, v25
	s_delay_alu instid0(VALU_DEP_4) | instskip(NEXT) | instid1(VALU_DEP_2)
	v_lshlrev_b16 v27, 8, v27
	v_or_b32_e32 v22, v22, v25
	s_delay_alu instid0(VALU_DEP_2) | instskip(NEXT) | instid1(VALU_DEP_2)
	v_or_b32_e32 v26, v26, v27
	v_and_b32_e32 v22, 0xffff, v22
	s_delay_alu instid0(VALU_DEP_2) | instskip(NEXT) | instid1(VALU_DEP_1)
	v_lshlrev_b32_e32 v26, 16, v26
	v_or_b32_e32 v22, v22, v26
	s_delay_alu instid0(VALU_DEP_1) | instskip(NEXT) | instid1(VALU_DEP_1)
	v_xor_b32_e32 v19, v19, v22
	v_lshrrev_b32_e32 v22, 16, v19
	v_and_b32_e32 v26, 0xffffff00, v19
	v_lshlrev_b16 v19, 8, v19
	s_delay_alu instid0(VALU_DEP_2) | instskip(NEXT) | instid1(VALU_DEP_2)
	v_sub_nc_i16 v25, v26, v25 clamp
	v_sub_nc_i16 v19, v19, v21 clamp
	v_and_b32_e32 v21, 0xffffff00, v22
	v_lshlrev_b16 v22, 8, v22
	s_delay_alu instid0(VALU_DEP_3) | instskip(NEXT) | instid1(VALU_DEP_3)
	v_perm_b32 v19, v19, v25, 0xc0c0105
	v_sub_nc_i16 v21, v21, v27 clamp
	s_delay_alu instid0(VALU_DEP_3) | instskip(SKIP_1) | instid1(VALU_DEP_2)
	v_sub_nc_i16 v20, v22, v20 clamp
	v_lshrrev_b32_e32 v22, 25, v23
	v_perm_b32 v20, v20, v21, 0xc0c0105
	s_delay_alu instid0(VALU_DEP_2) | instskip(NEXT) | instid1(VALU_DEP_2)
	v_bcnt_u32_b32 v22, v22, 0
	v_lshl_or_b32 v19, v20, 16, v19
	v_lshrrev_b32_e32 v20, 13, v23
	s_delay_alu instid0(VALU_DEP_3) | instskip(NEXT) | instid1(VALU_DEP_2)
	v_and_b32_e32 v22, 1, v22
	v_and_b32_e32 v20, 0xff8, v20
	s_delay_alu instid0(VALU_DEP_2) | instskip(SKIP_2) | instid1(VALU_DEP_1)
	v_alignbit_b32 v22, v22, v23, 25
	global_load_b64 v[20:21], v20, s[4:5]
	v_mul_lo_u32 v22, 0x1010101, v22
	v_and_b32_e32 v23, 0x8040201, v22
	s_delay_alu instid0(VALU_DEP_1) | instskip(SKIP_1) | instid1(VALU_DEP_2)
	v_lshrrev_b16 v25, 8, v23
	v_lshrrev_b32_e32 v23, 24, v23
	v_cmp_ne_u16_e64 s2, 0, v25
	s_delay_alu instid0(VALU_DEP_2)
	v_cmp_ne_u16_e32 vcc_lo, 0, v23
	v_lshrrev_b32_e32 v23, 18, v22
	v_bfe_i32 v25, v22, 0, 1
	s_wait_alu 0xf1ff
	v_cndmask_b32_e64 v27, 0, -1, s2
	s_wait_alu 0xfffd
	v_cndmask_b32_e64 v32, 0, -1, vcc_lo
	v_bfe_i32 v23, v23, 0, 1
	v_and_b32_e32 v26, 0xff, v25
	v_lshlrev_b16 v25, 8, v25
	v_lshlrev_b16 v27, 8, v27
	;; [unrolled: 1-line block ×3, first 2 shown]
	v_and_b32_e32 v31, 0xff, v23
	v_lshlrev_b16 v23, 8, v23
	s_delay_alu instid0(VALU_DEP_4) | instskip(NEXT) | instid1(VALU_DEP_3)
	v_or_b32_e32 v26, v26, v27
	v_or_b32_e32 v31, v31, v32
	s_delay_alu instid0(VALU_DEP_2) | instskip(NEXT) | instid1(VALU_DEP_2)
	v_and_b32_e32 v26, 0xffff, v26
	v_lshlrev_b32_e32 v31, 16, v31
	s_delay_alu instid0(VALU_DEP_1) | instskip(SKIP_1) | instid1(VALU_DEP_1)
	v_or_b32_e32 v26, v26, v31
	s_wait_loadcnt 0x0
	v_xor_b32_e32 v20, v20, v26
	s_delay_alu instid0(VALU_DEP_1) | instskip(SKIP_2) | instid1(VALU_DEP_2)
	v_lshrrev_b32_e32 v26, 16, v20
	v_and_b32_e32 v31, 0xffffff00, v20
	v_lshlrev_b16 v20, 8, v20
	v_sub_nc_i16 v27, v31, v27 clamp
	s_delay_alu instid0(VALU_DEP_2) | instskip(SKIP_2) | instid1(VALU_DEP_3)
	v_sub_nc_i16 v20, v20, v25 clamp
	v_and_b32_e32 v25, 0xffffff00, v26
	v_lshlrev_b16 v26, 8, v26
	v_perm_b32 v20, v20, v27, 0xc0c0105
	s_delay_alu instid0(VALU_DEP_3) | instskip(NEXT) | instid1(VALU_DEP_3)
	v_sub_nc_i16 v25, v25, v32 clamp
	v_sub_nc_i16 v23, v26, v23 clamp
	s_delay_alu instid0(VALU_DEP_1) | instskip(NEXT) | instid1(VALU_DEP_1)
	v_perm_b32 v23, v23, v25, 0xc0c0105
	v_lshl_or_b32 v20, v23, 16, v20
	v_and_b32_e32 v23, 0x80402010, v22
	v_lshrrev_b32_e32 v22, 22, v22
	s_delay_alu instid0(VALU_DEP_2) | instskip(SKIP_2) | instid1(VALU_DEP_4)
	v_lshrrev_b16 v25, 8, v23
	v_lshrrev_b32_e32 v26, 24, v23
	v_lshrrev_b16 v23, 4, v23
	v_bfe_i32 v22, v22, 0, 1
	s_delay_alu instid0(VALU_DEP_4) | instskip(NEXT) | instid1(VALU_DEP_4)
	v_cmp_ne_u16_e64 s2, 0, v25
	v_cmp_ne_u16_e32 vcc_lo, 0, v26
	s_delay_alu instid0(VALU_DEP_4) | instskip(NEXT) | instid1(VALU_DEP_4)
	v_bfe_i32 v23, v23, 0, 1
	v_and_b32_e32 v27, 0xff, v22
	v_lshlrev_b16 v22, 8, v22
	s_wait_alu 0xf1ff
	v_cndmask_b32_e64 v26, 0, -1, s2
	s_wait_alu 0xfffd
	v_cndmask_b32_e64 v31, 0, -1, vcc_lo
	v_and_b32_e32 v25, 0xff, v23
	v_lshlrev_b16 v23, 8, v23
	v_lshlrev_b16 v26, 8, v26
	s_delay_alu instid0(VALU_DEP_4) | instskip(NEXT) | instid1(VALU_DEP_2)
	v_lshlrev_b16 v31, 8, v31
	v_or_b32_e32 v25, v25, v26
	s_delay_alu instid0(VALU_DEP_2) | instskip(NEXT) | instid1(VALU_DEP_2)
	v_or_b32_e32 v27, v27, v31
	v_and_b32_e32 v25, 0xffff, v25
	s_delay_alu instid0(VALU_DEP_2) | instskip(NEXT) | instid1(VALU_DEP_1)
	v_lshlrev_b32_e32 v27, 16, v27
	v_or_b32_e32 v25, v25, v27
	s_delay_alu instid0(VALU_DEP_1) | instskip(NEXT) | instid1(VALU_DEP_1)
	v_xor_b32_e32 v21, v21, v25
	v_lshrrev_b32_e32 v25, 16, v21
	v_and_b32_e32 v27, 0xffffff00, v21
	v_lshlrev_b16 v21, 8, v21
	s_delay_alu instid0(VALU_DEP_2) | instskip(NEXT) | instid1(VALU_DEP_2)
	v_sub_nc_i16 v26, v27, v26 clamp
	v_sub_nc_i16 v21, v21, v23 clamp
	v_and_b32_e32 v23, 0xffffff00, v25
	v_lshlrev_b16 v25, 8, v25
	s_delay_alu instid0(VALU_DEP_3) | instskip(NEXT) | instid1(VALU_DEP_3)
	v_perm_b32 v21, v21, v26, 0xc0c0105
	v_sub_nc_i16 v23, v23, v31 clamp
	s_delay_alu instid0(VALU_DEP_3) | instskip(SKIP_1) | instid1(VALU_DEP_2)
	v_sub_nc_i16 v22, v25, v22 clamp
	v_bfe_u32 v25, v24, 9, 7
	v_perm_b32 v22, v22, v23, 0xc0c0105
	s_delay_alu instid0(VALU_DEP_2) | instskip(NEXT) | instid1(VALU_DEP_2)
	v_bcnt_u32_b32 v26, v25, 0
	v_lshl_or_b32 v21, v22, 16, v21
	v_and_b32_e32 v22, 0x1ff, v24
	s_delay_alu instid0(VALU_DEP_3) | instskip(NEXT) | instid1(VALU_DEP_2)
	v_and_b32_e32 v26, 1, v26
	v_lshlrev_b32_e32 v22, 3, v22
	s_delay_alu instid0(VALU_DEP_2) | instskip(SKIP_2) | instid1(VALU_DEP_1)
	v_lshl_or_b32 v25, v26, 7, v25
	global_load_b64 v[22:23], v22, s[4:5]
	v_mul_lo_u32 v25, 0x1010101, v25
	v_and_b32_e32 v26, 0x8040201, v25
	s_delay_alu instid0(VALU_DEP_1) | instskip(SKIP_1) | instid1(VALU_DEP_2)
	v_lshrrev_b16 v27, 8, v26
	v_lshrrev_b32_e32 v26, 24, v26
	v_cmp_ne_u16_e64 s2, 0, v27
	s_delay_alu instid0(VALU_DEP_2)
	v_cmp_ne_u16_e32 vcc_lo, 0, v26
	v_lshrrev_b32_e32 v26, 18, v25
	v_bfe_i32 v27, v25, 0, 1
	s_wait_alu 0xf1ff
	v_cndmask_b32_e64 v32, 0, -1, s2
	s_wait_alu 0xfffd
	v_cndmask_b32_e64 v34, 0, -1, vcc_lo
	v_bfe_i32 v26, v26, 0, 1
	v_and_b32_e32 v31, 0xff, v27
	v_lshlrev_b16 v27, 8, v27
	v_lshlrev_b16 v32, 8, v32
	v_lshlrev_b16 v34, 8, v34
	v_and_b32_e32 v33, 0xff, v26
	v_lshlrev_b16 v26, 8, v26
	s_delay_alu instid0(VALU_DEP_4) | instskip(NEXT) | instid1(VALU_DEP_3)
	v_or_b32_e32 v31, v31, v32
	v_or_b32_e32 v33, v33, v34
	s_delay_alu instid0(VALU_DEP_2) | instskip(NEXT) | instid1(VALU_DEP_2)
	v_and_b32_e32 v31, 0xffff, v31
	v_lshlrev_b32_e32 v33, 16, v33
	s_delay_alu instid0(VALU_DEP_1) | instskip(SKIP_1) | instid1(VALU_DEP_1)
	v_or_b32_e32 v31, v31, v33
	s_wait_loadcnt 0x0
	v_xor_b32_e32 v22, v22, v31
	s_delay_alu instid0(VALU_DEP_1) | instskip(SKIP_2) | instid1(VALU_DEP_2)
	v_lshrrev_b32_e32 v31, 16, v22
	v_and_b32_e32 v33, 0xffffff00, v22
	v_lshlrev_b16 v22, 8, v22
	v_sub_nc_i16 v32, v33, v32 clamp
	s_delay_alu instid0(VALU_DEP_2) | instskip(SKIP_2) | instid1(VALU_DEP_3)
	v_sub_nc_i16 v22, v22, v27 clamp
	v_and_b32_e32 v27, 0xffffff00, v31
	v_lshlrev_b16 v31, 8, v31
	v_perm_b32 v22, v22, v32, 0xc0c0105
	s_delay_alu instid0(VALU_DEP_3) | instskip(NEXT) | instid1(VALU_DEP_3)
	v_sub_nc_i16 v27, v27, v34 clamp
	v_sub_nc_i16 v26, v31, v26 clamp
	s_delay_alu instid0(VALU_DEP_1) | instskip(NEXT) | instid1(VALU_DEP_1)
	v_perm_b32 v26, v26, v27, 0xc0c0105
	v_lshl_or_b32 v22, v26, 16, v22
	v_and_b32_e32 v26, 0x80402010, v25
	v_lshrrev_b32_e32 v25, 22, v25
	s_delay_alu instid0(VALU_DEP_2) | instskip(SKIP_2) | instid1(VALU_DEP_4)
	v_lshrrev_b16 v27, 8, v26
	v_lshrrev_b32_e32 v31, 24, v26
	v_lshrrev_b16 v26, 4, v26
	v_bfe_i32 v25, v25, 0, 1
	s_delay_alu instid0(VALU_DEP_4) | instskip(NEXT) | instid1(VALU_DEP_4)
	v_cmp_ne_u16_e64 s2, 0, v27
	v_cmp_ne_u16_e32 vcc_lo, 0, v31
	s_delay_alu instid0(VALU_DEP_4) | instskip(NEXT) | instid1(VALU_DEP_4)
	v_bfe_i32 v26, v26, 0, 1
	v_and_b32_e32 v32, 0xff, v25
	v_lshlrev_b16 v25, 8, v25
	s_wait_alu 0xf1ff
	v_cndmask_b32_e64 v31, 0, -1, s2
	s_wait_alu 0xfffd
	v_cndmask_b32_e64 v33, 0, -1, vcc_lo
	v_and_b32_e32 v27, 0xff, v26
	v_lshlrev_b16 v26, 8, v26
	v_lshlrev_b16 v31, 8, v31
	s_delay_alu instid0(VALU_DEP_4) | instskip(NEXT) | instid1(VALU_DEP_2)
	v_lshlrev_b16 v33, 8, v33
	v_or_b32_e32 v27, v27, v31
	s_delay_alu instid0(VALU_DEP_2) | instskip(NEXT) | instid1(VALU_DEP_2)
	v_or_b32_e32 v32, v32, v33
	v_and_b32_e32 v27, 0xffff, v27
	s_delay_alu instid0(VALU_DEP_2) | instskip(NEXT) | instid1(VALU_DEP_1)
	v_lshlrev_b32_e32 v32, 16, v32
	v_or_b32_e32 v27, v27, v32
	s_delay_alu instid0(VALU_DEP_1) | instskip(NEXT) | instid1(VALU_DEP_1)
	v_xor_b32_e32 v23, v23, v27
	v_lshrrev_b32_e32 v27, 16, v23
	v_and_b32_e32 v32, 0xffffff00, v23
	v_lshlrev_b16 v23, 8, v23
	s_delay_alu instid0(VALU_DEP_2) | instskip(NEXT) | instid1(VALU_DEP_2)
	v_sub_nc_i16 v31, v32, v31 clamp
	v_sub_nc_i16 v23, v23, v26 clamp
	v_and_b32_e32 v26, 0xffffff00, v27
	v_lshlrev_b16 v27, 8, v27
	s_delay_alu instid0(VALU_DEP_3) | instskip(NEXT) | instid1(VALU_DEP_3)
	v_perm_b32 v23, v23, v31, 0xc0c0105
	v_sub_nc_i16 v26, v26, v33 clamp
	s_delay_alu instid0(VALU_DEP_3) | instskip(SKIP_1) | instid1(VALU_DEP_2)
	v_sub_nc_i16 v25, v27, v25 clamp
	v_lshrrev_b32_e32 v27, 25, v24
	v_perm_b32 v25, v25, v26, 0xc0c0105
	s_delay_alu instid0(VALU_DEP_2) | instskip(NEXT) | instid1(VALU_DEP_2)
	v_bcnt_u32_b32 v27, v27, 0
	v_lshl_or_b32 v23, v25, 16, v23
	v_lshrrev_b32_e32 v25, 13, v24
	s_delay_alu instid0(VALU_DEP_3) | instskip(NEXT) | instid1(VALU_DEP_2)
	v_and_b32_e32 v27, 1, v27
	v_and_b32_e32 v25, 0xff8, v25
	s_delay_alu instid0(VALU_DEP_2) | instskip(SKIP_2) | instid1(VALU_DEP_1)
	v_alignbit_b32 v24, v27, v24, 25
	global_load_b64 v[25:26], v25, s[4:5]
	v_mul_lo_u32 v27, 0x1010101, v24
	v_and_b32_e32 v24, 0x8040201, v27
	s_delay_alu instid0(VALU_DEP_1) | instskip(SKIP_1) | instid1(VALU_DEP_2)
	v_lshrrev_b16 v31, 8, v24
	v_lshrrev_b32_e32 v24, 24, v24
	v_cmp_ne_u16_e64 s2, 0, v31
	s_delay_alu instid0(VALU_DEP_2)
	v_cmp_ne_u16_e32 vcc_lo, 0, v24
	v_lshrrev_b32_e32 v24, 18, v27
	v_bfe_i32 v31, v27, 0, 1
	s_wait_alu 0xf1ff
	v_cndmask_b32_e64 v33, 0, -1, s2
	s_wait_alu 0xfffd
	v_cndmask_b32_e64 v35, 0, -1, vcc_lo
	v_bfe_i32 v24, v24, 0, 1
	v_and_b32_e32 v32, 0xff, v31
	v_lshlrev_b16 v31, 8, v31
	v_lshlrev_b16 v33, 8, v33
	;; [unrolled: 1-line block ×3, first 2 shown]
	v_and_b32_e32 v34, 0xff, v24
	v_lshlrev_b16 v24, 8, v24
	s_delay_alu instid0(VALU_DEP_4) | instskip(NEXT) | instid1(VALU_DEP_3)
	v_or_b32_e32 v32, v32, v33
	v_or_b32_e32 v34, v34, v35
	s_delay_alu instid0(VALU_DEP_2) | instskip(NEXT) | instid1(VALU_DEP_2)
	v_and_b32_e32 v32, 0xffff, v32
	v_lshlrev_b32_e32 v34, 16, v34
	s_delay_alu instid0(VALU_DEP_1) | instskip(SKIP_1) | instid1(VALU_DEP_1)
	v_or_b32_e32 v32, v32, v34
	s_wait_loadcnt 0x0
	v_xor_b32_e32 v25, v25, v32
	s_delay_alu instid0(VALU_DEP_1) | instskip(SKIP_2) | instid1(VALU_DEP_2)
	v_lshrrev_b32_e32 v32, 16, v25
	v_and_b32_e32 v34, 0xffffff00, v25
	v_lshlrev_b16 v25, 8, v25
	v_sub_nc_i16 v33, v34, v33 clamp
	s_delay_alu instid0(VALU_DEP_2) | instskip(SKIP_2) | instid1(VALU_DEP_3)
	v_sub_nc_i16 v25, v25, v31 clamp
	v_and_b32_e32 v31, 0xffffff00, v32
	v_lshlrev_b16 v32, 8, v32
	v_perm_b32 v25, v25, v33, 0xc0c0105
	s_delay_alu instid0(VALU_DEP_3) | instskip(NEXT) | instid1(VALU_DEP_3)
	v_sub_nc_i16 v31, v31, v35 clamp
	v_sub_nc_i16 v24, v32, v24 clamp
	s_delay_alu instid0(VALU_DEP_1) | instskip(NEXT) | instid1(VALU_DEP_1)
	v_perm_b32 v24, v24, v31, 0xc0c0105
	v_lshl_or_b32 v24, v24, 16, v25
	v_and_b32_e32 v25, 0x80402010, v27
	v_lshrrev_b32_e32 v27, 22, v27
	s_delay_alu instid0(VALU_DEP_2) | instskip(SKIP_2) | instid1(VALU_DEP_4)
	v_lshrrev_b16 v31, 8, v25
	v_lshrrev_b32_e32 v32, 24, v25
	v_lshrrev_b16 v25, 4, v25
	v_bfe_i32 v27, v27, 0, 1
	s_delay_alu instid0(VALU_DEP_4) | instskip(NEXT) | instid1(VALU_DEP_4)
	v_cmp_ne_u16_e64 s2, 0, v31
	v_cmp_ne_u16_e32 vcc_lo, 0, v32
	s_delay_alu instid0(VALU_DEP_4) | instskip(NEXT) | instid1(VALU_DEP_4)
	v_bfe_i32 v25, v25, 0, 1
	v_and_b32_e32 v33, 0xff, v27
	v_lshlrev_b16 v27, 8, v27
	s_wait_alu 0xf1ff
	v_cndmask_b32_e64 v32, 0, -1, s2
	s_wait_alu 0xfffd
	v_cndmask_b32_e64 v34, 0, -1, vcc_lo
	v_and_b32_e32 v31, 0xff, v25
	v_lshlrev_b16 v25, 8, v25
	v_lshlrev_b16 v32, 8, v32
	s_delay_alu instid0(VALU_DEP_4) | instskip(NEXT) | instid1(VALU_DEP_2)
	v_lshlrev_b16 v34, 8, v34
	v_or_b32_e32 v31, v31, v32
	s_delay_alu instid0(VALU_DEP_2) | instskip(NEXT) | instid1(VALU_DEP_2)
	v_or_b32_e32 v33, v33, v34
	v_and_b32_e32 v31, 0xffff, v31
	s_delay_alu instid0(VALU_DEP_2) | instskip(NEXT) | instid1(VALU_DEP_1)
	v_lshlrev_b32_e32 v33, 16, v33
	v_or_b32_e32 v31, v31, v33
	s_delay_alu instid0(VALU_DEP_1) | instskip(NEXT) | instid1(VALU_DEP_1)
	v_xor_b32_e32 v26, v26, v31
	v_lshrrev_b32_e32 v31, 16, v26
	v_and_b32_e32 v33, 0xffffff00, v26
	v_lshlrev_b16 v26, 8, v26
	s_delay_alu instid0(VALU_DEP_2) | instskip(NEXT) | instid1(VALU_DEP_2)
	v_sub_nc_i16 v32, v33, v32 clamp
	v_sub_nc_i16 v25, v26, v25 clamp
	v_and_b32_e32 v26, 0xffffff00, v31
	v_lshlrev_b16 v31, 8, v31
	s_delay_alu instid0(VALU_DEP_3) | instskip(NEXT) | instid1(VALU_DEP_3)
	v_perm_b32 v25, v25, v32, 0xc0c0105
	v_sub_nc_i16 v26, v26, v34 clamp
	s_delay_alu instid0(VALU_DEP_3) | instskip(NEXT) | instid1(VALU_DEP_1)
	v_sub_nc_i16 v27, v31, v27 clamp
	v_perm_b32 v26, v27, v26, 0xc0c0105
	s_delay_alu instid0(VALU_DEP_1)
	v_lshl_or_b32 v27, v26, 16, v25
	global_load_u16 v25, v[29:30], off
	s_clause 0x2
	global_load_b128 v[29:32], v[3:4], off offset:-16
	global_load_b32 v37, v[3:4], off offset:16
	global_load_b128 v[33:36], v[3:4], off
	v_lshrrev_b32_e32 v26, 4, v28
	v_and_b32_e32 v28, 15, v28
	v_add_co_u32 v3, vcc_lo, 0x480, v3
	s_wait_alu 0xfffd
	v_add_co_ci_u32_e64 v4, null, 0, v4, vcc_lo
	v_cmp_le_u32_e32 vcc_lo, s22, v11
	s_or_b32 s3, vcc_lo, s3
	s_wait_loadcnt 0x2
	v_dot4_i32_iu8 v30, v18, v30, 0 neg_lo:[1,1,0]
	v_cvt_f32_f16_e32 v25, v25
	v_cvt_f32_f16_e32 v29, v29
	s_delay_alu instid0(VALU_DEP_3) | instskip(SKIP_2) | instid1(VALU_DEP_3)
	v_dot4_i32_iu8 v30, v19, v31, v30 neg_lo:[1,1,0]
	s_wait_loadcnt 0x0
	v_dot4_i32_iu8 v31, v22, v34, 0 neg_lo:[1,1,0]
	v_mul_f32_e32 v29, v25, v29
	s_delay_alu instid0(VALU_DEP_3) | instskip(NEXT) | instid1(VALU_DEP_3)
	v_dot4_i32_iu8 v30, v20, v32, v30 neg_lo:[1,1,0]
	v_dot4_i32_iu8 v31, v23, v35, v31 neg_lo:[1,1,0]
	s_delay_alu instid0(VALU_DEP_2) | instskip(NEXT) | instid1(VALU_DEP_2)
	v_dot4_i32_iu8 v30, v21, v33, v30 neg_lo:[1,1,0]
	v_dot4_i32_iu8 v31, v24, v36, v31 neg_lo:[1,1,0]
	s_delay_alu instid0(VALU_DEP_2) | instskip(NEXT) | instid1(VALU_DEP_2)
	v_mul_lo_u32 v32, v30, v28
	v_dot4_i32_iu8 v31, v27, v37, v31 neg_lo:[1,1,0]
	s_delay_alu instid0(VALU_DEP_1) | instskip(SKIP_1) | instid1(VALU_DEP_2)
	v_add_nc_u32_e32 v30, v31, v30
	v_mul_lo_u32 v33, v31, v26
	v_lshrrev_b32_e32 v31, 31, v30
	s_delay_alu instid0(VALU_DEP_1) | instskip(NEXT) | instid1(VALU_DEP_1)
	v_add_nc_u32_e32 v30, v30, v31
	v_ashrrev_i32_e32 v30, 1, v30
	s_delay_alu instid0(VALU_DEP_1) | instskip(SKIP_2) | instid1(VALU_DEP_3)
	v_add3_u32 v30, v33, v32, v30
	v_mad_co_u64_u32 v[33:34], null, v14, 36, v[0:1]
	v_add_nc_u32_e32 v14, 32, v14
	v_ashrrev_i32_e32 v31, 31, v30
	s_delay_alu instid0(VALU_DEP_1) | instskip(NEXT) | instid1(VALU_DEP_1)
	v_lshrrev_b32_e32 v31, 30, v31
	v_add_nc_u32_e32 v30, v30, v31
	s_delay_alu instid0(VALU_DEP_1) | instskip(NEXT) | instid1(VALU_DEP_1)
	v_ashrrev_i32_e32 v30, 2, v30
	v_cvt_f32_i32_e32 v30, v30
	s_delay_alu instid0(VALU_DEP_1)
	v_fmac_f32_e32 v12, v29, v30
	s_clause 0x2
	global_load_b128 v[29:32], v[33:34], off
	global_load_b32 v37, v[33:34], off offset:32
	global_load_b128 v[33:36], v[33:34], off offset:16
	s_wait_loadcnt 0x2
	v_dot4_i32_iu8 v30, v18, v30, 0 neg_lo:[1,1,0]
	v_cvt_f32_f16_e32 v29, v29
	s_delay_alu instid0(VALU_DEP_2) | instskip(SKIP_2) | instid1(VALU_DEP_3)
	v_dot4_i32_iu8 v30, v19, v31, v30 neg_lo:[1,1,0]
	s_wait_loadcnt 0x0
	v_dot4_i32_iu8 v31, v22, v34, 0 neg_lo:[1,1,0]
	v_mul_f32_e32 v29, v25, v29
	s_delay_alu instid0(VALU_DEP_3) | instskip(NEXT) | instid1(VALU_DEP_3)
	v_dot4_i32_iu8 v30, v20, v32, v30 neg_lo:[1,1,0]
	v_dot4_i32_iu8 v31, v23, v35, v31 neg_lo:[1,1,0]
	s_delay_alu instid0(VALU_DEP_2) | instskip(NEXT) | instid1(VALU_DEP_2)
	v_dot4_i32_iu8 v30, v21, v33, v30 neg_lo:[1,1,0]
	v_dot4_i32_iu8 v31, v24, v36, v31 neg_lo:[1,1,0]
	s_delay_alu instid0(VALU_DEP_2) | instskip(NEXT) | instid1(VALU_DEP_2)
	v_mul_lo_u32 v32, v30, v28
	v_dot4_i32_iu8 v31, v27, v37, v31 neg_lo:[1,1,0]
	s_delay_alu instid0(VALU_DEP_1) | instskip(SKIP_1) | instid1(VALU_DEP_2)
	v_add_nc_u32_e32 v30, v31, v30
	v_mul_lo_u32 v33, v31, v26
	v_lshrrev_b32_e32 v31, 31, v30
	s_delay_alu instid0(VALU_DEP_1) | instskip(NEXT) | instid1(VALU_DEP_1)
	v_add_nc_u32_e32 v30, v30, v31
	v_ashrrev_i32_e32 v30, 1, v30
	s_delay_alu instid0(VALU_DEP_1) | instskip(SKIP_2) | instid1(VALU_DEP_3)
	v_add3_u32 v30, v33, v32, v30
	v_mad_co_u64_u32 v[33:34], null, v16, 36, v[0:1]
	v_add_nc_u32_e32 v16, 32, v16
	v_ashrrev_i32_e32 v31, 31, v30
	s_delay_alu instid0(VALU_DEP_1) | instskip(NEXT) | instid1(VALU_DEP_1)
	v_lshrrev_b32_e32 v31, 30, v31
	v_add_nc_u32_e32 v30, v30, v31
	s_delay_alu instid0(VALU_DEP_1) | instskip(NEXT) | instid1(VALU_DEP_1)
	v_ashrrev_i32_e32 v30, 2, v30
	v_cvt_f32_i32_e32 v30, v30
	s_delay_alu instid0(VALU_DEP_1)
	v_fmac_f32_e32 v10, v29, v30
	s_clause 0x2
	global_load_b128 v[29:32], v[33:34], off
	global_load_b32 v37, v[33:34], off offset:32
	global_load_b128 v[33:36], v[33:34], off offset:16
	s_wait_loadcnt 0x2
	v_dot4_i32_iu8 v30, v18, v30, 0 neg_lo:[1,1,0]
	v_cvt_f32_f16_e32 v29, v29
	s_delay_alu instid0(VALU_DEP_2) | instskip(SKIP_2) | instid1(VALU_DEP_3)
	;; [unrolled: 41-line block ×3, first 2 shown]
	v_dot4_i32_iu8 v30, v19, v31, v30 neg_lo:[1,1,0]
	s_wait_loadcnt 0x0
	v_dot4_i32_iu8 v31, v22, v34, 0 neg_lo:[1,1,0]
	v_mul_f32_e32 v29, v25, v29
	s_delay_alu instid0(VALU_DEP_3) | instskip(NEXT) | instid1(VALU_DEP_3)
	v_dot4_i32_iu8 v30, v20, v32, v30 neg_lo:[1,1,0]
	v_dot4_i32_iu8 v31, v23, v35, v31 neg_lo:[1,1,0]
	s_delay_alu instid0(VALU_DEP_2) | instskip(NEXT) | instid1(VALU_DEP_2)
	v_dot4_i32_iu8 v30, v21, v33, v30 neg_lo:[1,1,0]
	v_dot4_i32_iu8 v31, v24, v36, v31 neg_lo:[1,1,0]
	s_delay_alu instid0(VALU_DEP_2) | instskip(NEXT) | instid1(VALU_DEP_2)
	v_mul_lo_u32 v32, v30, v28
	v_dot4_i32_iu8 v31, v27, v37, v31 neg_lo:[1,1,0]
	s_delay_alu instid0(VALU_DEP_1) | instskip(SKIP_1) | instid1(VALU_DEP_2)
	v_add_nc_u32_e32 v30, v31, v30
	v_mul_lo_u32 v33, v31, v26
	v_lshrrev_b32_e32 v31, 31, v30
	s_delay_alu instid0(VALU_DEP_1) | instskip(NEXT) | instid1(VALU_DEP_1)
	v_add_nc_u32_e32 v30, v30, v31
	v_ashrrev_i32_e32 v30, 1, v30
	s_delay_alu instid0(VALU_DEP_1) | instskip(SKIP_2) | instid1(VALU_DEP_3)
	v_add3_u32 v30, v33, v32, v30
	v_mad_co_u64_u32 v[33:34], null, v15, 36, v[0:1]
	v_add_nc_u32_e32 v15, 32, v15
	v_ashrrev_i32_e32 v31, 31, v30
	s_delay_alu instid0(VALU_DEP_1) | instskip(NEXT) | instid1(VALU_DEP_1)
	v_lshrrev_b32_e32 v31, 30, v31
	v_add_nc_u32_e32 v30, v30, v31
	s_delay_alu instid0(VALU_DEP_1) | instskip(NEXT) | instid1(VALU_DEP_1)
	v_ashrrev_i32_e32 v30, 2, v30
	v_cvt_f32_i32_e32 v30, v30
	s_delay_alu instid0(VALU_DEP_1)
	v_fmac_f32_e32 v7, v29, v30
	s_clause 0x2
	global_load_b128 v[29:32], v[33:34], off
	global_load_b32 v37, v[33:34], off offset:32
	global_load_b128 v[33:36], v[33:34], off offset:16
	s_wait_loadcnt 0x2
	v_dot4_i32_iu8 v18, v18, v30, 0 neg_lo:[1,1,0]
	s_delay_alu instid0(VALU_DEP_1) | instskip(SKIP_2) | instid1(VALU_DEP_2)
	v_dot4_i32_iu8 v18, v19, v31, v18 neg_lo:[1,1,0]
	s_wait_loadcnt 0x0
	v_dot4_i32_iu8 v19, v22, v34, 0 neg_lo:[1,1,0]
	v_dot4_i32_iu8 v18, v20, v32, v18 neg_lo:[1,1,0]
	s_delay_alu instid0(VALU_DEP_2) | instskip(NEXT) | instid1(VALU_DEP_2)
	v_dot4_i32_iu8 v19, v23, v35, v19 neg_lo:[1,1,0]
	v_dot4_i32_iu8 v18, v21, v33, v18 neg_lo:[1,1,0]
	s_delay_alu instid0(VALU_DEP_2) | instskip(NEXT) | instid1(VALU_DEP_2)
	v_dot4_i32_iu8 v19, v24, v36, v19 neg_lo:[1,1,0]
	v_mul_lo_u32 v20, v18, v28
	s_delay_alu instid0(VALU_DEP_2) | instskip(NEXT) | instid1(VALU_DEP_1)
	v_dot4_i32_iu8 v19, v27, v37, v19 neg_lo:[1,1,0]
	v_add_nc_u32_e32 v18, v19, v18
	v_mul_lo_u32 v21, v19, v26
	s_delay_alu instid0(VALU_DEP_2) | instskip(NEXT) | instid1(VALU_DEP_1)
	v_lshrrev_b32_e32 v19, 31, v18
	v_add_nc_u32_e32 v18, v18, v19
	s_delay_alu instid0(VALU_DEP_1) | instskip(NEXT) | instid1(VALU_DEP_1)
	v_ashrrev_i32_e32 v18, 1, v18
	v_add3_u32 v18, v21, v20, v18
	s_delay_alu instid0(VALU_DEP_1) | instskip(NEXT) | instid1(VALU_DEP_1)
	v_ashrrev_i32_e32 v19, 31, v18
	v_lshrrev_b32_e32 v19, 30, v19
	s_delay_alu instid0(VALU_DEP_1) | instskip(SKIP_1) | instid1(VALU_DEP_2)
	v_add_nc_u32_e32 v18, v18, v19
	v_cvt_f32_f16_e32 v19, v29
	v_ashrrev_i32_e32 v18, 2, v18
	s_delay_alu instid0(VALU_DEP_2) | instskip(NEXT) | instid1(VALU_DEP_2)
	v_mul_f32_e32 v19, v25, v19
	v_cvt_f32_i32_e32 v18, v18
	s_delay_alu instid0(VALU_DEP_1)
	v_fmac_f32_e32 v5, v19, v18
	s_wait_alu 0xfffe
	s_and_not1_b32 exec_lo, exec_lo, s3
	s_cbranch_execnz .LBB176_2
; %bb.3:
	s_or_b32 exec_lo, exec_lo, s3
.LBB176_4:
	s_delay_alu instid0(SALU_CYCLE_1)
	s_or_b32 exec_lo, exec_lo, s21
	s_mov_b32 s3, 0
	; wave barrier
	global_inv scope:SCOPE_SE
	s_mov_b32 s2, exec_lo
	v_cmpx_eq_u32_e32 0, v9
	s_cbranch_execz .LBB176_15
; %bb.5:
	v_mbcnt_lo_u32_b32 v4, -1, 0
	s_load_b64 s[0:1], s[0:1], 0x38
	s_mul_i32 s2, s10, s19
	s_mul_i32 s4, s18, s20
	s_wait_alu 0xfffe
	s_add_co_i32 s2, s2, ttmp9
	v_xor_b32_e32 v0, 16, v4
	v_xor_b32_e32 v1, 8, v4
	s_wait_alu 0xfffe
	s_add_co_i32 s2, s2, s4
	s_wait_alu 0xfffe
	s_lshl_b64 s[2:3], s[2:3], 2
	v_cmp_gt_i32_e32 vcc_lo, 32, v0
	s_wait_alu 0xfffd
	v_cndmask_b32_e32 v0, v4, v0, vcc_lo
	v_cmp_gt_i32_e32 vcc_lo, 32, v1
	s_wait_alu 0xfffd
	v_cndmask_b32_e32 v1, v4, v1, vcc_lo
	s_wait_kmcnt 0x0
	s_wait_alu 0xfffe
	s_add_nc_u64 s[0:1], s[0:1], s[2:3]
	s_delay_alu instid0(VALU_DEP_1)
	v_lshlrev_b32_e32 v1, 2, v1
	v_lshlrev_b32_e32 v0, 2, v0
	ds_bpermute_b32 v2, v0, v12
	s_wait_dscnt 0x0
	v_add_f32_e32 v3, v12, v2
	v_xor_b32_e32 v2, 4, v4
	v_xor_b32_e32 v12, 1, v4
	ds_bpermute_b32 v9, v1, v3
	v_cmp_gt_i32_e32 vcc_lo, 32, v2
	s_wait_dscnt 0x0
	s_wait_alu 0xfffd
	v_dual_cndmask_b32 v2, v4, v2 :: v_dual_add_f32 v9, v3, v9
	s_delay_alu instid0(VALU_DEP_1)
	v_lshlrev_b32_e32 v2, 2, v2
	v_xor_b32_e32 v3, 2, v4
	ds_bpermute_b32 v11, v2, v9
	v_cmp_gt_i32_e32 vcc_lo, 32, v3
	s_wait_alu 0xfffd
	v_cndmask_b32_e32 v3, v4, v3, vcc_lo
	v_cmp_gt_i32_e32 vcc_lo, 32, v12
	s_wait_alu 0xfffd
	v_cndmask_b32_e32 v4, v4, v12, vcc_lo
	v_cmp_eq_u32_e32 vcc_lo, 0, v6
	s_delay_alu instid0(VALU_DEP_2)
	v_lshlrev_b32_e32 v4, 2, v4
	v_lshlrev_b32_e32 v3, 2, v3
	s_wait_dscnt 0x0
	v_add_f32_e32 v9, v9, v11
	ds_bpermute_b32 v11, v3, v9
	s_wait_dscnt 0x0
	v_add_f32_e32 v9, v9, v11
	ds_bpermute_b32 v11, v4, v9
	s_and_saveexec_b32 s2, vcc_lo
	s_cbranch_execz .LBB176_7
; %bb.6:
	s_wait_dscnt 0x0
	v_dual_add_f32 v6, v9, v11 :: v_dual_mov_b32 v9, 0
	global_store_b32 v9, v6, s[0:1]
.LBB176_7:
	s_wait_alu 0xfffe
	s_or_b32 exec_lo, exec_lo, s2
	ds_bpermute_b32 v6, v0, v10
	s_wait_dscnt 0x0
	v_add_f32_e32 v6, v10, v6
	ds_bpermute_b32 v9, v1, v6
	s_wait_dscnt 0x0
	v_add_f32_e32 v6, v6, v9
	;; [unrolled: 3-line block ×4, first 2 shown]
	ds_bpermute_b32 v9, v4, v6
	s_and_saveexec_b32 s2, vcc_lo
	s_cbranch_execz .LBB176_9
; %bb.8:
	s_mov_b32 s7, 0
	s_wait_dscnt 0x0
	v_dual_add_f32 v6, v6, v9 :: v_dual_mov_b32 v9, 0
	s_wait_alu 0xfffe
	s_lshl_b64 s[4:5], s[6:7], 2
	s_wait_alu 0xfffe
	s_add_nc_u64 s[4:5], s[0:1], s[4:5]
	global_store_b32 v9, v6, s[4:5]
.LBB176_9:
	s_wait_alu 0xfffe
	s_or_b32 exec_lo, exec_lo, s2
	ds_bpermute_b32 v6, v0, v8
	s_wait_dscnt 0x0
	v_add_f32_e32 v6, v8, v6
	ds_bpermute_b32 v8, v1, v6
	s_wait_dscnt 0x0
	v_add_f32_e32 v6, v6, v8
	;; [unrolled: 3-line block ×4, first 2 shown]
	ds_bpermute_b32 v8, v4, v6
	s_and_saveexec_b32 s2, vcc_lo
	s_cbranch_execz .LBB176_11
; %bb.10:
	s_lshl_b32 s4, s6, 1
	s_mov_b32 s5, 0
	s_wait_dscnt 0x0
	v_add_f32_e32 v6, v6, v8
	v_mov_b32_e32 v8, 0
	s_wait_alu 0xfffe
	s_lshl_b64 s[4:5], s[4:5], 2
	s_wait_alu 0xfffe
	s_add_nc_u64 s[4:5], s[0:1], s[4:5]
	global_store_b32 v8, v6, s[4:5]
.LBB176_11:
	s_wait_alu 0xfffe
	s_or_b32 exec_lo, exec_lo, s2
	ds_bpermute_b32 v6, v0, v7
	s_wait_dscnt 0x0
	v_add_f32_e32 v6, v7, v6
	ds_bpermute_b32 v7, v1, v6
	s_wait_dscnt 0x0
	v_add_f32_e32 v6, v6, v7
	;; [unrolled: 3-line block ×4, first 2 shown]
	ds_bpermute_b32 v7, v4, v6
	s_and_saveexec_b32 s2, vcc_lo
	s_cbranch_execz .LBB176_13
; %bb.12:
	s_mul_i32 s4, s6, 3
	s_mov_b32 s5, 0
	s_wait_dscnt 0x0
	v_dual_add_f32 v6, v6, v7 :: v_dual_mov_b32 v7, 0
	s_wait_alu 0xfffe
	s_lshl_b64 s[4:5], s[4:5], 2
	s_wait_alu 0xfffe
	s_add_nc_u64 s[4:5], s[0:1], s[4:5]
	global_store_b32 v7, v6, s[4:5]
.LBB176_13:
	s_wait_alu 0xfffe
	s_or_b32 exec_lo, exec_lo, s2
	ds_bpermute_b32 v0, v0, v5
	s_wait_dscnt 0x0
	v_add_f32_e32 v0, v5, v0
	ds_bpermute_b32 v1, v1, v0
	s_wait_dscnt 0x0
	v_add_f32_e32 v0, v0, v1
	;; [unrolled: 3-line block ×4, first 2 shown]
	ds_bpermute_b32 v1, v4, v0
	s_and_b32 exec_lo, exec_lo, vcc_lo
	s_cbranch_execz .LBB176_15
; %bb.14:
	s_lshl_b32 s2, s6, 2
	s_mov_b32 s3, 0
	s_wait_dscnt 0x0
	v_dual_add_f32 v0, v0, v1 :: v_dual_mov_b32 v1, 0
	s_wait_alu 0xfffe
	s_lshl_b64 s[2:3], s[2:3], 2
	s_wait_alu 0xfffe
	s_add_nc_u64 s[0:1], s[0:1], s[2:3]
	global_store_b32 v1, v0, s[0:1]
.LBB176_15:
	s_endpgm
	.section	.rodata,"a",@progbits
	.p2align	6, 0x0
	.amdhsa_kernel _ZL13mul_mat_vec_qIL9ggml_type17ELi5ELb0ELb0EEvPKvS2_PKi31ggml_cuda_mm_fusion_args_devicePfj15HIP_vector_typeIjLj3EEjjjS8_jjjS8_jjjj
		.amdhsa_group_segment_fixed_size 0
		.amdhsa_private_segment_fixed_size 0
		.amdhsa_kernarg_size 144
		.amdhsa_user_sgpr_count 2
		.amdhsa_user_sgpr_dispatch_ptr 0
		.amdhsa_user_sgpr_queue_ptr 0
		.amdhsa_user_sgpr_kernarg_segment_ptr 1
		.amdhsa_user_sgpr_dispatch_id 0
		.amdhsa_user_sgpr_private_segment_size 0
		.amdhsa_wavefront_size32 1
		.amdhsa_uses_dynamic_stack 0
		.amdhsa_enable_private_segment 0
		.amdhsa_system_sgpr_workgroup_id_x 1
		.amdhsa_system_sgpr_workgroup_id_y 1
		.amdhsa_system_sgpr_workgroup_id_z 1
		.amdhsa_system_sgpr_workgroup_info 0
		.amdhsa_system_vgpr_workitem_id 1
		.amdhsa_next_free_vgpr 38
		.amdhsa_next_free_sgpr 30
		.amdhsa_reserve_vcc 1
		.amdhsa_float_round_mode_32 0
		.amdhsa_float_round_mode_16_64 0
		.amdhsa_float_denorm_mode_32 3
		.amdhsa_float_denorm_mode_16_64 3
		.amdhsa_fp16_overflow 0
		.amdhsa_workgroup_processor_mode 1
		.amdhsa_memory_ordered 1
		.amdhsa_forward_progress 1
		.amdhsa_inst_pref_size 42
		.amdhsa_round_robin_scheduling 0
		.amdhsa_exception_fp_ieee_invalid_op 0
		.amdhsa_exception_fp_denorm_src 0
		.amdhsa_exception_fp_ieee_div_zero 0
		.amdhsa_exception_fp_ieee_overflow 0
		.amdhsa_exception_fp_ieee_underflow 0
		.amdhsa_exception_fp_ieee_inexact 0
		.amdhsa_exception_int_div_zero 0
	.end_amdhsa_kernel
	.section	.text._ZL13mul_mat_vec_qIL9ggml_type17ELi5ELb0ELb0EEvPKvS2_PKi31ggml_cuda_mm_fusion_args_devicePfj15HIP_vector_typeIjLj3EEjjjS8_jjjS8_jjjj,"axG",@progbits,_ZL13mul_mat_vec_qIL9ggml_type17ELi5ELb0ELb0EEvPKvS2_PKi31ggml_cuda_mm_fusion_args_devicePfj15HIP_vector_typeIjLj3EEjjjS8_jjjS8_jjjj,comdat
.Lfunc_end176:
	.size	_ZL13mul_mat_vec_qIL9ggml_type17ELi5ELb0ELb0EEvPKvS2_PKi31ggml_cuda_mm_fusion_args_devicePfj15HIP_vector_typeIjLj3EEjjjS8_jjjS8_jjjj, .Lfunc_end176-_ZL13mul_mat_vec_qIL9ggml_type17ELi5ELb0ELb0EEvPKvS2_PKi31ggml_cuda_mm_fusion_args_devicePfj15HIP_vector_typeIjLj3EEjjjS8_jjjS8_jjjj
                                        ; -- End function
	.set _ZL13mul_mat_vec_qIL9ggml_type17ELi5ELb0ELb0EEvPKvS2_PKi31ggml_cuda_mm_fusion_args_devicePfj15HIP_vector_typeIjLj3EEjjjS8_jjjS8_jjjj.num_vgpr, 38
	.set _ZL13mul_mat_vec_qIL9ggml_type17ELi5ELb0ELb0EEvPKvS2_PKi31ggml_cuda_mm_fusion_args_devicePfj15HIP_vector_typeIjLj3EEjjjS8_jjjS8_jjjj.num_agpr, 0
	.set _ZL13mul_mat_vec_qIL9ggml_type17ELi5ELb0ELb0EEvPKvS2_PKi31ggml_cuda_mm_fusion_args_devicePfj15HIP_vector_typeIjLj3EEjjjS8_jjjS8_jjjj.numbered_sgpr, 30
	.set _ZL13mul_mat_vec_qIL9ggml_type17ELi5ELb0ELb0EEvPKvS2_PKi31ggml_cuda_mm_fusion_args_devicePfj15HIP_vector_typeIjLj3EEjjjS8_jjjS8_jjjj.num_named_barrier, 0
	.set _ZL13mul_mat_vec_qIL9ggml_type17ELi5ELb0ELb0EEvPKvS2_PKi31ggml_cuda_mm_fusion_args_devicePfj15HIP_vector_typeIjLj3EEjjjS8_jjjS8_jjjj.private_seg_size, 0
	.set _ZL13mul_mat_vec_qIL9ggml_type17ELi5ELb0ELb0EEvPKvS2_PKi31ggml_cuda_mm_fusion_args_devicePfj15HIP_vector_typeIjLj3EEjjjS8_jjjS8_jjjj.uses_vcc, 1
	.set _ZL13mul_mat_vec_qIL9ggml_type17ELi5ELb0ELb0EEvPKvS2_PKi31ggml_cuda_mm_fusion_args_devicePfj15HIP_vector_typeIjLj3EEjjjS8_jjjS8_jjjj.uses_flat_scratch, 0
	.set _ZL13mul_mat_vec_qIL9ggml_type17ELi5ELb0ELb0EEvPKvS2_PKi31ggml_cuda_mm_fusion_args_devicePfj15HIP_vector_typeIjLj3EEjjjS8_jjjS8_jjjj.has_dyn_sized_stack, 0
	.set _ZL13mul_mat_vec_qIL9ggml_type17ELi5ELb0ELb0EEvPKvS2_PKi31ggml_cuda_mm_fusion_args_devicePfj15HIP_vector_typeIjLj3EEjjjS8_jjjS8_jjjj.has_recursion, 0
	.set _ZL13mul_mat_vec_qIL9ggml_type17ELi5ELb0ELb0EEvPKvS2_PKi31ggml_cuda_mm_fusion_args_devicePfj15HIP_vector_typeIjLj3EEjjjS8_jjjS8_jjjj.has_indirect_call, 0
	.section	.AMDGPU.csdata,"",@progbits
; Kernel info:
; codeLenInByte = 5292
; TotalNumSgprs: 32
; NumVgprs: 38
; ScratchSize: 0
; MemoryBound: 0
; FloatMode: 240
; IeeeMode: 1
; LDSByteSize: 0 bytes/workgroup (compile time only)
; SGPRBlocks: 0
; VGPRBlocks: 4
; NumSGPRsForWavesPerEU: 32
; NumVGPRsForWavesPerEU: 38
; Occupancy: 16
; WaveLimiterHint : 0
; COMPUTE_PGM_RSRC2:SCRATCH_EN: 0
; COMPUTE_PGM_RSRC2:USER_SGPR: 2
; COMPUTE_PGM_RSRC2:TRAP_HANDLER: 0
; COMPUTE_PGM_RSRC2:TGID_X_EN: 1
; COMPUTE_PGM_RSRC2:TGID_Y_EN: 1
; COMPUTE_PGM_RSRC2:TGID_Z_EN: 1
; COMPUTE_PGM_RSRC2:TIDIG_COMP_CNT: 1
	.section	.text._ZL13mul_mat_vec_qIL9ggml_type17ELi6ELb0ELb0EEvPKvS2_PKi31ggml_cuda_mm_fusion_args_devicePfj15HIP_vector_typeIjLj3EEjjjS8_jjjS8_jjjj,"axG",@progbits,_ZL13mul_mat_vec_qIL9ggml_type17ELi6ELb0ELb0EEvPKvS2_PKi31ggml_cuda_mm_fusion_args_devicePfj15HIP_vector_typeIjLj3EEjjjS8_jjjS8_jjjj,comdat
	.globl	_ZL13mul_mat_vec_qIL9ggml_type17ELi6ELb0ELb0EEvPKvS2_PKi31ggml_cuda_mm_fusion_args_devicePfj15HIP_vector_typeIjLj3EEjjjS8_jjjS8_jjjj ; -- Begin function _ZL13mul_mat_vec_qIL9ggml_type17ELi6ELb0ELb0EEvPKvS2_PKi31ggml_cuda_mm_fusion_args_devicePfj15HIP_vector_typeIjLj3EEjjjS8_jjjS8_jjjj
	.p2align	8
	.type	_ZL13mul_mat_vec_qIL9ggml_type17ELi6ELb0ELb0EEvPKvS2_PKi31ggml_cuda_mm_fusion_args_devicePfj15HIP_vector_typeIjLj3EEjjjS8_jjjS8_jjjj,@function
_ZL13mul_mat_vec_qIL9ggml_type17ELi6ELb0ELb0EEvPKvS2_PKi31ggml_cuda_mm_fusion_args_devicePfj15HIP_vector_typeIjLj3EEjjjS8_jjjS8_jjjj: ; @_ZL13mul_mat_vec_qIL9ggml_type17ELi6ELb0ELb0EEvPKvS2_PKi31ggml_cuda_mm_fusion_args_devicePfj15HIP_vector_typeIjLj3EEjjjS8_jjjS8_jjjj
; %bb.0:
	s_clause 0x5
	s_load_b96 s[16:18], s[0:1], 0x80
	s_load_b32 s3, s[0:1], 0x40
	s_load_b128 s[4:7], s[0:1], 0x50
	s_load_b32 s2, s[0:1], 0x60
	s_load_b128 s[8:11], s[0:1], 0x68
	s_load_b32 s23, s[0:1], 0x78
	v_bfe_u32 v11, v0, 10, 10
	v_dual_mov_b32 v6, 0 :: v_dual_and_b32 v7, 0x3ff, v0
	v_dual_mov_b32 v8, 0 :: v_dual_mov_b32 v9, 0
	v_mov_b32_e32 v10, 0
	s_delay_alu instid0(VALU_DEP_3)
	v_lshl_or_b32 v0, v11, 5, v7
	v_mov_b32_e32 v12, 0
	v_mov_b32_e32 v14, 0
	s_and_b32 s19, ttmp7, 0xffff
	s_lshr_b32 s20, ttmp7, 16
	v_lshrrev_b32_e32 v13, 3, v0
	s_mov_b32 s21, exec_lo
	s_wait_kmcnt 0x0
	s_lshr_b32 s22, s3, 8
	s_delay_alu instid0(VALU_DEP_1) | instid1(SALU_CYCLE_1)
	v_cmpx_gt_u32_e64 s22, v13
	s_cbranch_execz .LBB177_4
; %bb.1:
	s_mul_hi_u32 s3, s7, s19
	v_lshl_add_u32 v0, v11, 5, v7
	s_add_co_i32 s3, s19, s3
	s_mul_i32 s24, s9, s19
	s_lshr_b32 s7, s3, s2
	s_mov_b32 s3, 0
	v_lshrrev_b32_e32 v0, 3, v0
	s_mov_b32 s25, s3
	v_lshlrev_b32_e32 v2, 1, v7
	s_mul_u64 s[24:25], s[24:25], 36
	s_load_b128 s[12:15], s[0:1], 0x0
	v_mad_co_u64_u32 v[0:1], null, 0x120, v0, s[24:25]
	s_mul_i32 s2, s17, s20
	v_and_b32_e32 v4, 14, v2
	v_dual_mov_b32 v6, 0 :: v_dual_and_b32 v15, 7, v7
	v_lshlrev_b32_e32 v5, 3, v13
	s_mul_hi_u32 s11, s11, s20
	v_mad_co_u64_u32 v[2:3], null, s2, 36, v[0:1]
	s_add_co_i32 s9, s20, s11
	s_mul_u64 s[26:27], s[2:3], 36
	s_lshr_b32 s9, s9, s23
	v_lshlrev_b32_e32 v10, 1, v4
	s_mul_i32 s7, s7, s8
	s_mul_i32 s11, s9, s16
	v_mad_co_u64_u32 v[8:9], null, v15, 36, v[2:3]
	v_mad_co_u64_u32 v[2:3], null, s5, 5, v[5:6]
	;; [unrolled: 1-line block ×3, first 2 shown]
	s_wait_kmcnt 0x0
	s_add_nc_u64 s[8:9], s[14:15], s[26:27]
	s_mul_i32 s4, s4, ttmp9
	s_delay_alu instid0(VALU_DEP_3)
	v_add_co_u32 v4, vcc_lo, s14, v8
	s_add_nc_u64 s[8:9], s[8:9], s[24:25]
	v_add_co_ci_u32_e64 v8, null, s15, v9, vcc_lo
	v_mad_co_u64_u32 v[0:1], null, v15, 36, s[8:9]
	v_add_co_u32 v4, vcc_lo, v4, 16
	v_add_nc_u32_e32 v16, s5, v5
	v_lshl_add_u32 v17, s5, 2, v5
	v_lshl_add_u32 v18, s5, 1, v5
	s_wait_alu 0xfffd
	v_add_co_ci_u32_e64 v5, null, 0, v8, vcc_lo
	v_dual_mov_b32 v10, 0 :: v_dual_lshlrev_b32 v19, 1, v10
	v_dual_mov_b32 v8, 0 :: v_dual_mov_b32 v9, 0
	v_mov_b32_e32 v12, 0
	v_mov_b32_e32 v14, 0
	s_wait_alu 0xfffe
	s_add_co_i32 s7, s7, s4
	s_delay_alu instid0(SALU_CYCLE_1)
	s_add_co_i32 s7, s11, s7
.LBB177_2:                              ; =>This Inner Loop Header: Depth=1
	s_delay_alu instid0(SALU_CYCLE_1)
	v_add_nc_u32_e32 v20, s7, v13
	s_getpc_b64 s[4:5]
	s_wait_alu 0xfffe
	s_sext_i32_i16 s5, s5
	s_add_co_u32 s4, s4, _ZL10iq2xs_grid@rel32@lo+12
	s_wait_alu 0xfffe
	s_add_co_ci_u32 s5, s5, _ZL10iq2xs_grid@rel32@hi+24
	v_add_nc_u32_e32 v13, 4, v13
	v_mad_co_i64_i32 v[31:32], null, 0x4a, v20, s[12:13]
	s_delay_alu instid0(VALU_DEP_1) | instskip(SKIP_1) | instid1(VALU_DEP_2)
	v_add_co_u32 v20, vcc_lo, v31, v19
	s_wait_alu 0xfffd
	v_add_co_ci_u32_e64 v21, null, 0, v32, vcc_lo
	global_load_b64 v[25:26], v[20:21], off offset:2
	v_add_co_u32 v20, vcc_lo, v31, v15
	s_wait_alu 0xfffd
	v_add_co_ci_u32_e64 v21, null, 0, v32, vcc_lo
	global_load_u8 v30, v[20:21], off offset:66
	s_wait_loadcnt 0x1
	v_and_b32_e32 v20, 0x1ff, v25
	v_bfe_u32 v22, v25, 9, 7
	s_delay_alu instid0(VALU_DEP_2) | instskip(NEXT) | instid1(VALU_DEP_2)
	v_lshlrev_b32_e32 v20, 3, v20
	v_bcnt_u32_b32 v23, v22, 0
	global_load_b64 v[20:21], v20, s[4:5]
	v_and_b32_e32 v23, 1, v23
	s_delay_alu instid0(VALU_DEP_1) | instskip(NEXT) | instid1(VALU_DEP_1)
	v_lshl_or_b32 v22, v23, 7, v22
	v_mul_lo_u32 v22, 0x1010101, v22
	s_delay_alu instid0(VALU_DEP_1) | instskip(NEXT) | instid1(VALU_DEP_1)
	v_and_b32_e32 v23, 0x8040201, v22
	v_lshrrev_b16 v24, 8, v23
	v_lshrrev_b32_e32 v23, 24, v23
	s_delay_alu instid0(VALU_DEP_2) | instskip(NEXT) | instid1(VALU_DEP_2)
	v_cmp_ne_u16_e64 s2, 0, v24
	v_cmp_ne_u16_e32 vcc_lo, 0, v23
	v_lshrrev_b32_e32 v23, 18, v22
	v_bfe_i32 v24, v22, 0, 1
	s_wait_alu 0xf1ff
	v_cndmask_b32_e64 v28, 0, -1, s2
	s_wait_alu 0xfffd
	v_cndmask_b32_e64 v33, 0, -1, vcc_lo
	v_bfe_i32 v23, v23, 0, 1
	v_and_b32_e32 v27, 0xff, v24
	v_lshlrev_b16 v24, 8, v24
	v_lshlrev_b16 v28, 8, v28
	;; [unrolled: 1-line block ×3, first 2 shown]
	v_and_b32_e32 v29, 0xff, v23
	v_lshlrev_b16 v23, 8, v23
	s_delay_alu instid0(VALU_DEP_4) | instskip(NEXT) | instid1(VALU_DEP_3)
	v_or_b32_e32 v27, v27, v28
	v_or_b32_e32 v29, v29, v33
	s_delay_alu instid0(VALU_DEP_2) | instskip(NEXT) | instid1(VALU_DEP_2)
	v_and_b32_e32 v27, 0xffff, v27
	v_lshlrev_b32_e32 v29, 16, v29
	s_delay_alu instid0(VALU_DEP_1) | instskip(SKIP_1) | instid1(VALU_DEP_1)
	v_or_b32_e32 v27, v27, v29
	s_wait_loadcnt 0x0
	v_xor_b32_e32 v20, v20, v27
	s_delay_alu instid0(VALU_DEP_1) | instskip(SKIP_2) | instid1(VALU_DEP_2)
	v_lshrrev_b32_e32 v27, 16, v20
	v_and_b32_e32 v29, 0xffffff00, v20
	v_lshlrev_b16 v20, 8, v20
	v_sub_nc_i16 v28, v29, v28 clamp
	s_delay_alu instid0(VALU_DEP_2) | instskip(SKIP_2) | instid1(VALU_DEP_3)
	v_sub_nc_i16 v20, v20, v24 clamp
	v_and_b32_e32 v24, 0xffffff00, v27
	v_lshlrev_b16 v27, 8, v27
	v_perm_b32 v20, v20, v28, 0xc0c0105
	s_delay_alu instid0(VALU_DEP_3) | instskip(NEXT) | instid1(VALU_DEP_3)
	v_sub_nc_i16 v24, v24, v33 clamp
	v_sub_nc_i16 v23, v27, v23 clamp
	s_delay_alu instid0(VALU_DEP_1) | instskip(NEXT) | instid1(VALU_DEP_1)
	v_perm_b32 v23, v23, v24, 0xc0c0105
	v_lshl_or_b32 v20, v23, 16, v20
	v_and_b32_e32 v23, 0x80402010, v22
	v_lshrrev_b32_e32 v22, 22, v22
	s_delay_alu instid0(VALU_DEP_2) | instskip(SKIP_2) | instid1(VALU_DEP_4)
	v_lshrrev_b16 v24, 8, v23
	v_lshrrev_b32_e32 v27, 24, v23
	v_lshrrev_b16 v23, 4, v23
	v_bfe_i32 v22, v22, 0, 1
	s_delay_alu instid0(VALU_DEP_4) | instskip(NEXT) | instid1(VALU_DEP_4)
	v_cmp_ne_u16_e64 s2, 0, v24
	v_cmp_ne_u16_e32 vcc_lo, 0, v27
	s_delay_alu instid0(VALU_DEP_4) | instskip(NEXT) | instid1(VALU_DEP_4)
	v_bfe_i32 v23, v23, 0, 1
	v_and_b32_e32 v28, 0xff, v22
	v_lshlrev_b16 v22, 8, v22
	s_wait_alu 0xf1ff
	v_cndmask_b32_e64 v27, 0, -1, s2
	s_wait_alu 0xfffd
	v_cndmask_b32_e64 v29, 0, -1, vcc_lo
	v_and_b32_e32 v24, 0xff, v23
	v_lshlrev_b16 v23, 8, v23
	v_lshlrev_b16 v27, 8, v27
	s_delay_alu instid0(VALU_DEP_4) | instskip(NEXT) | instid1(VALU_DEP_2)
	v_lshlrev_b16 v29, 8, v29
	v_or_b32_e32 v24, v24, v27
	s_delay_alu instid0(VALU_DEP_2) | instskip(NEXT) | instid1(VALU_DEP_2)
	v_or_b32_e32 v28, v28, v29
	v_and_b32_e32 v24, 0xffff, v24
	s_delay_alu instid0(VALU_DEP_2) | instskip(NEXT) | instid1(VALU_DEP_1)
	v_lshlrev_b32_e32 v28, 16, v28
	v_or_b32_e32 v24, v24, v28
	s_delay_alu instid0(VALU_DEP_1) | instskip(NEXT) | instid1(VALU_DEP_1)
	v_xor_b32_e32 v21, v21, v24
	v_lshrrev_b32_e32 v24, 16, v21
	v_and_b32_e32 v28, 0xffffff00, v21
	v_lshlrev_b16 v21, 8, v21
	s_delay_alu instid0(VALU_DEP_2) | instskip(NEXT) | instid1(VALU_DEP_2)
	v_sub_nc_i16 v27, v28, v27 clamp
	v_sub_nc_i16 v21, v21, v23 clamp
	v_and_b32_e32 v23, 0xffffff00, v24
	v_lshlrev_b16 v24, 8, v24
	s_delay_alu instid0(VALU_DEP_3) | instskip(NEXT) | instid1(VALU_DEP_3)
	v_perm_b32 v21, v21, v27, 0xc0c0105
	v_sub_nc_i16 v23, v23, v29 clamp
	s_delay_alu instid0(VALU_DEP_3) | instskip(SKIP_1) | instid1(VALU_DEP_2)
	v_sub_nc_i16 v22, v24, v22 clamp
	v_lshrrev_b32_e32 v24, 25, v25
	v_perm_b32 v22, v22, v23, 0xc0c0105
	s_delay_alu instid0(VALU_DEP_2) | instskip(NEXT) | instid1(VALU_DEP_2)
	v_bcnt_u32_b32 v24, v24, 0
	v_lshl_or_b32 v21, v22, 16, v21
	v_lshrrev_b32_e32 v22, 13, v25
	s_delay_alu instid0(VALU_DEP_3) | instskip(NEXT) | instid1(VALU_DEP_2)
	v_and_b32_e32 v24, 1, v24
	v_and_b32_e32 v22, 0xff8, v22
	s_delay_alu instid0(VALU_DEP_2) | instskip(SKIP_2) | instid1(VALU_DEP_1)
	v_alignbit_b32 v24, v24, v25, 25
	global_load_b64 v[22:23], v22, s[4:5]
	v_mul_lo_u32 v24, 0x1010101, v24
	v_and_b32_e32 v25, 0x8040201, v24
	s_delay_alu instid0(VALU_DEP_1) | instskip(SKIP_1) | instid1(VALU_DEP_2)
	v_lshrrev_b16 v27, 8, v25
	v_lshrrev_b32_e32 v25, 24, v25
	v_cmp_ne_u16_e64 s2, 0, v27
	s_delay_alu instid0(VALU_DEP_2)
	v_cmp_ne_u16_e32 vcc_lo, 0, v25
	v_lshrrev_b32_e32 v25, 18, v24
	v_bfe_i32 v27, v24, 0, 1
	s_wait_alu 0xf1ff
	v_cndmask_b32_e64 v29, 0, -1, s2
	s_wait_alu 0xfffd
	v_cndmask_b32_e64 v34, 0, -1, vcc_lo
	v_bfe_i32 v25, v25, 0, 1
	v_and_b32_e32 v28, 0xff, v27
	v_lshlrev_b16 v27, 8, v27
	v_lshlrev_b16 v29, 8, v29
	v_lshlrev_b16 v34, 8, v34
	v_and_b32_e32 v33, 0xff, v25
	v_lshlrev_b16 v25, 8, v25
	s_delay_alu instid0(VALU_DEP_4) | instskip(NEXT) | instid1(VALU_DEP_3)
	v_or_b32_e32 v28, v28, v29
	v_or_b32_e32 v33, v33, v34
	s_delay_alu instid0(VALU_DEP_2) | instskip(NEXT) | instid1(VALU_DEP_2)
	v_and_b32_e32 v28, 0xffff, v28
	v_lshlrev_b32_e32 v33, 16, v33
	s_delay_alu instid0(VALU_DEP_1) | instskip(SKIP_1) | instid1(VALU_DEP_1)
	v_or_b32_e32 v28, v28, v33
	s_wait_loadcnt 0x0
	v_xor_b32_e32 v22, v22, v28
	s_delay_alu instid0(VALU_DEP_1) | instskip(SKIP_2) | instid1(VALU_DEP_2)
	v_lshrrev_b32_e32 v28, 16, v22
	v_and_b32_e32 v33, 0xffffff00, v22
	v_lshlrev_b16 v22, 8, v22
	v_sub_nc_i16 v29, v33, v29 clamp
	s_delay_alu instid0(VALU_DEP_2) | instskip(SKIP_2) | instid1(VALU_DEP_3)
	v_sub_nc_i16 v22, v22, v27 clamp
	v_and_b32_e32 v27, 0xffffff00, v28
	v_lshlrev_b16 v28, 8, v28
	v_perm_b32 v22, v22, v29, 0xc0c0105
	s_delay_alu instid0(VALU_DEP_3) | instskip(NEXT) | instid1(VALU_DEP_3)
	v_sub_nc_i16 v27, v27, v34 clamp
	v_sub_nc_i16 v25, v28, v25 clamp
	s_delay_alu instid0(VALU_DEP_1) | instskip(NEXT) | instid1(VALU_DEP_1)
	v_perm_b32 v25, v25, v27, 0xc0c0105
	v_lshl_or_b32 v22, v25, 16, v22
	v_and_b32_e32 v25, 0x80402010, v24
	v_lshrrev_b32_e32 v24, 22, v24
	s_delay_alu instid0(VALU_DEP_2) | instskip(SKIP_2) | instid1(VALU_DEP_4)
	v_lshrrev_b16 v27, 8, v25
	v_lshrrev_b32_e32 v28, 24, v25
	v_lshrrev_b16 v25, 4, v25
	v_bfe_i32 v24, v24, 0, 1
	s_delay_alu instid0(VALU_DEP_4) | instskip(NEXT) | instid1(VALU_DEP_4)
	v_cmp_ne_u16_e64 s2, 0, v27
	v_cmp_ne_u16_e32 vcc_lo, 0, v28
	s_delay_alu instid0(VALU_DEP_4) | instskip(NEXT) | instid1(VALU_DEP_4)
	v_bfe_i32 v25, v25, 0, 1
	v_and_b32_e32 v29, 0xff, v24
	v_lshlrev_b16 v24, 8, v24
	s_wait_alu 0xf1ff
	v_cndmask_b32_e64 v28, 0, -1, s2
	s_wait_alu 0xfffd
	v_cndmask_b32_e64 v33, 0, -1, vcc_lo
	v_and_b32_e32 v27, 0xff, v25
	v_lshlrev_b16 v25, 8, v25
	v_lshlrev_b16 v28, 8, v28
	s_delay_alu instid0(VALU_DEP_4) | instskip(NEXT) | instid1(VALU_DEP_2)
	v_lshlrev_b16 v33, 8, v33
	v_or_b32_e32 v27, v27, v28
	s_delay_alu instid0(VALU_DEP_2) | instskip(NEXT) | instid1(VALU_DEP_2)
	v_or_b32_e32 v29, v29, v33
	v_and_b32_e32 v27, 0xffff, v27
	s_delay_alu instid0(VALU_DEP_2) | instskip(NEXT) | instid1(VALU_DEP_1)
	v_lshlrev_b32_e32 v29, 16, v29
	v_or_b32_e32 v27, v27, v29
	s_delay_alu instid0(VALU_DEP_1) | instskip(NEXT) | instid1(VALU_DEP_1)
	v_xor_b32_e32 v23, v23, v27
	v_lshrrev_b32_e32 v27, 16, v23
	v_and_b32_e32 v29, 0xffffff00, v23
	v_lshlrev_b16 v23, 8, v23
	s_delay_alu instid0(VALU_DEP_2) | instskip(NEXT) | instid1(VALU_DEP_2)
	v_sub_nc_i16 v28, v29, v28 clamp
	v_sub_nc_i16 v23, v23, v25 clamp
	v_and_b32_e32 v25, 0xffffff00, v27
	v_lshlrev_b16 v27, 8, v27
	s_delay_alu instid0(VALU_DEP_3) | instskip(NEXT) | instid1(VALU_DEP_3)
	v_perm_b32 v23, v23, v28, 0xc0c0105
	v_sub_nc_i16 v25, v25, v33 clamp
	s_delay_alu instid0(VALU_DEP_3) | instskip(SKIP_1) | instid1(VALU_DEP_2)
	v_sub_nc_i16 v24, v27, v24 clamp
	v_bfe_u32 v27, v26, 9, 7
	v_perm_b32 v24, v24, v25, 0xc0c0105
	s_delay_alu instid0(VALU_DEP_2) | instskip(NEXT) | instid1(VALU_DEP_2)
	v_bcnt_u32_b32 v28, v27, 0
	v_lshl_or_b32 v23, v24, 16, v23
	v_and_b32_e32 v24, 0x1ff, v26
	s_delay_alu instid0(VALU_DEP_3) | instskip(NEXT) | instid1(VALU_DEP_2)
	v_and_b32_e32 v28, 1, v28
	v_lshlrev_b32_e32 v24, 3, v24
	s_delay_alu instid0(VALU_DEP_2) | instskip(SKIP_2) | instid1(VALU_DEP_1)
	v_lshl_or_b32 v27, v28, 7, v27
	global_load_b64 v[24:25], v24, s[4:5]
	v_mul_lo_u32 v27, 0x1010101, v27
	v_and_b32_e32 v28, 0x8040201, v27
	s_delay_alu instid0(VALU_DEP_1) | instskip(SKIP_1) | instid1(VALU_DEP_2)
	v_lshrrev_b16 v29, 8, v28
	v_lshrrev_b32_e32 v28, 24, v28
	v_cmp_ne_u16_e64 s2, 0, v29
	s_delay_alu instid0(VALU_DEP_2)
	v_cmp_ne_u16_e32 vcc_lo, 0, v28
	v_lshrrev_b32_e32 v28, 18, v27
	v_bfe_i32 v29, v27, 0, 1
	s_wait_alu 0xf1ff
	v_cndmask_b32_e64 v34, 0, -1, s2
	s_wait_alu 0xfffd
	v_cndmask_b32_e64 v36, 0, -1, vcc_lo
	v_bfe_i32 v28, v28, 0, 1
	v_and_b32_e32 v33, 0xff, v29
	v_lshlrev_b16 v29, 8, v29
	v_lshlrev_b16 v34, 8, v34
	v_lshlrev_b16 v36, 8, v36
	v_and_b32_e32 v35, 0xff, v28
	v_lshlrev_b16 v28, 8, v28
	s_delay_alu instid0(VALU_DEP_4) | instskip(NEXT) | instid1(VALU_DEP_3)
	v_or_b32_e32 v33, v33, v34
	v_or_b32_e32 v35, v35, v36
	s_delay_alu instid0(VALU_DEP_2) | instskip(NEXT) | instid1(VALU_DEP_2)
	v_and_b32_e32 v33, 0xffff, v33
	v_lshlrev_b32_e32 v35, 16, v35
	s_delay_alu instid0(VALU_DEP_1) | instskip(SKIP_1) | instid1(VALU_DEP_1)
	v_or_b32_e32 v33, v33, v35
	s_wait_loadcnt 0x0
	v_xor_b32_e32 v24, v24, v33
	s_delay_alu instid0(VALU_DEP_1) | instskip(SKIP_2) | instid1(VALU_DEP_2)
	v_lshrrev_b32_e32 v33, 16, v24
	v_and_b32_e32 v35, 0xffffff00, v24
	v_lshlrev_b16 v24, 8, v24
	v_sub_nc_i16 v34, v35, v34 clamp
	s_delay_alu instid0(VALU_DEP_2) | instskip(SKIP_2) | instid1(VALU_DEP_3)
	v_sub_nc_i16 v24, v24, v29 clamp
	v_and_b32_e32 v29, 0xffffff00, v33
	v_lshlrev_b16 v33, 8, v33
	v_perm_b32 v24, v24, v34, 0xc0c0105
	s_delay_alu instid0(VALU_DEP_3) | instskip(NEXT) | instid1(VALU_DEP_3)
	v_sub_nc_i16 v29, v29, v36 clamp
	v_sub_nc_i16 v28, v33, v28 clamp
	s_delay_alu instid0(VALU_DEP_1) | instskip(NEXT) | instid1(VALU_DEP_1)
	v_perm_b32 v28, v28, v29, 0xc0c0105
	v_lshl_or_b32 v24, v28, 16, v24
	v_and_b32_e32 v28, 0x80402010, v27
	v_lshrrev_b32_e32 v27, 22, v27
	s_delay_alu instid0(VALU_DEP_2) | instskip(SKIP_2) | instid1(VALU_DEP_4)
	v_lshrrev_b16 v29, 8, v28
	v_lshrrev_b32_e32 v33, 24, v28
	v_lshrrev_b16 v28, 4, v28
	v_bfe_i32 v27, v27, 0, 1
	s_delay_alu instid0(VALU_DEP_4) | instskip(NEXT) | instid1(VALU_DEP_4)
	v_cmp_ne_u16_e64 s2, 0, v29
	v_cmp_ne_u16_e32 vcc_lo, 0, v33
	s_delay_alu instid0(VALU_DEP_4) | instskip(NEXT) | instid1(VALU_DEP_4)
	v_bfe_i32 v28, v28, 0, 1
	v_and_b32_e32 v34, 0xff, v27
	v_lshlrev_b16 v27, 8, v27
	s_wait_alu 0xf1ff
	v_cndmask_b32_e64 v33, 0, -1, s2
	s_wait_alu 0xfffd
	v_cndmask_b32_e64 v35, 0, -1, vcc_lo
	v_and_b32_e32 v29, 0xff, v28
	v_lshlrev_b16 v28, 8, v28
	v_lshlrev_b16 v33, 8, v33
	s_delay_alu instid0(VALU_DEP_4) | instskip(NEXT) | instid1(VALU_DEP_2)
	v_lshlrev_b16 v35, 8, v35
	v_or_b32_e32 v29, v29, v33
	s_delay_alu instid0(VALU_DEP_2) | instskip(NEXT) | instid1(VALU_DEP_2)
	v_or_b32_e32 v34, v34, v35
	v_and_b32_e32 v29, 0xffff, v29
	s_delay_alu instid0(VALU_DEP_2) | instskip(NEXT) | instid1(VALU_DEP_1)
	v_lshlrev_b32_e32 v34, 16, v34
	v_or_b32_e32 v29, v29, v34
	s_delay_alu instid0(VALU_DEP_1) | instskip(NEXT) | instid1(VALU_DEP_1)
	v_xor_b32_e32 v25, v25, v29
	v_lshrrev_b32_e32 v29, 16, v25
	v_and_b32_e32 v34, 0xffffff00, v25
	v_lshlrev_b16 v25, 8, v25
	s_delay_alu instid0(VALU_DEP_2) | instskip(NEXT) | instid1(VALU_DEP_2)
	v_sub_nc_i16 v33, v34, v33 clamp
	v_sub_nc_i16 v25, v25, v28 clamp
	v_and_b32_e32 v28, 0xffffff00, v29
	v_lshlrev_b16 v29, 8, v29
	s_delay_alu instid0(VALU_DEP_3) | instskip(NEXT) | instid1(VALU_DEP_3)
	v_perm_b32 v25, v25, v33, 0xc0c0105
	v_sub_nc_i16 v28, v28, v35 clamp
	s_delay_alu instid0(VALU_DEP_3) | instskip(SKIP_1) | instid1(VALU_DEP_2)
	v_sub_nc_i16 v27, v29, v27 clamp
	v_lshrrev_b32_e32 v29, 25, v26
	v_perm_b32 v27, v27, v28, 0xc0c0105
	s_delay_alu instid0(VALU_DEP_2) | instskip(NEXT) | instid1(VALU_DEP_2)
	v_bcnt_u32_b32 v29, v29, 0
	v_lshl_or_b32 v25, v27, 16, v25
	v_lshrrev_b32_e32 v27, 13, v26
	s_delay_alu instid0(VALU_DEP_3) | instskip(NEXT) | instid1(VALU_DEP_2)
	v_and_b32_e32 v29, 1, v29
	v_and_b32_e32 v27, 0xff8, v27
	s_delay_alu instid0(VALU_DEP_2) | instskip(SKIP_2) | instid1(VALU_DEP_1)
	v_alignbit_b32 v26, v29, v26, 25
	global_load_b64 v[27:28], v27, s[4:5]
	v_mul_lo_u32 v29, 0x1010101, v26
	v_and_b32_e32 v26, 0x8040201, v29
	s_delay_alu instid0(VALU_DEP_1) | instskip(SKIP_1) | instid1(VALU_DEP_2)
	v_lshrrev_b16 v33, 8, v26
	v_lshrrev_b32_e32 v26, 24, v26
	v_cmp_ne_u16_e64 s2, 0, v33
	s_delay_alu instid0(VALU_DEP_2)
	v_cmp_ne_u16_e32 vcc_lo, 0, v26
	v_lshrrev_b32_e32 v26, 18, v29
	v_bfe_i32 v33, v29, 0, 1
	s_wait_alu 0xf1ff
	v_cndmask_b32_e64 v35, 0, -1, s2
	s_wait_alu 0xfffd
	v_cndmask_b32_e64 v37, 0, -1, vcc_lo
	v_bfe_i32 v26, v26, 0, 1
	v_and_b32_e32 v34, 0xff, v33
	v_lshlrev_b16 v33, 8, v33
	v_lshlrev_b16 v35, 8, v35
	;; [unrolled: 1-line block ×3, first 2 shown]
	v_and_b32_e32 v36, 0xff, v26
	v_lshlrev_b16 v26, 8, v26
	s_delay_alu instid0(VALU_DEP_4) | instskip(NEXT) | instid1(VALU_DEP_3)
	v_or_b32_e32 v34, v34, v35
	v_or_b32_e32 v36, v36, v37
	s_delay_alu instid0(VALU_DEP_2) | instskip(NEXT) | instid1(VALU_DEP_2)
	v_and_b32_e32 v34, 0xffff, v34
	v_lshlrev_b32_e32 v36, 16, v36
	s_delay_alu instid0(VALU_DEP_1) | instskip(SKIP_1) | instid1(VALU_DEP_1)
	v_or_b32_e32 v34, v34, v36
	s_wait_loadcnt 0x0
	v_xor_b32_e32 v27, v27, v34
	s_delay_alu instid0(VALU_DEP_1) | instskip(SKIP_2) | instid1(VALU_DEP_2)
	v_lshrrev_b32_e32 v34, 16, v27
	v_and_b32_e32 v36, 0xffffff00, v27
	v_lshlrev_b16 v27, 8, v27
	v_sub_nc_i16 v35, v36, v35 clamp
	s_delay_alu instid0(VALU_DEP_2) | instskip(SKIP_2) | instid1(VALU_DEP_3)
	v_sub_nc_i16 v27, v27, v33 clamp
	v_and_b32_e32 v33, 0xffffff00, v34
	v_lshlrev_b16 v34, 8, v34
	v_perm_b32 v27, v27, v35, 0xc0c0105
	s_delay_alu instid0(VALU_DEP_3) | instskip(NEXT) | instid1(VALU_DEP_3)
	v_sub_nc_i16 v33, v33, v37 clamp
	v_sub_nc_i16 v26, v34, v26 clamp
	s_delay_alu instid0(VALU_DEP_1) | instskip(NEXT) | instid1(VALU_DEP_1)
	v_perm_b32 v26, v26, v33, 0xc0c0105
	v_lshl_or_b32 v26, v26, 16, v27
	v_and_b32_e32 v27, 0x80402010, v29
	v_lshrrev_b32_e32 v29, 22, v29
	s_delay_alu instid0(VALU_DEP_2) | instskip(SKIP_2) | instid1(VALU_DEP_4)
	v_lshrrev_b16 v33, 8, v27
	v_lshrrev_b32_e32 v34, 24, v27
	v_lshrrev_b16 v27, 4, v27
	v_bfe_i32 v29, v29, 0, 1
	s_delay_alu instid0(VALU_DEP_4) | instskip(NEXT) | instid1(VALU_DEP_4)
	v_cmp_ne_u16_e64 s2, 0, v33
	v_cmp_ne_u16_e32 vcc_lo, 0, v34
	s_delay_alu instid0(VALU_DEP_4) | instskip(NEXT) | instid1(VALU_DEP_4)
	v_bfe_i32 v27, v27, 0, 1
	v_and_b32_e32 v35, 0xff, v29
	v_lshlrev_b16 v29, 8, v29
	s_wait_alu 0xf1ff
	v_cndmask_b32_e64 v34, 0, -1, s2
	s_wait_alu 0xfffd
	v_cndmask_b32_e64 v36, 0, -1, vcc_lo
	v_and_b32_e32 v33, 0xff, v27
	v_lshlrev_b16 v27, 8, v27
	v_lshlrev_b16 v34, 8, v34
	s_delay_alu instid0(VALU_DEP_4) | instskip(NEXT) | instid1(VALU_DEP_2)
	v_lshlrev_b16 v36, 8, v36
	v_or_b32_e32 v33, v33, v34
	s_delay_alu instid0(VALU_DEP_2) | instskip(NEXT) | instid1(VALU_DEP_2)
	v_or_b32_e32 v35, v35, v36
	v_and_b32_e32 v33, 0xffff, v33
	s_delay_alu instid0(VALU_DEP_2) | instskip(NEXT) | instid1(VALU_DEP_1)
	v_lshlrev_b32_e32 v35, 16, v35
	v_or_b32_e32 v33, v33, v35
	s_delay_alu instid0(VALU_DEP_1) | instskip(NEXT) | instid1(VALU_DEP_1)
	v_xor_b32_e32 v28, v28, v33
	v_lshrrev_b32_e32 v33, 16, v28
	v_and_b32_e32 v35, 0xffffff00, v28
	v_lshlrev_b16 v28, 8, v28
	s_delay_alu instid0(VALU_DEP_2) | instskip(NEXT) | instid1(VALU_DEP_2)
	v_sub_nc_i16 v34, v35, v34 clamp
	v_sub_nc_i16 v27, v28, v27 clamp
	v_and_b32_e32 v28, 0xffffff00, v33
	v_lshlrev_b16 v33, 8, v33
	s_delay_alu instid0(VALU_DEP_3) | instskip(NEXT) | instid1(VALU_DEP_3)
	v_perm_b32 v27, v27, v34, 0xc0c0105
	v_sub_nc_i16 v28, v28, v36 clamp
	s_delay_alu instid0(VALU_DEP_3) | instskip(NEXT) | instid1(VALU_DEP_1)
	v_sub_nc_i16 v29, v33, v29 clamp
	v_perm_b32 v28, v29, v28, 0xc0c0105
	s_delay_alu instid0(VALU_DEP_1)
	v_lshl_or_b32 v29, v28, 16, v27
	global_load_u16 v27, v[31:32], off
	s_clause 0x2
	global_load_b128 v[31:34], v[4:5], off offset:-16
	global_load_b32 v39, v[4:5], off offset:16
	global_load_b128 v[35:38], v[4:5], off
	v_lshrrev_b32_e32 v28, 4, v30
	v_and_b32_e32 v30, 15, v30
	v_add_co_u32 v4, vcc_lo, 0x480, v4
	s_wait_alu 0xfffd
	v_add_co_ci_u32_e64 v5, null, 0, v5, vcc_lo
	v_cmp_le_u32_e32 vcc_lo, s22, v13
	s_or_b32 s3, vcc_lo, s3
	s_wait_loadcnt 0x2
	v_dot4_i32_iu8 v32, v20, v32, 0 neg_lo:[1,1,0]
	v_cvt_f32_f16_e32 v27, v27
	v_cvt_f32_f16_e32 v31, v31
	s_delay_alu instid0(VALU_DEP_3) | instskip(SKIP_2) | instid1(VALU_DEP_3)
	v_dot4_i32_iu8 v32, v21, v33, v32 neg_lo:[1,1,0]
	s_wait_loadcnt 0x0
	v_dot4_i32_iu8 v33, v24, v36, 0 neg_lo:[1,1,0]
	v_mul_f32_e32 v31, v27, v31
	s_delay_alu instid0(VALU_DEP_3) | instskip(NEXT) | instid1(VALU_DEP_3)
	v_dot4_i32_iu8 v32, v22, v34, v32 neg_lo:[1,1,0]
	v_dot4_i32_iu8 v33, v25, v37, v33 neg_lo:[1,1,0]
	s_delay_alu instid0(VALU_DEP_2) | instskip(NEXT) | instid1(VALU_DEP_2)
	v_dot4_i32_iu8 v32, v23, v35, v32 neg_lo:[1,1,0]
	v_dot4_i32_iu8 v33, v26, v38, v33 neg_lo:[1,1,0]
	s_delay_alu instid0(VALU_DEP_2) | instskip(NEXT) | instid1(VALU_DEP_2)
	v_mul_lo_u32 v34, v32, v30
	v_dot4_i32_iu8 v33, v29, v39, v33 neg_lo:[1,1,0]
	s_delay_alu instid0(VALU_DEP_1) | instskip(SKIP_1) | instid1(VALU_DEP_2)
	v_add_nc_u32_e32 v32, v33, v32
	v_mul_lo_u32 v35, v33, v28
	v_lshrrev_b32_e32 v33, 31, v32
	s_delay_alu instid0(VALU_DEP_1) | instskip(NEXT) | instid1(VALU_DEP_1)
	v_add_nc_u32_e32 v32, v32, v33
	v_ashrrev_i32_e32 v32, 1, v32
	s_delay_alu instid0(VALU_DEP_1) | instskip(SKIP_2) | instid1(VALU_DEP_3)
	v_add3_u32 v32, v35, v34, v32
	v_mad_co_u64_u32 v[35:36], null, v16, 36, v[0:1]
	v_add_nc_u32_e32 v16, 32, v16
	v_ashrrev_i32_e32 v33, 31, v32
	s_delay_alu instid0(VALU_DEP_1) | instskip(NEXT) | instid1(VALU_DEP_1)
	v_lshrrev_b32_e32 v33, 30, v33
	v_add_nc_u32_e32 v32, v32, v33
	s_delay_alu instid0(VALU_DEP_1) | instskip(NEXT) | instid1(VALU_DEP_1)
	v_ashrrev_i32_e32 v32, 2, v32
	v_cvt_f32_i32_e32 v32, v32
	s_delay_alu instid0(VALU_DEP_1)
	v_fmac_f32_e32 v14, v31, v32
	s_clause 0x2
	global_load_b128 v[31:34], v[35:36], off
	global_load_b32 v39, v[35:36], off offset:32
	global_load_b128 v[35:38], v[35:36], off offset:16
	s_wait_loadcnt 0x2
	v_dot4_i32_iu8 v32, v20, v32, 0 neg_lo:[1,1,0]
	v_cvt_f32_f16_e32 v31, v31
	s_delay_alu instid0(VALU_DEP_2) | instskip(SKIP_2) | instid1(VALU_DEP_3)
	v_dot4_i32_iu8 v32, v21, v33, v32 neg_lo:[1,1,0]
	s_wait_loadcnt 0x0
	v_dot4_i32_iu8 v33, v24, v36, 0 neg_lo:[1,1,0]
	v_mul_f32_e32 v31, v27, v31
	s_delay_alu instid0(VALU_DEP_3) | instskip(NEXT) | instid1(VALU_DEP_3)
	v_dot4_i32_iu8 v32, v22, v34, v32 neg_lo:[1,1,0]
	v_dot4_i32_iu8 v33, v25, v37, v33 neg_lo:[1,1,0]
	s_delay_alu instid0(VALU_DEP_2) | instskip(NEXT) | instid1(VALU_DEP_2)
	v_dot4_i32_iu8 v32, v23, v35, v32 neg_lo:[1,1,0]
	v_dot4_i32_iu8 v33, v26, v38, v33 neg_lo:[1,1,0]
	s_delay_alu instid0(VALU_DEP_2) | instskip(NEXT) | instid1(VALU_DEP_2)
	v_mul_lo_u32 v34, v32, v30
	v_dot4_i32_iu8 v33, v29, v39, v33 neg_lo:[1,1,0]
	s_delay_alu instid0(VALU_DEP_1) | instskip(SKIP_1) | instid1(VALU_DEP_2)
	v_add_nc_u32_e32 v32, v33, v32
	v_mul_lo_u32 v35, v33, v28
	v_lshrrev_b32_e32 v33, 31, v32
	s_delay_alu instid0(VALU_DEP_1) | instskip(NEXT) | instid1(VALU_DEP_1)
	v_add_nc_u32_e32 v32, v32, v33
	v_ashrrev_i32_e32 v32, 1, v32
	s_delay_alu instid0(VALU_DEP_1) | instskip(SKIP_2) | instid1(VALU_DEP_3)
	v_add3_u32 v32, v35, v34, v32
	v_mad_co_u64_u32 v[35:36], null, v18, 36, v[0:1]
	v_add_nc_u32_e32 v18, 32, v18
	v_ashrrev_i32_e32 v33, 31, v32
	s_delay_alu instid0(VALU_DEP_1) | instskip(NEXT) | instid1(VALU_DEP_1)
	v_lshrrev_b32_e32 v33, 30, v33
	v_add_nc_u32_e32 v32, v32, v33
	s_delay_alu instid0(VALU_DEP_1) | instskip(NEXT) | instid1(VALU_DEP_1)
	v_ashrrev_i32_e32 v32, 2, v32
	v_cvt_f32_i32_e32 v32, v32
	s_delay_alu instid0(VALU_DEP_1)
	v_fmac_f32_e32 v12, v31, v32
	s_clause 0x2
	global_load_b128 v[31:34], v[35:36], off
	global_load_b32 v39, v[35:36], off offset:32
	global_load_b128 v[35:38], v[35:36], off offset:16
	s_wait_loadcnt 0x2
	v_dot4_i32_iu8 v32, v20, v32, 0 neg_lo:[1,1,0]
	v_cvt_f32_f16_e32 v31, v31
	s_delay_alu instid0(VALU_DEP_2) | instskip(SKIP_2) | instid1(VALU_DEP_3)
	;; [unrolled: 41-line block ×4, first 2 shown]
	v_dot4_i32_iu8 v32, v21, v33, v32 neg_lo:[1,1,0]
	s_wait_loadcnt 0x0
	v_dot4_i32_iu8 v33, v24, v36, 0 neg_lo:[1,1,0]
	v_mul_f32_e32 v31, v27, v31
	s_delay_alu instid0(VALU_DEP_3) | instskip(NEXT) | instid1(VALU_DEP_3)
	v_dot4_i32_iu8 v32, v22, v34, v32 neg_lo:[1,1,0]
	v_dot4_i32_iu8 v33, v25, v37, v33 neg_lo:[1,1,0]
	s_delay_alu instid0(VALU_DEP_2) | instskip(NEXT) | instid1(VALU_DEP_2)
	v_dot4_i32_iu8 v32, v23, v35, v32 neg_lo:[1,1,0]
	v_dot4_i32_iu8 v33, v26, v38, v33 neg_lo:[1,1,0]
	s_delay_alu instid0(VALU_DEP_2) | instskip(NEXT) | instid1(VALU_DEP_2)
	v_mul_lo_u32 v34, v32, v30
	v_dot4_i32_iu8 v33, v29, v39, v33 neg_lo:[1,1,0]
	s_delay_alu instid0(VALU_DEP_1) | instskip(SKIP_1) | instid1(VALU_DEP_2)
	v_add_nc_u32_e32 v32, v33, v32
	v_mul_lo_u32 v35, v33, v28
	v_lshrrev_b32_e32 v33, 31, v32
	s_delay_alu instid0(VALU_DEP_1) | instskip(NEXT) | instid1(VALU_DEP_1)
	v_add_nc_u32_e32 v32, v32, v33
	v_ashrrev_i32_e32 v32, 1, v32
	s_delay_alu instid0(VALU_DEP_1) | instskip(SKIP_2) | instid1(VALU_DEP_3)
	v_add3_u32 v32, v35, v34, v32
	v_mad_co_u64_u32 v[35:36], null, v2, 36, v[0:1]
	v_add_nc_u32_e32 v2, 32, v2
	v_ashrrev_i32_e32 v33, 31, v32
	s_delay_alu instid0(VALU_DEP_1) | instskip(NEXT) | instid1(VALU_DEP_1)
	v_lshrrev_b32_e32 v33, 30, v33
	v_add_nc_u32_e32 v32, v32, v33
	s_delay_alu instid0(VALU_DEP_1) | instskip(NEXT) | instid1(VALU_DEP_1)
	v_ashrrev_i32_e32 v32, 2, v32
	v_cvt_f32_i32_e32 v32, v32
	s_delay_alu instid0(VALU_DEP_1)
	v_fmac_f32_e32 v8, v31, v32
	s_clause 0x2
	global_load_b128 v[31:34], v[35:36], off
	global_load_b32 v39, v[35:36], off offset:32
	global_load_b128 v[35:38], v[35:36], off offset:16
	s_wait_loadcnt 0x2
	v_dot4_i32_iu8 v20, v20, v32, 0 neg_lo:[1,1,0]
	s_delay_alu instid0(VALU_DEP_1) | instskip(SKIP_2) | instid1(VALU_DEP_2)
	v_dot4_i32_iu8 v20, v21, v33, v20 neg_lo:[1,1,0]
	s_wait_loadcnt 0x0
	v_dot4_i32_iu8 v21, v24, v36, 0 neg_lo:[1,1,0]
	v_dot4_i32_iu8 v20, v22, v34, v20 neg_lo:[1,1,0]
	s_delay_alu instid0(VALU_DEP_2) | instskip(NEXT) | instid1(VALU_DEP_2)
	v_dot4_i32_iu8 v21, v25, v37, v21 neg_lo:[1,1,0]
	v_dot4_i32_iu8 v20, v23, v35, v20 neg_lo:[1,1,0]
	s_delay_alu instid0(VALU_DEP_2) | instskip(NEXT) | instid1(VALU_DEP_2)
	v_dot4_i32_iu8 v21, v26, v38, v21 neg_lo:[1,1,0]
	v_mul_lo_u32 v22, v20, v30
	s_delay_alu instid0(VALU_DEP_2) | instskip(NEXT) | instid1(VALU_DEP_1)
	v_dot4_i32_iu8 v21, v29, v39, v21 neg_lo:[1,1,0]
	v_add_nc_u32_e32 v20, v21, v20
	v_mul_lo_u32 v23, v21, v28
	s_delay_alu instid0(VALU_DEP_2) | instskip(NEXT) | instid1(VALU_DEP_1)
	v_lshrrev_b32_e32 v21, 31, v20
	v_add_nc_u32_e32 v20, v20, v21
	s_delay_alu instid0(VALU_DEP_1) | instskip(NEXT) | instid1(VALU_DEP_1)
	v_ashrrev_i32_e32 v20, 1, v20
	v_add3_u32 v20, v23, v22, v20
	s_delay_alu instid0(VALU_DEP_1) | instskip(NEXT) | instid1(VALU_DEP_1)
	v_ashrrev_i32_e32 v21, 31, v20
	v_lshrrev_b32_e32 v21, 30, v21
	s_delay_alu instid0(VALU_DEP_1) | instskip(SKIP_1) | instid1(VALU_DEP_2)
	v_add_nc_u32_e32 v20, v20, v21
	v_cvt_f32_f16_e32 v21, v31
	v_ashrrev_i32_e32 v20, 2, v20
	s_delay_alu instid0(VALU_DEP_2) | instskip(NEXT) | instid1(VALU_DEP_2)
	v_mul_f32_e32 v21, v27, v21
	v_cvt_f32_i32_e32 v20, v20
	s_delay_alu instid0(VALU_DEP_1)
	v_fmac_f32_e32 v6, v21, v20
	s_wait_alu 0xfffe
	s_and_not1_b32 exec_lo, exec_lo, s3
	s_cbranch_execnz .LBB177_2
; %bb.3:
	s_or_b32 exec_lo, exec_lo, s3
.LBB177_4:
	s_delay_alu instid0(SALU_CYCLE_1)
	s_or_b32 exec_lo, exec_lo, s21
	s_mov_b32 s3, 0
	; wave barrier
	global_inv scope:SCOPE_SE
	s_mov_b32 s2, exec_lo
	v_cmpx_eq_u32_e32 0, v11
	s_cbranch_execz .LBB177_17
; %bb.5:
	v_mbcnt_lo_u32_b32 v4, -1, 0
	s_load_b64 s[0:1], s[0:1], 0x38
	s_mul_i32 s2, s10, s19
	s_mul_i32 s4, s18, s20
	s_wait_alu 0xfffe
	s_add_co_i32 s2, s2, ttmp9
	v_xor_b32_e32 v0, 16, v4
	v_xor_b32_e32 v1, 8, v4
	;; [unrolled: 1-line block ×3, first 2 shown]
	s_wait_alu 0xfffe
	s_add_co_i32 s2, s2, s4
	s_wait_alu 0xfffe
	s_lshl_b64 s[2:3], s[2:3], 2
	v_cmp_gt_i32_e32 vcc_lo, 32, v0
	s_wait_alu 0xfffd
	v_cndmask_b32_e32 v0, v4, v0, vcc_lo
	v_cmp_gt_i32_e32 vcc_lo, 32, v1
	s_wait_kmcnt 0x0
	s_wait_alu 0xfffe
	s_add_nc_u64 s[0:1], s[0:1], s[2:3]
	s_wait_alu 0xfffd
	v_cndmask_b32_e32 v1, v4, v1, vcc_lo
	s_delay_alu instid0(VALU_DEP_1)
	v_lshlrev_b32_e32 v1, 2, v1
	v_lshlrev_b32_e32 v0, 2, v0
	ds_bpermute_b32 v2, v0, v14
	s_wait_dscnt 0x0
	v_add_f32_e32 v3, v14, v2
	v_xor_b32_e32 v2, 4, v4
	ds_bpermute_b32 v5, v1, v3
	v_cmp_gt_i32_e32 vcc_lo, 32, v2
	s_wait_dscnt 0x0
	s_wait_alu 0xfffd
	v_dual_cndmask_b32 v2, v4, v2 :: v_dual_add_f32 v5, v3, v5
	s_delay_alu instid0(VALU_DEP_1)
	v_lshlrev_b32_e32 v2, 2, v2
	v_xor_b32_e32 v3, 2, v4
	ds_bpermute_b32 v11, v2, v5
	v_cmp_gt_i32_e32 vcc_lo, 32, v3
	s_wait_alu 0xfffd
	v_cndmask_b32_e32 v3, v4, v3, vcc_lo
	v_cmp_gt_i32_e32 vcc_lo, 32, v13
	s_wait_alu 0xfffd
	v_cndmask_b32_e32 v4, v4, v13, vcc_lo
	v_cmp_eq_u32_e32 vcc_lo, 0, v7
	s_delay_alu instid0(VALU_DEP_2)
	v_lshlrev_b32_e32 v4, 2, v4
	v_lshlrev_b32_e32 v3, 2, v3
	s_wait_dscnt 0x0
	v_add_f32_e32 v5, v5, v11
	ds_bpermute_b32 v11, v3, v5
	s_wait_dscnt 0x0
	v_add_f32_e32 v5, v5, v11
	ds_bpermute_b32 v11, v4, v5
	s_and_saveexec_b32 s2, vcc_lo
	s_cbranch_execz .LBB177_7
; %bb.6:
	s_wait_dscnt 0x0
	v_add_f32_e32 v5, v5, v11
	v_mov_b32_e32 v7, 0
	global_store_b32 v7, v5, s[0:1]
.LBB177_7:
	s_wait_alu 0xfffe
	s_or_b32 exec_lo, exec_lo, s2
	ds_bpermute_b32 v5, v0, v12
	s_wait_dscnt 0x0
	v_add_f32_e32 v5, v12, v5
	ds_bpermute_b32 v7, v1, v5
	s_wait_dscnt 0x0
	v_add_f32_e32 v5, v5, v7
	;; [unrolled: 3-line block ×4, first 2 shown]
	ds_bpermute_b32 v7, v4, v5
	s_and_saveexec_b32 s2, vcc_lo
	s_cbranch_execz .LBB177_9
; %bb.8:
	s_mov_b32 s7, 0
	s_wait_dscnt 0x0
	v_add_f32_e32 v5, v5, v7
	v_mov_b32_e32 v7, 0
	s_wait_alu 0xfffe
	s_lshl_b64 s[4:5], s[6:7], 2
	s_wait_alu 0xfffe
	s_add_nc_u64 s[4:5], s[0:1], s[4:5]
	global_store_b32 v7, v5, s[4:5]
.LBB177_9:
	s_wait_alu 0xfffe
	s_or_b32 exec_lo, exec_lo, s2
	ds_bpermute_b32 v5, v0, v10
	s_wait_dscnt 0x0
	v_add_f32_e32 v5, v10, v5
	ds_bpermute_b32 v7, v1, v5
	s_wait_dscnt 0x0
	v_add_f32_e32 v5, v5, v7
	;; [unrolled: 3-line block ×4, first 2 shown]
	ds_bpermute_b32 v7, v4, v5
	s_and_saveexec_b32 s2, vcc_lo
	s_cbranch_execz .LBB177_11
; %bb.10:
	s_lshl_b32 s4, s6, 1
	s_mov_b32 s5, 0
	s_wait_dscnt 0x0
	v_add_f32_e32 v5, v5, v7
	v_mov_b32_e32 v7, 0
	s_wait_alu 0xfffe
	s_lshl_b64 s[4:5], s[4:5], 2
	s_wait_alu 0xfffe
	s_add_nc_u64 s[4:5], s[0:1], s[4:5]
	global_store_b32 v7, v5, s[4:5]
.LBB177_11:
	s_wait_alu 0xfffe
	s_or_b32 exec_lo, exec_lo, s2
	ds_bpermute_b32 v5, v0, v9
	s_wait_dscnt 0x0
	v_add_f32_e32 v5, v9, v5
	ds_bpermute_b32 v7, v1, v5
	s_wait_dscnt 0x0
	v_add_f32_e32 v5, v5, v7
	;; [unrolled: 3-line block ×4, first 2 shown]
	ds_bpermute_b32 v7, v4, v5
	s_and_saveexec_b32 s2, vcc_lo
	s_cbranch_execz .LBB177_13
; %bb.12:
	s_mul_i32 s4, s6, 3
	s_mov_b32 s5, 0
	s_wait_dscnt 0x0
	v_add_f32_e32 v5, v5, v7
	v_mov_b32_e32 v7, 0
	s_wait_alu 0xfffe
	s_lshl_b64 s[4:5], s[4:5], 2
	s_wait_alu 0xfffe
	s_add_nc_u64 s[4:5], s[0:1], s[4:5]
	global_store_b32 v7, v5, s[4:5]
.LBB177_13:
	s_wait_alu 0xfffe
	s_or_b32 exec_lo, exec_lo, s2
	ds_bpermute_b32 v5, v0, v8
	s_wait_dscnt 0x0
	v_add_f32_e32 v5, v8, v5
	ds_bpermute_b32 v7, v1, v5
	s_wait_dscnt 0x0
	v_add_f32_e32 v5, v5, v7
	;; [unrolled: 3-line block ×4, first 2 shown]
	ds_bpermute_b32 v7, v4, v5
	s_and_saveexec_b32 s2, vcc_lo
	s_cbranch_execz .LBB177_15
; %bb.14:
	s_lshl_b32 s4, s6, 2
	s_mov_b32 s5, 0
	s_wait_dscnt 0x0
	v_add_f32_e32 v5, v5, v7
	v_mov_b32_e32 v7, 0
	s_wait_alu 0xfffe
	s_lshl_b64 s[4:5], s[4:5], 2
	s_wait_alu 0xfffe
	s_add_nc_u64 s[4:5], s[0:1], s[4:5]
	global_store_b32 v7, v5, s[4:5]
.LBB177_15:
	s_wait_alu 0xfffe
	s_or_b32 exec_lo, exec_lo, s2
	ds_bpermute_b32 v0, v0, v6
	s_wait_dscnt 0x0
	v_add_f32_e32 v0, v6, v0
	ds_bpermute_b32 v1, v1, v0
	s_wait_dscnt 0x0
	v_add_f32_e32 v0, v0, v1
	ds_bpermute_b32 v1, v2, v0
	s_wait_dscnt 0x0
	v_add_f32_e32 v0, v0, v1
	ds_bpermute_b32 v1, v3, v0
	s_wait_dscnt 0x0
	v_add_f32_e32 v0, v0, v1
	ds_bpermute_b32 v1, v4, v0
	s_and_b32 exec_lo, exec_lo, vcc_lo
	s_cbranch_execz .LBB177_17
; %bb.16:
	s_mul_i32 s2, s6, 5
	s_mov_b32 s3, 0
	s_wait_dscnt 0x0
	v_dual_add_f32 v0, v0, v1 :: v_dual_mov_b32 v1, 0
	s_wait_alu 0xfffe
	s_lshl_b64 s[2:3], s[2:3], 2
	s_wait_alu 0xfffe
	s_add_nc_u64 s[0:1], s[0:1], s[2:3]
	global_store_b32 v1, v0, s[0:1]
.LBB177_17:
	s_endpgm
	.section	.rodata,"a",@progbits
	.p2align	6, 0x0
	.amdhsa_kernel _ZL13mul_mat_vec_qIL9ggml_type17ELi6ELb0ELb0EEvPKvS2_PKi31ggml_cuda_mm_fusion_args_devicePfj15HIP_vector_typeIjLj3EEjjjS8_jjjS8_jjjj
		.amdhsa_group_segment_fixed_size 0
		.amdhsa_private_segment_fixed_size 0
		.amdhsa_kernarg_size 144
		.amdhsa_user_sgpr_count 2
		.amdhsa_user_sgpr_dispatch_ptr 0
		.amdhsa_user_sgpr_queue_ptr 0
		.amdhsa_user_sgpr_kernarg_segment_ptr 1
		.amdhsa_user_sgpr_dispatch_id 0
		.amdhsa_user_sgpr_private_segment_size 0
		.amdhsa_wavefront_size32 1
		.amdhsa_uses_dynamic_stack 0
		.amdhsa_enable_private_segment 0
		.amdhsa_system_sgpr_workgroup_id_x 1
		.amdhsa_system_sgpr_workgroup_id_y 1
		.amdhsa_system_sgpr_workgroup_id_z 1
		.amdhsa_system_sgpr_workgroup_info 0
		.amdhsa_system_vgpr_workitem_id 1
		.amdhsa_next_free_vgpr 40
		.amdhsa_next_free_sgpr 28
		.amdhsa_reserve_vcc 1
		.amdhsa_float_round_mode_32 0
		.amdhsa_float_round_mode_16_64 0
		.amdhsa_float_denorm_mode_32 3
		.amdhsa_float_denorm_mode_16_64 3
		.amdhsa_fp16_overflow 0
		.amdhsa_workgroup_processor_mode 1
		.amdhsa_memory_ordered 1
		.amdhsa_forward_progress 1
		.amdhsa_inst_pref_size 45
		.amdhsa_round_robin_scheduling 0
		.amdhsa_exception_fp_ieee_invalid_op 0
		.amdhsa_exception_fp_denorm_src 0
		.amdhsa_exception_fp_ieee_div_zero 0
		.amdhsa_exception_fp_ieee_overflow 0
		.amdhsa_exception_fp_ieee_underflow 0
		.amdhsa_exception_fp_ieee_inexact 0
		.amdhsa_exception_int_div_zero 0
	.end_amdhsa_kernel
	.section	.text._ZL13mul_mat_vec_qIL9ggml_type17ELi6ELb0ELb0EEvPKvS2_PKi31ggml_cuda_mm_fusion_args_devicePfj15HIP_vector_typeIjLj3EEjjjS8_jjjS8_jjjj,"axG",@progbits,_ZL13mul_mat_vec_qIL9ggml_type17ELi6ELb0ELb0EEvPKvS2_PKi31ggml_cuda_mm_fusion_args_devicePfj15HIP_vector_typeIjLj3EEjjjS8_jjjS8_jjjj,comdat
.Lfunc_end177:
	.size	_ZL13mul_mat_vec_qIL9ggml_type17ELi6ELb0ELb0EEvPKvS2_PKi31ggml_cuda_mm_fusion_args_devicePfj15HIP_vector_typeIjLj3EEjjjS8_jjjS8_jjjj, .Lfunc_end177-_ZL13mul_mat_vec_qIL9ggml_type17ELi6ELb0ELb0EEvPKvS2_PKi31ggml_cuda_mm_fusion_args_devicePfj15HIP_vector_typeIjLj3EEjjjS8_jjjS8_jjjj
                                        ; -- End function
	.set _ZL13mul_mat_vec_qIL9ggml_type17ELi6ELb0ELb0EEvPKvS2_PKi31ggml_cuda_mm_fusion_args_devicePfj15HIP_vector_typeIjLj3EEjjjS8_jjjS8_jjjj.num_vgpr, 40
	.set _ZL13mul_mat_vec_qIL9ggml_type17ELi6ELb0ELb0EEvPKvS2_PKi31ggml_cuda_mm_fusion_args_devicePfj15HIP_vector_typeIjLj3EEjjjS8_jjjS8_jjjj.num_agpr, 0
	.set _ZL13mul_mat_vec_qIL9ggml_type17ELi6ELb0ELb0EEvPKvS2_PKi31ggml_cuda_mm_fusion_args_devicePfj15HIP_vector_typeIjLj3EEjjjS8_jjjS8_jjjj.numbered_sgpr, 28
	.set _ZL13mul_mat_vec_qIL9ggml_type17ELi6ELb0ELb0EEvPKvS2_PKi31ggml_cuda_mm_fusion_args_devicePfj15HIP_vector_typeIjLj3EEjjjS8_jjjS8_jjjj.num_named_barrier, 0
	.set _ZL13mul_mat_vec_qIL9ggml_type17ELi6ELb0ELb0EEvPKvS2_PKi31ggml_cuda_mm_fusion_args_devicePfj15HIP_vector_typeIjLj3EEjjjS8_jjjS8_jjjj.private_seg_size, 0
	.set _ZL13mul_mat_vec_qIL9ggml_type17ELi6ELb0ELb0EEvPKvS2_PKi31ggml_cuda_mm_fusion_args_devicePfj15HIP_vector_typeIjLj3EEjjjS8_jjjS8_jjjj.uses_vcc, 1
	.set _ZL13mul_mat_vec_qIL9ggml_type17ELi6ELb0ELb0EEvPKvS2_PKi31ggml_cuda_mm_fusion_args_devicePfj15HIP_vector_typeIjLj3EEjjjS8_jjjS8_jjjj.uses_flat_scratch, 0
	.set _ZL13mul_mat_vec_qIL9ggml_type17ELi6ELb0ELb0EEvPKvS2_PKi31ggml_cuda_mm_fusion_args_devicePfj15HIP_vector_typeIjLj3EEjjjS8_jjjS8_jjjj.has_dyn_sized_stack, 0
	.set _ZL13mul_mat_vec_qIL9ggml_type17ELi6ELb0ELb0EEvPKvS2_PKi31ggml_cuda_mm_fusion_args_devicePfj15HIP_vector_typeIjLj3EEjjjS8_jjjS8_jjjj.has_recursion, 0
	.set _ZL13mul_mat_vec_qIL9ggml_type17ELi6ELb0ELb0EEvPKvS2_PKi31ggml_cuda_mm_fusion_args_devicePfj15HIP_vector_typeIjLj3EEjjjS8_jjjS8_jjjj.has_indirect_call, 0
	.section	.AMDGPU.csdata,"",@progbits
; Kernel info:
; codeLenInByte = 5680
; TotalNumSgprs: 30
; NumVgprs: 40
; ScratchSize: 0
; MemoryBound: 0
; FloatMode: 240
; IeeeMode: 1
; LDSByteSize: 0 bytes/workgroup (compile time only)
; SGPRBlocks: 0
; VGPRBlocks: 4
; NumSGPRsForWavesPerEU: 30
; NumVGPRsForWavesPerEU: 40
; Occupancy: 16
; WaveLimiterHint : 0
; COMPUTE_PGM_RSRC2:SCRATCH_EN: 0
; COMPUTE_PGM_RSRC2:USER_SGPR: 2
; COMPUTE_PGM_RSRC2:TRAP_HANDLER: 0
; COMPUTE_PGM_RSRC2:TGID_X_EN: 1
; COMPUTE_PGM_RSRC2:TGID_Y_EN: 1
; COMPUTE_PGM_RSRC2:TGID_Z_EN: 1
; COMPUTE_PGM_RSRC2:TIDIG_COMP_CNT: 1
	.section	.text._ZL13mul_mat_vec_qIL9ggml_type17ELi7ELb0ELb0EEvPKvS2_PKi31ggml_cuda_mm_fusion_args_devicePfj15HIP_vector_typeIjLj3EEjjjS8_jjjS8_jjjj,"axG",@progbits,_ZL13mul_mat_vec_qIL9ggml_type17ELi7ELb0ELb0EEvPKvS2_PKi31ggml_cuda_mm_fusion_args_devicePfj15HIP_vector_typeIjLj3EEjjjS8_jjjS8_jjjj,comdat
	.globl	_ZL13mul_mat_vec_qIL9ggml_type17ELi7ELb0ELb0EEvPKvS2_PKi31ggml_cuda_mm_fusion_args_devicePfj15HIP_vector_typeIjLj3EEjjjS8_jjjS8_jjjj ; -- Begin function _ZL13mul_mat_vec_qIL9ggml_type17ELi7ELb0ELb0EEvPKvS2_PKi31ggml_cuda_mm_fusion_args_devicePfj15HIP_vector_typeIjLj3EEjjjS8_jjjS8_jjjj
	.p2align	8
	.type	_ZL13mul_mat_vec_qIL9ggml_type17ELi7ELb0ELb0EEvPKvS2_PKi31ggml_cuda_mm_fusion_args_devicePfj15HIP_vector_typeIjLj3EEjjjS8_jjjS8_jjjj,@function
_ZL13mul_mat_vec_qIL9ggml_type17ELi7ELb0ELb0EEvPKvS2_PKi31ggml_cuda_mm_fusion_args_devicePfj15HIP_vector_typeIjLj3EEjjjS8_jjjS8_jjjj: ; @_ZL13mul_mat_vec_qIL9ggml_type17ELi7ELb0ELb0EEvPKvS2_PKi31ggml_cuda_mm_fusion_args_devicePfj15HIP_vector_typeIjLj3EEjjjS8_jjjS8_jjjj
; %bb.0:
	s_clause 0x5
	s_load_b96 s[16:18], s[0:1], 0x80
	s_load_b32 s2, s[0:1], 0x40
	s_load_b128 s[4:7], s[0:1], 0x50
	s_load_b32 s23, s[0:1], 0x60
	s_load_b128 s[8:11], s[0:1], 0x68
	s_load_b32 s24, s[0:1], 0x78
	v_bfe_u32 v13, v0, 10, 10
	v_dual_mov_b32 v8, 0 :: v_dual_and_b32 v9, 0x3ff, v0
	v_dual_mov_b32 v7, 0 :: v_dual_mov_b32 v10, 0
	v_dual_mov_b32 v11, 0 :: v_dual_mov_b32 v12, 0
	s_delay_alu instid0(VALU_DEP_3)
	v_lshl_or_b32 v0, v13, 5, v9
	v_mov_b32_e32 v14, 0
	v_mov_b32_e32 v16, 0
	s_and_b32 s19, ttmp7, 0xffff
	s_lshr_b32 s20, ttmp7, 16
	v_lshrrev_b32_e32 v15, 3, v0
	s_mov_b32 s21, exec_lo
	s_wait_kmcnt 0x0
	s_lshr_b32 s22, s2, 8
	s_delay_alu instid0(VALU_DEP_1) | instid1(SALU_CYCLE_1)
	v_cmpx_gt_u32_e64 s22, v15
	s_cbranch_execz .LBB178_4
; %bb.1:
	v_lshl_add_u32 v0, v13, 5, v9
	s_mov_b32 s3, 0
	s_mul_i32 s26, s9, s19
	s_mov_b32 s27, s3
	v_dual_mov_b32 v7, 0 :: v_dual_lshlrev_b32 v2, 1, v9
	v_lshrrev_b32_e32 v0, 3, v0
	s_mul_u64 s[26:27], s[26:27], 36
	s_load_b128 s[12:15], s[0:1], 0x0
	s_mul_i32 s2, s17, s20
	v_and_b32_e32 v4, 14, v2
	v_mad_co_u64_u32 v[0:1], null, 0x120, v0, s[26:27]
	v_and_b32_e32 v17, 7, v9
	v_lshlrev_b32_e32 v6, 3, v15
	s_delay_alu instid0(VALU_DEP_4) | instskip(SKIP_3) | instid1(VALU_DEP_4)
	v_lshlrev_b32_e32 v8, 1, v4
	s_mul_hi_u32 s7, s7, s19
	s_mul_hi_u32 s11, s11, s20
	s_add_co_i32 s7, s19, s7
	v_mad_co_u64_u32 v[2:3], null, s2, 36, v[0:1]
	v_dual_mov_b32 v8, 0 :: v_dual_lshlrev_b32 v21, 1, v8
	s_add_co_i32 s9, s20, s11
	s_mul_u64 s[28:29], s[2:3], 36
	s_lshr_b32 s7, s7, s23
	s_lshr_b32 s11, s9, s24
	s_delay_alu instid0(VALU_DEP_2)
	v_mad_co_u64_u32 v[10:11], null, v17, 36, v[2:3]
	v_mad_co_u64_u32 v[2:3], null, s5, 6, v[6:7]
	;; [unrolled: 1-line block ×4, first 2 shown]
	s_mul_i32 s7, s7, s8
	s_wait_kmcnt 0x0
	s_add_nc_u64 s[8:9], s[14:15], s[28:29]
	v_add_co_u32 v5, vcc_lo, s14, v10
	s_add_nc_u64 s[8:9], s[8:9], s[26:27]
	v_add_co_ci_u32_e64 v10, null, s15, v11, vcc_lo
	v_mad_co_u64_u32 v[0:1], null, v17, 36, s[8:9]
	v_add_co_u32 v5, vcc_lo, v5, 16
	s_mul_i32 s4, s4, ttmp9
	v_add_nc_u32_e32 v18, s5, v6
	v_lshl_add_u32 v19, s5, 2, v6
	v_lshl_add_u32 v20, s5, 1, v6
	s_wait_alu 0xfffd
	v_add_co_ci_u32_e64 v6, null, 0, v10, vcc_lo
	v_dual_mov_b32 v10, 0 :: v_dual_mov_b32 v11, 0
	v_mov_b32_e32 v12, 0
	v_mov_b32_e32 v14, 0
	;; [unrolled: 1-line block ×3, first 2 shown]
	s_mul_i32 s11, s11, s16
	s_wait_alu 0xfffe
	s_add_co_i32 s7, s7, s4
	s_delay_alu instid0(SALU_CYCLE_1)
	s_add_co_i32 s7, s11, s7
.LBB178_2:                              ; =>This Inner Loop Header: Depth=1
	s_delay_alu instid0(SALU_CYCLE_1)
	v_add_nc_u32_e32 v22, s7, v15
	s_getpc_b64 s[4:5]
	s_wait_alu 0xfffe
	s_sext_i32_i16 s5, s5
	s_add_co_u32 s4, s4, _ZL10iq2xs_grid@rel32@lo+12
	s_wait_alu 0xfffe
	s_add_co_ci_u32 s5, s5, _ZL10iq2xs_grid@rel32@hi+24
	v_add_nc_u32_e32 v15, 4, v15
	v_mad_co_i64_i32 v[33:34], null, 0x4a, v22, s[12:13]
	s_delay_alu instid0(VALU_DEP_1) | instskip(SKIP_1) | instid1(VALU_DEP_2)
	v_add_co_u32 v22, vcc_lo, v33, v21
	s_wait_alu 0xfffd
	v_add_co_ci_u32_e64 v23, null, 0, v34, vcc_lo
	global_load_b64 v[27:28], v[22:23], off offset:2
	v_add_co_u32 v22, vcc_lo, v33, v17
	s_wait_alu 0xfffd
	v_add_co_ci_u32_e64 v23, null, 0, v34, vcc_lo
	global_load_u8 v32, v[22:23], off offset:66
	s_wait_loadcnt 0x1
	v_and_b32_e32 v22, 0x1ff, v27
	v_bfe_u32 v24, v27, 9, 7
	s_delay_alu instid0(VALU_DEP_2) | instskip(NEXT) | instid1(VALU_DEP_2)
	v_lshlrev_b32_e32 v22, 3, v22
	v_bcnt_u32_b32 v25, v24, 0
	global_load_b64 v[22:23], v22, s[4:5]
	v_and_b32_e32 v25, 1, v25
	s_delay_alu instid0(VALU_DEP_1) | instskip(NEXT) | instid1(VALU_DEP_1)
	v_lshl_or_b32 v24, v25, 7, v24
	v_mul_lo_u32 v24, 0x1010101, v24
	s_delay_alu instid0(VALU_DEP_1) | instskip(NEXT) | instid1(VALU_DEP_1)
	v_and_b32_e32 v25, 0x8040201, v24
	v_lshrrev_b16 v26, 8, v25
	v_lshrrev_b32_e32 v25, 24, v25
	s_delay_alu instid0(VALU_DEP_2) | instskip(NEXT) | instid1(VALU_DEP_2)
	v_cmp_ne_u16_e64 s2, 0, v26
	v_cmp_ne_u16_e32 vcc_lo, 0, v25
	v_lshrrev_b32_e32 v25, 18, v24
	v_bfe_i32 v26, v24, 0, 1
	s_wait_alu 0xf1ff
	v_cndmask_b32_e64 v30, 0, -1, s2
	s_wait_alu 0xfffd
	v_cndmask_b32_e64 v35, 0, -1, vcc_lo
	v_bfe_i32 v25, v25, 0, 1
	v_and_b32_e32 v29, 0xff, v26
	v_lshlrev_b16 v26, 8, v26
	v_lshlrev_b16 v30, 8, v30
	;; [unrolled: 1-line block ×3, first 2 shown]
	v_and_b32_e32 v31, 0xff, v25
	v_lshlrev_b16 v25, 8, v25
	s_delay_alu instid0(VALU_DEP_4) | instskip(NEXT) | instid1(VALU_DEP_3)
	v_or_b32_e32 v29, v29, v30
	v_or_b32_e32 v31, v31, v35
	s_delay_alu instid0(VALU_DEP_2) | instskip(NEXT) | instid1(VALU_DEP_2)
	v_and_b32_e32 v29, 0xffff, v29
	v_lshlrev_b32_e32 v31, 16, v31
	s_delay_alu instid0(VALU_DEP_1) | instskip(SKIP_1) | instid1(VALU_DEP_1)
	v_or_b32_e32 v29, v29, v31
	s_wait_loadcnt 0x0
	v_xor_b32_e32 v22, v22, v29
	s_delay_alu instid0(VALU_DEP_1) | instskip(SKIP_2) | instid1(VALU_DEP_2)
	v_lshrrev_b32_e32 v29, 16, v22
	v_and_b32_e32 v31, 0xffffff00, v22
	v_lshlrev_b16 v22, 8, v22
	v_sub_nc_i16 v30, v31, v30 clamp
	s_delay_alu instid0(VALU_DEP_2) | instskip(SKIP_2) | instid1(VALU_DEP_3)
	v_sub_nc_i16 v22, v22, v26 clamp
	v_and_b32_e32 v26, 0xffffff00, v29
	v_lshlrev_b16 v29, 8, v29
	v_perm_b32 v22, v22, v30, 0xc0c0105
	s_delay_alu instid0(VALU_DEP_3) | instskip(NEXT) | instid1(VALU_DEP_3)
	v_sub_nc_i16 v26, v26, v35 clamp
	v_sub_nc_i16 v25, v29, v25 clamp
	s_delay_alu instid0(VALU_DEP_1) | instskip(NEXT) | instid1(VALU_DEP_1)
	v_perm_b32 v25, v25, v26, 0xc0c0105
	v_lshl_or_b32 v22, v25, 16, v22
	v_and_b32_e32 v25, 0x80402010, v24
	v_lshrrev_b32_e32 v24, 22, v24
	s_delay_alu instid0(VALU_DEP_2) | instskip(SKIP_2) | instid1(VALU_DEP_4)
	v_lshrrev_b16 v26, 8, v25
	v_lshrrev_b32_e32 v29, 24, v25
	v_lshrrev_b16 v25, 4, v25
	v_bfe_i32 v24, v24, 0, 1
	s_delay_alu instid0(VALU_DEP_4) | instskip(NEXT) | instid1(VALU_DEP_4)
	v_cmp_ne_u16_e64 s2, 0, v26
	v_cmp_ne_u16_e32 vcc_lo, 0, v29
	s_delay_alu instid0(VALU_DEP_4) | instskip(NEXT) | instid1(VALU_DEP_4)
	v_bfe_i32 v25, v25, 0, 1
	v_and_b32_e32 v30, 0xff, v24
	v_lshlrev_b16 v24, 8, v24
	s_wait_alu 0xf1ff
	v_cndmask_b32_e64 v29, 0, -1, s2
	s_wait_alu 0xfffd
	v_cndmask_b32_e64 v31, 0, -1, vcc_lo
	v_and_b32_e32 v26, 0xff, v25
	v_lshlrev_b16 v25, 8, v25
	v_lshlrev_b16 v29, 8, v29
	s_delay_alu instid0(VALU_DEP_4) | instskip(NEXT) | instid1(VALU_DEP_2)
	v_lshlrev_b16 v31, 8, v31
	v_or_b32_e32 v26, v26, v29
	s_delay_alu instid0(VALU_DEP_2) | instskip(NEXT) | instid1(VALU_DEP_2)
	v_or_b32_e32 v30, v30, v31
	v_and_b32_e32 v26, 0xffff, v26
	s_delay_alu instid0(VALU_DEP_2) | instskip(NEXT) | instid1(VALU_DEP_1)
	v_lshlrev_b32_e32 v30, 16, v30
	v_or_b32_e32 v26, v26, v30
	s_delay_alu instid0(VALU_DEP_1) | instskip(NEXT) | instid1(VALU_DEP_1)
	v_xor_b32_e32 v23, v23, v26
	v_lshrrev_b32_e32 v26, 16, v23
	v_and_b32_e32 v30, 0xffffff00, v23
	v_lshlrev_b16 v23, 8, v23
	s_delay_alu instid0(VALU_DEP_2) | instskip(NEXT) | instid1(VALU_DEP_2)
	v_sub_nc_i16 v29, v30, v29 clamp
	v_sub_nc_i16 v23, v23, v25 clamp
	v_and_b32_e32 v25, 0xffffff00, v26
	v_lshlrev_b16 v26, 8, v26
	s_delay_alu instid0(VALU_DEP_3) | instskip(NEXT) | instid1(VALU_DEP_3)
	v_perm_b32 v23, v23, v29, 0xc0c0105
	v_sub_nc_i16 v25, v25, v31 clamp
	s_delay_alu instid0(VALU_DEP_3) | instskip(SKIP_1) | instid1(VALU_DEP_2)
	v_sub_nc_i16 v24, v26, v24 clamp
	v_lshrrev_b32_e32 v26, 25, v27
	v_perm_b32 v24, v24, v25, 0xc0c0105
	s_delay_alu instid0(VALU_DEP_2) | instskip(NEXT) | instid1(VALU_DEP_2)
	v_bcnt_u32_b32 v26, v26, 0
	v_lshl_or_b32 v23, v24, 16, v23
	v_lshrrev_b32_e32 v24, 13, v27
	s_delay_alu instid0(VALU_DEP_3) | instskip(NEXT) | instid1(VALU_DEP_2)
	v_and_b32_e32 v26, 1, v26
	v_and_b32_e32 v24, 0xff8, v24
	s_delay_alu instid0(VALU_DEP_2) | instskip(SKIP_2) | instid1(VALU_DEP_1)
	v_alignbit_b32 v26, v26, v27, 25
	global_load_b64 v[24:25], v24, s[4:5]
	v_mul_lo_u32 v26, 0x1010101, v26
	v_and_b32_e32 v27, 0x8040201, v26
	s_delay_alu instid0(VALU_DEP_1) | instskip(SKIP_1) | instid1(VALU_DEP_2)
	v_lshrrev_b16 v29, 8, v27
	v_lshrrev_b32_e32 v27, 24, v27
	v_cmp_ne_u16_e64 s2, 0, v29
	s_delay_alu instid0(VALU_DEP_2)
	v_cmp_ne_u16_e32 vcc_lo, 0, v27
	v_lshrrev_b32_e32 v27, 18, v26
	v_bfe_i32 v29, v26, 0, 1
	s_wait_alu 0xf1ff
	v_cndmask_b32_e64 v31, 0, -1, s2
	s_wait_alu 0xfffd
	v_cndmask_b32_e64 v36, 0, -1, vcc_lo
	v_bfe_i32 v27, v27, 0, 1
	v_and_b32_e32 v30, 0xff, v29
	v_lshlrev_b16 v29, 8, v29
	v_lshlrev_b16 v31, 8, v31
	;; [unrolled: 1-line block ×3, first 2 shown]
	v_and_b32_e32 v35, 0xff, v27
	v_lshlrev_b16 v27, 8, v27
	s_delay_alu instid0(VALU_DEP_4) | instskip(NEXT) | instid1(VALU_DEP_3)
	v_or_b32_e32 v30, v30, v31
	v_or_b32_e32 v35, v35, v36
	s_delay_alu instid0(VALU_DEP_2) | instskip(NEXT) | instid1(VALU_DEP_2)
	v_and_b32_e32 v30, 0xffff, v30
	v_lshlrev_b32_e32 v35, 16, v35
	s_delay_alu instid0(VALU_DEP_1) | instskip(SKIP_1) | instid1(VALU_DEP_1)
	v_or_b32_e32 v30, v30, v35
	s_wait_loadcnt 0x0
	v_xor_b32_e32 v24, v24, v30
	s_delay_alu instid0(VALU_DEP_1) | instskip(SKIP_2) | instid1(VALU_DEP_2)
	v_lshrrev_b32_e32 v30, 16, v24
	v_and_b32_e32 v35, 0xffffff00, v24
	v_lshlrev_b16 v24, 8, v24
	v_sub_nc_i16 v31, v35, v31 clamp
	s_delay_alu instid0(VALU_DEP_2) | instskip(SKIP_2) | instid1(VALU_DEP_3)
	v_sub_nc_i16 v24, v24, v29 clamp
	v_and_b32_e32 v29, 0xffffff00, v30
	v_lshlrev_b16 v30, 8, v30
	v_perm_b32 v24, v24, v31, 0xc0c0105
	s_delay_alu instid0(VALU_DEP_3) | instskip(NEXT) | instid1(VALU_DEP_3)
	v_sub_nc_i16 v29, v29, v36 clamp
	v_sub_nc_i16 v27, v30, v27 clamp
	s_delay_alu instid0(VALU_DEP_1) | instskip(NEXT) | instid1(VALU_DEP_1)
	v_perm_b32 v27, v27, v29, 0xc0c0105
	v_lshl_or_b32 v24, v27, 16, v24
	v_and_b32_e32 v27, 0x80402010, v26
	v_lshrrev_b32_e32 v26, 22, v26
	s_delay_alu instid0(VALU_DEP_2) | instskip(SKIP_2) | instid1(VALU_DEP_4)
	v_lshrrev_b16 v29, 8, v27
	v_lshrrev_b32_e32 v30, 24, v27
	v_lshrrev_b16 v27, 4, v27
	v_bfe_i32 v26, v26, 0, 1
	s_delay_alu instid0(VALU_DEP_4) | instskip(NEXT) | instid1(VALU_DEP_4)
	v_cmp_ne_u16_e64 s2, 0, v29
	v_cmp_ne_u16_e32 vcc_lo, 0, v30
	s_delay_alu instid0(VALU_DEP_4) | instskip(NEXT) | instid1(VALU_DEP_4)
	v_bfe_i32 v27, v27, 0, 1
	v_and_b32_e32 v31, 0xff, v26
	v_lshlrev_b16 v26, 8, v26
	s_wait_alu 0xf1ff
	v_cndmask_b32_e64 v30, 0, -1, s2
	s_wait_alu 0xfffd
	v_cndmask_b32_e64 v35, 0, -1, vcc_lo
	v_and_b32_e32 v29, 0xff, v27
	v_lshlrev_b16 v27, 8, v27
	v_lshlrev_b16 v30, 8, v30
	s_delay_alu instid0(VALU_DEP_4) | instskip(NEXT) | instid1(VALU_DEP_2)
	v_lshlrev_b16 v35, 8, v35
	v_or_b32_e32 v29, v29, v30
	s_delay_alu instid0(VALU_DEP_2) | instskip(NEXT) | instid1(VALU_DEP_2)
	v_or_b32_e32 v31, v31, v35
	v_and_b32_e32 v29, 0xffff, v29
	s_delay_alu instid0(VALU_DEP_2) | instskip(NEXT) | instid1(VALU_DEP_1)
	v_lshlrev_b32_e32 v31, 16, v31
	v_or_b32_e32 v29, v29, v31
	s_delay_alu instid0(VALU_DEP_1) | instskip(NEXT) | instid1(VALU_DEP_1)
	v_xor_b32_e32 v25, v25, v29
	v_lshrrev_b32_e32 v29, 16, v25
	v_and_b32_e32 v31, 0xffffff00, v25
	v_lshlrev_b16 v25, 8, v25
	s_delay_alu instid0(VALU_DEP_2) | instskip(NEXT) | instid1(VALU_DEP_2)
	v_sub_nc_i16 v30, v31, v30 clamp
	v_sub_nc_i16 v25, v25, v27 clamp
	v_and_b32_e32 v27, 0xffffff00, v29
	v_lshlrev_b16 v29, 8, v29
	s_delay_alu instid0(VALU_DEP_3) | instskip(NEXT) | instid1(VALU_DEP_3)
	v_perm_b32 v25, v25, v30, 0xc0c0105
	v_sub_nc_i16 v27, v27, v35 clamp
	s_delay_alu instid0(VALU_DEP_3) | instskip(SKIP_1) | instid1(VALU_DEP_2)
	v_sub_nc_i16 v26, v29, v26 clamp
	v_bfe_u32 v29, v28, 9, 7
	v_perm_b32 v26, v26, v27, 0xc0c0105
	s_delay_alu instid0(VALU_DEP_2) | instskip(NEXT) | instid1(VALU_DEP_2)
	v_bcnt_u32_b32 v30, v29, 0
	v_lshl_or_b32 v25, v26, 16, v25
	v_and_b32_e32 v26, 0x1ff, v28
	s_delay_alu instid0(VALU_DEP_3) | instskip(NEXT) | instid1(VALU_DEP_2)
	v_and_b32_e32 v30, 1, v30
	v_lshlrev_b32_e32 v26, 3, v26
	s_delay_alu instid0(VALU_DEP_2) | instskip(SKIP_2) | instid1(VALU_DEP_1)
	v_lshl_or_b32 v29, v30, 7, v29
	global_load_b64 v[26:27], v26, s[4:5]
	v_mul_lo_u32 v29, 0x1010101, v29
	v_and_b32_e32 v30, 0x8040201, v29
	s_delay_alu instid0(VALU_DEP_1) | instskip(SKIP_1) | instid1(VALU_DEP_2)
	v_lshrrev_b16 v31, 8, v30
	v_lshrrev_b32_e32 v30, 24, v30
	v_cmp_ne_u16_e64 s2, 0, v31
	s_delay_alu instid0(VALU_DEP_2)
	v_cmp_ne_u16_e32 vcc_lo, 0, v30
	v_lshrrev_b32_e32 v30, 18, v29
	v_bfe_i32 v31, v29, 0, 1
	s_wait_alu 0xf1ff
	v_cndmask_b32_e64 v36, 0, -1, s2
	s_wait_alu 0xfffd
	v_cndmask_b32_e64 v38, 0, -1, vcc_lo
	v_bfe_i32 v30, v30, 0, 1
	v_and_b32_e32 v35, 0xff, v31
	v_lshlrev_b16 v31, 8, v31
	v_lshlrev_b16 v36, 8, v36
	;; [unrolled: 1-line block ×3, first 2 shown]
	v_and_b32_e32 v37, 0xff, v30
	v_lshlrev_b16 v30, 8, v30
	s_delay_alu instid0(VALU_DEP_4) | instskip(NEXT) | instid1(VALU_DEP_3)
	v_or_b32_e32 v35, v35, v36
	v_or_b32_e32 v37, v37, v38
	s_delay_alu instid0(VALU_DEP_2) | instskip(NEXT) | instid1(VALU_DEP_2)
	v_and_b32_e32 v35, 0xffff, v35
	v_lshlrev_b32_e32 v37, 16, v37
	s_delay_alu instid0(VALU_DEP_1) | instskip(SKIP_1) | instid1(VALU_DEP_1)
	v_or_b32_e32 v35, v35, v37
	s_wait_loadcnt 0x0
	v_xor_b32_e32 v26, v26, v35
	s_delay_alu instid0(VALU_DEP_1) | instskip(SKIP_2) | instid1(VALU_DEP_2)
	v_lshrrev_b32_e32 v35, 16, v26
	v_and_b32_e32 v37, 0xffffff00, v26
	v_lshlrev_b16 v26, 8, v26
	v_sub_nc_i16 v36, v37, v36 clamp
	s_delay_alu instid0(VALU_DEP_2) | instskip(SKIP_2) | instid1(VALU_DEP_3)
	v_sub_nc_i16 v26, v26, v31 clamp
	v_and_b32_e32 v31, 0xffffff00, v35
	v_lshlrev_b16 v35, 8, v35
	v_perm_b32 v26, v26, v36, 0xc0c0105
	s_delay_alu instid0(VALU_DEP_3) | instskip(NEXT) | instid1(VALU_DEP_3)
	v_sub_nc_i16 v31, v31, v38 clamp
	v_sub_nc_i16 v30, v35, v30 clamp
	s_delay_alu instid0(VALU_DEP_1) | instskip(NEXT) | instid1(VALU_DEP_1)
	v_perm_b32 v30, v30, v31, 0xc0c0105
	v_lshl_or_b32 v26, v30, 16, v26
	v_and_b32_e32 v30, 0x80402010, v29
	v_lshrrev_b32_e32 v29, 22, v29
	s_delay_alu instid0(VALU_DEP_2) | instskip(SKIP_2) | instid1(VALU_DEP_4)
	v_lshrrev_b16 v31, 8, v30
	v_lshrrev_b32_e32 v35, 24, v30
	v_lshrrev_b16 v30, 4, v30
	v_bfe_i32 v29, v29, 0, 1
	s_delay_alu instid0(VALU_DEP_4) | instskip(NEXT) | instid1(VALU_DEP_4)
	v_cmp_ne_u16_e64 s2, 0, v31
	v_cmp_ne_u16_e32 vcc_lo, 0, v35
	s_delay_alu instid0(VALU_DEP_4) | instskip(NEXT) | instid1(VALU_DEP_4)
	v_bfe_i32 v30, v30, 0, 1
	v_and_b32_e32 v36, 0xff, v29
	v_lshlrev_b16 v29, 8, v29
	s_wait_alu 0xf1ff
	v_cndmask_b32_e64 v35, 0, -1, s2
	s_wait_alu 0xfffd
	v_cndmask_b32_e64 v37, 0, -1, vcc_lo
	v_and_b32_e32 v31, 0xff, v30
	v_lshlrev_b16 v30, 8, v30
	v_lshlrev_b16 v35, 8, v35
	s_delay_alu instid0(VALU_DEP_4) | instskip(NEXT) | instid1(VALU_DEP_2)
	v_lshlrev_b16 v37, 8, v37
	v_or_b32_e32 v31, v31, v35
	s_delay_alu instid0(VALU_DEP_2) | instskip(NEXT) | instid1(VALU_DEP_2)
	v_or_b32_e32 v36, v36, v37
	v_and_b32_e32 v31, 0xffff, v31
	s_delay_alu instid0(VALU_DEP_2) | instskip(NEXT) | instid1(VALU_DEP_1)
	v_lshlrev_b32_e32 v36, 16, v36
	v_or_b32_e32 v31, v31, v36
	s_delay_alu instid0(VALU_DEP_1) | instskip(NEXT) | instid1(VALU_DEP_1)
	v_xor_b32_e32 v27, v27, v31
	v_lshrrev_b32_e32 v31, 16, v27
	v_and_b32_e32 v36, 0xffffff00, v27
	v_lshlrev_b16 v27, 8, v27
	s_delay_alu instid0(VALU_DEP_2) | instskip(NEXT) | instid1(VALU_DEP_2)
	v_sub_nc_i16 v35, v36, v35 clamp
	v_sub_nc_i16 v27, v27, v30 clamp
	v_and_b32_e32 v30, 0xffffff00, v31
	v_lshlrev_b16 v31, 8, v31
	s_delay_alu instid0(VALU_DEP_3) | instskip(NEXT) | instid1(VALU_DEP_3)
	v_perm_b32 v27, v27, v35, 0xc0c0105
	v_sub_nc_i16 v30, v30, v37 clamp
	s_delay_alu instid0(VALU_DEP_3) | instskip(SKIP_1) | instid1(VALU_DEP_2)
	v_sub_nc_i16 v29, v31, v29 clamp
	v_lshrrev_b32_e32 v31, 25, v28
	v_perm_b32 v29, v29, v30, 0xc0c0105
	s_delay_alu instid0(VALU_DEP_2) | instskip(NEXT) | instid1(VALU_DEP_2)
	v_bcnt_u32_b32 v31, v31, 0
	v_lshl_or_b32 v27, v29, 16, v27
	v_lshrrev_b32_e32 v29, 13, v28
	s_delay_alu instid0(VALU_DEP_3) | instskip(NEXT) | instid1(VALU_DEP_2)
	v_and_b32_e32 v31, 1, v31
	v_and_b32_e32 v29, 0xff8, v29
	s_delay_alu instid0(VALU_DEP_2) | instskip(SKIP_2) | instid1(VALU_DEP_1)
	v_alignbit_b32 v28, v31, v28, 25
	global_load_b64 v[29:30], v29, s[4:5]
	v_mul_lo_u32 v31, 0x1010101, v28
	v_and_b32_e32 v28, 0x8040201, v31
	s_delay_alu instid0(VALU_DEP_1) | instskip(SKIP_1) | instid1(VALU_DEP_2)
	v_lshrrev_b16 v35, 8, v28
	v_lshrrev_b32_e32 v28, 24, v28
	v_cmp_ne_u16_e64 s2, 0, v35
	s_delay_alu instid0(VALU_DEP_2)
	v_cmp_ne_u16_e32 vcc_lo, 0, v28
	v_lshrrev_b32_e32 v28, 18, v31
	v_bfe_i32 v35, v31, 0, 1
	s_wait_alu 0xf1ff
	v_cndmask_b32_e64 v37, 0, -1, s2
	s_wait_alu 0xfffd
	v_cndmask_b32_e64 v39, 0, -1, vcc_lo
	v_bfe_i32 v28, v28, 0, 1
	v_and_b32_e32 v36, 0xff, v35
	v_lshlrev_b16 v35, 8, v35
	v_lshlrev_b16 v37, 8, v37
	;; [unrolled: 1-line block ×3, first 2 shown]
	v_and_b32_e32 v38, 0xff, v28
	v_lshlrev_b16 v28, 8, v28
	s_delay_alu instid0(VALU_DEP_4) | instskip(NEXT) | instid1(VALU_DEP_3)
	v_or_b32_e32 v36, v36, v37
	v_or_b32_e32 v38, v38, v39
	s_delay_alu instid0(VALU_DEP_2) | instskip(NEXT) | instid1(VALU_DEP_2)
	v_and_b32_e32 v36, 0xffff, v36
	v_lshlrev_b32_e32 v38, 16, v38
	s_delay_alu instid0(VALU_DEP_1) | instskip(SKIP_1) | instid1(VALU_DEP_1)
	v_or_b32_e32 v36, v36, v38
	s_wait_loadcnt 0x0
	v_xor_b32_e32 v29, v29, v36
	s_delay_alu instid0(VALU_DEP_1) | instskip(SKIP_2) | instid1(VALU_DEP_2)
	v_lshrrev_b32_e32 v36, 16, v29
	v_and_b32_e32 v38, 0xffffff00, v29
	v_lshlrev_b16 v29, 8, v29
	v_sub_nc_i16 v37, v38, v37 clamp
	s_delay_alu instid0(VALU_DEP_2) | instskip(SKIP_2) | instid1(VALU_DEP_3)
	v_sub_nc_i16 v29, v29, v35 clamp
	v_and_b32_e32 v35, 0xffffff00, v36
	v_lshlrev_b16 v36, 8, v36
	v_perm_b32 v29, v29, v37, 0xc0c0105
	s_delay_alu instid0(VALU_DEP_3) | instskip(NEXT) | instid1(VALU_DEP_3)
	v_sub_nc_i16 v35, v35, v39 clamp
	v_sub_nc_i16 v28, v36, v28 clamp
	s_delay_alu instid0(VALU_DEP_1) | instskip(NEXT) | instid1(VALU_DEP_1)
	v_perm_b32 v28, v28, v35, 0xc0c0105
	v_lshl_or_b32 v28, v28, 16, v29
	v_and_b32_e32 v29, 0x80402010, v31
	v_lshrrev_b32_e32 v31, 22, v31
	s_delay_alu instid0(VALU_DEP_2) | instskip(SKIP_2) | instid1(VALU_DEP_4)
	v_lshrrev_b16 v35, 8, v29
	v_lshrrev_b32_e32 v36, 24, v29
	v_lshrrev_b16 v29, 4, v29
	v_bfe_i32 v31, v31, 0, 1
	s_delay_alu instid0(VALU_DEP_4) | instskip(NEXT) | instid1(VALU_DEP_4)
	v_cmp_ne_u16_e64 s2, 0, v35
	v_cmp_ne_u16_e32 vcc_lo, 0, v36
	s_delay_alu instid0(VALU_DEP_4) | instskip(NEXT) | instid1(VALU_DEP_4)
	v_bfe_i32 v29, v29, 0, 1
	v_and_b32_e32 v37, 0xff, v31
	v_lshlrev_b16 v31, 8, v31
	s_wait_alu 0xf1ff
	v_cndmask_b32_e64 v36, 0, -1, s2
	s_wait_alu 0xfffd
	v_cndmask_b32_e64 v38, 0, -1, vcc_lo
	v_and_b32_e32 v35, 0xff, v29
	v_lshlrev_b16 v29, 8, v29
	v_lshlrev_b16 v36, 8, v36
	s_delay_alu instid0(VALU_DEP_4) | instskip(NEXT) | instid1(VALU_DEP_2)
	v_lshlrev_b16 v38, 8, v38
	v_or_b32_e32 v35, v35, v36
	s_delay_alu instid0(VALU_DEP_2) | instskip(NEXT) | instid1(VALU_DEP_2)
	v_or_b32_e32 v37, v37, v38
	v_and_b32_e32 v35, 0xffff, v35
	s_delay_alu instid0(VALU_DEP_2) | instskip(NEXT) | instid1(VALU_DEP_1)
	v_lshlrev_b32_e32 v37, 16, v37
	v_or_b32_e32 v35, v35, v37
	s_delay_alu instid0(VALU_DEP_1) | instskip(NEXT) | instid1(VALU_DEP_1)
	v_xor_b32_e32 v30, v30, v35
	v_lshrrev_b32_e32 v35, 16, v30
	v_and_b32_e32 v37, 0xffffff00, v30
	v_lshlrev_b16 v30, 8, v30
	s_delay_alu instid0(VALU_DEP_2) | instskip(NEXT) | instid1(VALU_DEP_2)
	v_sub_nc_i16 v36, v37, v36 clamp
	v_sub_nc_i16 v29, v30, v29 clamp
	v_and_b32_e32 v30, 0xffffff00, v35
	v_lshlrev_b16 v35, 8, v35
	s_delay_alu instid0(VALU_DEP_3) | instskip(NEXT) | instid1(VALU_DEP_3)
	v_perm_b32 v29, v29, v36, 0xc0c0105
	v_sub_nc_i16 v30, v30, v38 clamp
	s_delay_alu instid0(VALU_DEP_3) | instskip(NEXT) | instid1(VALU_DEP_1)
	v_sub_nc_i16 v31, v35, v31 clamp
	v_perm_b32 v30, v31, v30, 0xc0c0105
	s_delay_alu instid0(VALU_DEP_1)
	v_lshl_or_b32 v31, v30, 16, v29
	global_load_u16 v29, v[33:34], off
	s_clause 0x2
	global_load_b128 v[33:36], v[5:6], off offset:-16
	global_load_b32 v41, v[5:6], off offset:16
	global_load_b128 v[37:40], v[5:6], off
	v_lshrrev_b32_e32 v30, 4, v32
	v_and_b32_e32 v32, 15, v32
	v_add_co_u32 v5, vcc_lo, 0x480, v5
	s_wait_alu 0xfffd
	v_add_co_ci_u32_e64 v6, null, 0, v6, vcc_lo
	v_cmp_le_u32_e32 vcc_lo, s22, v15
	s_or_b32 s3, vcc_lo, s3
	s_wait_loadcnt 0x2
	v_dot4_i32_iu8 v34, v22, v34, 0 neg_lo:[1,1,0]
	v_cvt_f32_f16_e32 v29, v29
	v_cvt_f32_f16_e32 v33, v33
	s_delay_alu instid0(VALU_DEP_3) | instskip(SKIP_2) | instid1(VALU_DEP_3)
	v_dot4_i32_iu8 v34, v23, v35, v34 neg_lo:[1,1,0]
	s_wait_loadcnt 0x0
	v_dot4_i32_iu8 v35, v26, v38, 0 neg_lo:[1,1,0]
	v_mul_f32_e32 v33, v29, v33
	s_delay_alu instid0(VALU_DEP_3) | instskip(NEXT) | instid1(VALU_DEP_3)
	v_dot4_i32_iu8 v34, v24, v36, v34 neg_lo:[1,1,0]
	v_dot4_i32_iu8 v35, v27, v39, v35 neg_lo:[1,1,0]
	s_delay_alu instid0(VALU_DEP_2) | instskip(NEXT) | instid1(VALU_DEP_2)
	v_dot4_i32_iu8 v34, v25, v37, v34 neg_lo:[1,1,0]
	v_dot4_i32_iu8 v35, v28, v40, v35 neg_lo:[1,1,0]
	s_delay_alu instid0(VALU_DEP_2) | instskip(NEXT) | instid1(VALU_DEP_2)
	v_mul_lo_u32 v36, v34, v32
	v_dot4_i32_iu8 v35, v31, v41, v35 neg_lo:[1,1,0]
	s_delay_alu instid0(VALU_DEP_1) | instskip(SKIP_1) | instid1(VALU_DEP_2)
	v_add_nc_u32_e32 v34, v35, v34
	v_mul_lo_u32 v37, v35, v30
	v_lshrrev_b32_e32 v35, 31, v34
	s_delay_alu instid0(VALU_DEP_1) | instskip(NEXT) | instid1(VALU_DEP_1)
	v_add_nc_u32_e32 v34, v34, v35
	v_ashrrev_i32_e32 v34, 1, v34
	s_delay_alu instid0(VALU_DEP_1) | instskip(SKIP_2) | instid1(VALU_DEP_3)
	v_add3_u32 v34, v37, v36, v34
	v_mad_co_u64_u32 v[37:38], null, v18, 36, v[0:1]
	v_add_nc_u32_e32 v18, 32, v18
	v_ashrrev_i32_e32 v35, 31, v34
	s_delay_alu instid0(VALU_DEP_1) | instskip(NEXT) | instid1(VALU_DEP_1)
	v_lshrrev_b32_e32 v35, 30, v35
	v_add_nc_u32_e32 v34, v34, v35
	s_delay_alu instid0(VALU_DEP_1) | instskip(NEXT) | instid1(VALU_DEP_1)
	v_ashrrev_i32_e32 v34, 2, v34
	v_cvt_f32_i32_e32 v34, v34
	s_delay_alu instid0(VALU_DEP_1)
	v_fmac_f32_e32 v16, v33, v34
	s_clause 0x2
	global_load_b128 v[33:36], v[37:38], off
	global_load_b32 v41, v[37:38], off offset:32
	global_load_b128 v[37:40], v[37:38], off offset:16
	s_wait_loadcnt 0x2
	v_dot4_i32_iu8 v34, v22, v34, 0 neg_lo:[1,1,0]
	v_cvt_f32_f16_e32 v33, v33
	s_delay_alu instid0(VALU_DEP_2) | instskip(SKIP_2) | instid1(VALU_DEP_3)
	v_dot4_i32_iu8 v34, v23, v35, v34 neg_lo:[1,1,0]
	s_wait_loadcnt 0x0
	v_dot4_i32_iu8 v35, v26, v38, 0 neg_lo:[1,1,0]
	v_mul_f32_e32 v33, v29, v33
	s_delay_alu instid0(VALU_DEP_3) | instskip(NEXT) | instid1(VALU_DEP_3)
	v_dot4_i32_iu8 v34, v24, v36, v34 neg_lo:[1,1,0]
	v_dot4_i32_iu8 v35, v27, v39, v35 neg_lo:[1,1,0]
	s_delay_alu instid0(VALU_DEP_2) | instskip(NEXT) | instid1(VALU_DEP_2)
	v_dot4_i32_iu8 v34, v25, v37, v34 neg_lo:[1,1,0]
	v_dot4_i32_iu8 v35, v28, v40, v35 neg_lo:[1,1,0]
	s_delay_alu instid0(VALU_DEP_2) | instskip(NEXT) | instid1(VALU_DEP_2)
	v_mul_lo_u32 v36, v34, v32
	v_dot4_i32_iu8 v35, v31, v41, v35 neg_lo:[1,1,0]
	s_delay_alu instid0(VALU_DEP_1) | instskip(SKIP_1) | instid1(VALU_DEP_2)
	v_add_nc_u32_e32 v34, v35, v34
	v_mul_lo_u32 v37, v35, v30
	v_lshrrev_b32_e32 v35, 31, v34
	s_delay_alu instid0(VALU_DEP_1) | instskip(NEXT) | instid1(VALU_DEP_1)
	v_add_nc_u32_e32 v34, v34, v35
	v_ashrrev_i32_e32 v34, 1, v34
	s_delay_alu instid0(VALU_DEP_1) | instskip(SKIP_2) | instid1(VALU_DEP_3)
	v_add3_u32 v34, v37, v36, v34
	v_mad_co_u64_u32 v[37:38], null, v20, 36, v[0:1]
	v_add_nc_u32_e32 v20, 32, v20
	v_ashrrev_i32_e32 v35, 31, v34
	s_delay_alu instid0(VALU_DEP_1) | instskip(NEXT) | instid1(VALU_DEP_1)
	v_lshrrev_b32_e32 v35, 30, v35
	v_add_nc_u32_e32 v34, v34, v35
	s_delay_alu instid0(VALU_DEP_1) | instskip(NEXT) | instid1(VALU_DEP_1)
	v_ashrrev_i32_e32 v34, 2, v34
	v_cvt_f32_i32_e32 v34, v34
	s_delay_alu instid0(VALU_DEP_1)
	v_fmac_f32_e32 v14, v33, v34
	s_clause 0x2
	global_load_b128 v[33:36], v[37:38], off
	global_load_b32 v41, v[37:38], off offset:32
	global_load_b128 v[37:40], v[37:38], off offset:16
	s_wait_loadcnt 0x2
	v_dot4_i32_iu8 v34, v22, v34, 0 neg_lo:[1,1,0]
	v_cvt_f32_f16_e32 v33, v33
	s_delay_alu instid0(VALU_DEP_2) | instskip(SKIP_2) | instid1(VALU_DEP_3)
	;; [unrolled: 41-line block ×5, first 2 shown]
	v_dot4_i32_iu8 v34, v23, v35, v34 neg_lo:[1,1,0]
	s_wait_loadcnt 0x0
	v_dot4_i32_iu8 v35, v26, v38, 0 neg_lo:[1,1,0]
	v_mul_f32_e32 v33, v29, v33
	s_delay_alu instid0(VALU_DEP_3) | instskip(NEXT) | instid1(VALU_DEP_3)
	v_dot4_i32_iu8 v34, v24, v36, v34 neg_lo:[1,1,0]
	v_dot4_i32_iu8 v35, v27, v39, v35 neg_lo:[1,1,0]
	s_delay_alu instid0(VALU_DEP_2) | instskip(NEXT) | instid1(VALU_DEP_2)
	v_dot4_i32_iu8 v34, v25, v37, v34 neg_lo:[1,1,0]
	v_dot4_i32_iu8 v35, v28, v40, v35 neg_lo:[1,1,0]
	s_delay_alu instid0(VALU_DEP_2) | instskip(NEXT) | instid1(VALU_DEP_2)
	v_mul_lo_u32 v36, v34, v32
	v_dot4_i32_iu8 v35, v31, v41, v35 neg_lo:[1,1,0]
	s_delay_alu instid0(VALU_DEP_1) | instskip(SKIP_1) | instid1(VALU_DEP_2)
	v_add_nc_u32_e32 v34, v35, v34
	v_mul_lo_u32 v37, v35, v30
	v_lshrrev_b32_e32 v35, 31, v34
	s_delay_alu instid0(VALU_DEP_1) | instskip(NEXT) | instid1(VALU_DEP_1)
	v_add_nc_u32_e32 v34, v34, v35
	v_ashrrev_i32_e32 v34, 1, v34
	s_delay_alu instid0(VALU_DEP_1) | instskip(SKIP_2) | instid1(VALU_DEP_3)
	v_add3_u32 v34, v37, v36, v34
	v_mad_co_u64_u32 v[37:38], null, v2, 36, v[0:1]
	v_add_nc_u32_e32 v2, 32, v2
	v_ashrrev_i32_e32 v35, 31, v34
	s_delay_alu instid0(VALU_DEP_1) | instskip(NEXT) | instid1(VALU_DEP_1)
	v_lshrrev_b32_e32 v35, 30, v35
	v_add_nc_u32_e32 v34, v34, v35
	s_delay_alu instid0(VALU_DEP_1) | instskip(NEXT) | instid1(VALU_DEP_1)
	v_ashrrev_i32_e32 v34, 2, v34
	v_cvt_f32_i32_e32 v34, v34
	s_delay_alu instid0(VALU_DEP_1)
	v_fmac_f32_e32 v8, v33, v34
	s_clause 0x2
	global_load_b128 v[33:36], v[37:38], off
	global_load_b32 v41, v[37:38], off offset:32
	global_load_b128 v[37:40], v[37:38], off offset:16
	s_wait_loadcnt 0x2
	v_dot4_i32_iu8 v22, v22, v34, 0 neg_lo:[1,1,0]
	s_delay_alu instid0(VALU_DEP_1) | instskip(SKIP_2) | instid1(VALU_DEP_2)
	v_dot4_i32_iu8 v22, v23, v35, v22 neg_lo:[1,1,0]
	s_wait_loadcnt 0x0
	v_dot4_i32_iu8 v23, v26, v38, 0 neg_lo:[1,1,0]
	v_dot4_i32_iu8 v22, v24, v36, v22 neg_lo:[1,1,0]
	s_delay_alu instid0(VALU_DEP_2) | instskip(NEXT) | instid1(VALU_DEP_2)
	v_dot4_i32_iu8 v23, v27, v39, v23 neg_lo:[1,1,0]
	v_dot4_i32_iu8 v22, v25, v37, v22 neg_lo:[1,1,0]
	s_delay_alu instid0(VALU_DEP_2) | instskip(NEXT) | instid1(VALU_DEP_2)
	v_dot4_i32_iu8 v23, v28, v40, v23 neg_lo:[1,1,0]
	v_mul_lo_u32 v24, v22, v32
	s_delay_alu instid0(VALU_DEP_2) | instskip(NEXT) | instid1(VALU_DEP_1)
	v_dot4_i32_iu8 v23, v31, v41, v23 neg_lo:[1,1,0]
	v_add_nc_u32_e32 v22, v23, v22
	v_mul_lo_u32 v25, v23, v30
	s_delay_alu instid0(VALU_DEP_2) | instskip(NEXT) | instid1(VALU_DEP_1)
	v_lshrrev_b32_e32 v23, 31, v22
	v_add_nc_u32_e32 v22, v22, v23
	s_delay_alu instid0(VALU_DEP_1) | instskip(NEXT) | instid1(VALU_DEP_1)
	v_ashrrev_i32_e32 v22, 1, v22
	v_add3_u32 v22, v25, v24, v22
	s_delay_alu instid0(VALU_DEP_1) | instskip(NEXT) | instid1(VALU_DEP_1)
	v_ashrrev_i32_e32 v23, 31, v22
	v_lshrrev_b32_e32 v23, 30, v23
	s_delay_alu instid0(VALU_DEP_1) | instskip(SKIP_1) | instid1(VALU_DEP_2)
	v_add_nc_u32_e32 v22, v22, v23
	v_cvt_f32_f16_e32 v23, v33
	v_ashrrev_i32_e32 v22, 2, v22
	s_delay_alu instid0(VALU_DEP_2) | instskip(NEXT) | instid1(VALU_DEP_2)
	v_mul_f32_e32 v23, v29, v23
	v_cvt_f32_i32_e32 v22, v22
	s_delay_alu instid0(VALU_DEP_1)
	v_fmac_f32_e32 v7, v23, v22
	s_wait_alu 0xfffe
	s_and_not1_b32 exec_lo, exec_lo, s3
	s_cbranch_execnz .LBB178_2
; %bb.3:
	s_or_b32 exec_lo, exec_lo, s3
.LBB178_4:
	s_delay_alu instid0(SALU_CYCLE_1)
	s_or_b32 exec_lo, exec_lo, s21
	s_mov_b32 s3, 0
	; wave barrier
	global_inv scope:SCOPE_SE
	s_mov_b32 s2, exec_lo
	v_cmpx_eq_u32_e32 0, v13
	s_cbranch_execz .LBB178_19
; %bb.5:
	v_mbcnt_lo_u32_b32 v4, -1, 0
	s_load_b64 s[0:1], s[0:1], 0x38
	s_mul_i32 s2, s10, s19
	s_mul_i32 s4, s18, s20
	s_wait_alu 0xfffe
	s_add_co_i32 s2, s2, ttmp9
	v_xor_b32_e32 v0, 16, v4
	v_xor_b32_e32 v1, 8, v4
	v_xor_b32_e32 v13, 1, v4
	s_wait_alu 0xfffe
	s_add_co_i32 s2, s2, s4
	s_wait_alu 0xfffe
	s_lshl_b64 s[2:3], s[2:3], 2
	v_cmp_gt_i32_e32 vcc_lo, 32, v0
	s_wait_alu 0xfffd
	v_cndmask_b32_e32 v0, v4, v0, vcc_lo
	v_cmp_gt_i32_e32 vcc_lo, 32, v1
	s_wait_kmcnt 0x0
	s_wait_alu 0xfffe
	s_add_nc_u64 s[0:1], s[0:1], s[2:3]
	s_wait_alu 0xfffd
	v_cndmask_b32_e32 v1, v4, v1, vcc_lo
	s_delay_alu instid0(VALU_DEP_1)
	v_lshlrev_b32_e32 v1, 2, v1
	v_lshlrev_b32_e32 v0, 2, v0
	ds_bpermute_b32 v2, v0, v16
	s_wait_dscnt 0x0
	v_add_f32_e32 v3, v16, v2
	v_xor_b32_e32 v2, 4, v4
	ds_bpermute_b32 v5, v1, v3
	v_cmp_gt_i32_e32 vcc_lo, 32, v2
	s_wait_dscnt 0x0
	s_wait_alu 0xfffd
	v_dual_cndmask_b32 v2, v4, v2 :: v_dual_add_f32 v5, v3, v5
	s_delay_alu instid0(VALU_DEP_1)
	v_lshlrev_b32_e32 v2, 2, v2
	v_xor_b32_e32 v3, 2, v4
	ds_bpermute_b32 v6, v2, v5
	v_cmp_gt_i32_e32 vcc_lo, 32, v3
	s_wait_alu 0xfffd
	v_cndmask_b32_e32 v3, v4, v3, vcc_lo
	v_cmp_gt_i32_e32 vcc_lo, 32, v13
	s_wait_alu 0xfffd
	v_cndmask_b32_e32 v4, v4, v13, vcc_lo
	v_cmp_eq_u32_e32 vcc_lo, 0, v9
	s_delay_alu instid0(VALU_DEP_2)
	v_lshlrev_b32_e32 v4, 2, v4
	v_lshlrev_b32_e32 v3, 2, v3
	s_wait_dscnt 0x0
	v_add_f32_e32 v5, v5, v6
	ds_bpermute_b32 v6, v3, v5
	s_wait_dscnt 0x0
	v_add_f32_e32 v5, v5, v6
	ds_bpermute_b32 v6, v4, v5
	s_and_saveexec_b32 s2, vcc_lo
	s_cbranch_execz .LBB178_7
; %bb.6:
	s_wait_dscnt 0x0
	v_dual_add_f32 v5, v5, v6 :: v_dual_mov_b32 v6, 0
	global_store_b32 v6, v5, s[0:1]
.LBB178_7:
	s_wait_alu 0xfffe
	s_or_b32 exec_lo, exec_lo, s2
	ds_bpermute_b32 v5, v0, v14
	s_wait_dscnt 0x0
	v_add_f32_e32 v5, v14, v5
	ds_bpermute_b32 v6, v1, v5
	s_wait_dscnt 0x0
	v_add_f32_e32 v5, v5, v6
	;; [unrolled: 3-line block ×4, first 2 shown]
	ds_bpermute_b32 v6, v4, v5
	s_and_saveexec_b32 s2, vcc_lo
	s_cbranch_execz .LBB178_9
; %bb.8:
	s_mov_b32 s7, 0
	s_wait_dscnt 0x0
	v_dual_add_f32 v5, v5, v6 :: v_dual_mov_b32 v6, 0
	s_wait_alu 0xfffe
	s_lshl_b64 s[4:5], s[6:7], 2
	s_wait_alu 0xfffe
	s_add_nc_u64 s[4:5], s[0:1], s[4:5]
	global_store_b32 v6, v5, s[4:5]
.LBB178_9:
	s_wait_alu 0xfffe
	s_or_b32 exec_lo, exec_lo, s2
	ds_bpermute_b32 v5, v0, v12
	s_wait_dscnt 0x0
	v_add_f32_e32 v5, v12, v5
	ds_bpermute_b32 v6, v1, v5
	s_wait_dscnt 0x0
	v_add_f32_e32 v5, v5, v6
	;; [unrolled: 3-line block ×4, first 2 shown]
	ds_bpermute_b32 v6, v4, v5
	s_and_saveexec_b32 s2, vcc_lo
	s_cbranch_execz .LBB178_11
; %bb.10:
	s_lshl_b32 s4, s6, 1
	s_mov_b32 s5, 0
	s_wait_dscnt 0x0
	v_dual_add_f32 v5, v5, v6 :: v_dual_mov_b32 v6, 0
	s_wait_alu 0xfffe
	s_lshl_b64 s[4:5], s[4:5], 2
	s_wait_alu 0xfffe
	s_add_nc_u64 s[4:5], s[0:1], s[4:5]
	global_store_b32 v6, v5, s[4:5]
.LBB178_11:
	s_wait_alu 0xfffe
	s_or_b32 exec_lo, exec_lo, s2
	ds_bpermute_b32 v5, v0, v11
	s_wait_dscnt 0x0
	v_add_f32_e32 v5, v11, v5
	ds_bpermute_b32 v6, v1, v5
	s_wait_dscnt 0x0
	v_add_f32_e32 v5, v5, v6
	;; [unrolled: 3-line block ×4, first 2 shown]
	ds_bpermute_b32 v6, v4, v5
	s_and_saveexec_b32 s2, vcc_lo
	s_cbranch_execz .LBB178_13
; %bb.12:
	s_mul_i32 s4, s6, 3
	s_mov_b32 s5, 0
	s_wait_dscnt 0x0
	v_dual_add_f32 v5, v5, v6 :: v_dual_mov_b32 v6, 0
	s_wait_alu 0xfffe
	s_lshl_b64 s[4:5], s[4:5], 2
	s_wait_alu 0xfffe
	s_add_nc_u64 s[4:5], s[0:1], s[4:5]
	global_store_b32 v6, v5, s[4:5]
.LBB178_13:
	s_wait_alu 0xfffe
	s_or_b32 exec_lo, exec_lo, s2
	ds_bpermute_b32 v5, v0, v10
	s_wait_dscnt 0x0
	v_add_f32_e32 v5, v10, v5
	ds_bpermute_b32 v6, v1, v5
	s_wait_dscnt 0x0
	v_add_f32_e32 v5, v5, v6
	;; [unrolled: 3-line block ×4, first 2 shown]
	ds_bpermute_b32 v6, v4, v5
	s_and_saveexec_b32 s2, vcc_lo
	s_cbranch_execz .LBB178_15
; %bb.14:
	s_lshl_b32 s4, s6, 2
	s_mov_b32 s5, 0
	s_wait_dscnt 0x0
	v_dual_add_f32 v5, v5, v6 :: v_dual_mov_b32 v6, 0
	s_wait_alu 0xfffe
	s_lshl_b64 s[4:5], s[4:5], 2
	s_wait_alu 0xfffe
	s_add_nc_u64 s[4:5], s[0:1], s[4:5]
	global_store_b32 v6, v5, s[4:5]
.LBB178_15:
	s_wait_alu 0xfffe
	s_or_b32 exec_lo, exec_lo, s2
	ds_bpermute_b32 v5, v0, v8
	s_wait_dscnt 0x0
	v_add_f32_e32 v5, v8, v5
	ds_bpermute_b32 v6, v1, v5
	s_wait_dscnt 0x0
	v_add_f32_e32 v5, v5, v6
	;; [unrolled: 3-line block ×4, first 2 shown]
	ds_bpermute_b32 v6, v4, v5
	s_and_saveexec_b32 s2, vcc_lo
	s_cbranch_execz .LBB178_17
; %bb.16:
	s_mul_i32 s4, s6, 5
	s_mov_b32 s5, 0
	s_wait_dscnt 0x0
	v_dual_add_f32 v5, v5, v6 :: v_dual_mov_b32 v6, 0
	s_wait_alu 0xfffe
	s_lshl_b64 s[4:5], s[4:5], 2
	s_wait_alu 0xfffe
	s_add_nc_u64 s[4:5], s[0:1], s[4:5]
	global_store_b32 v6, v5, s[4:5]
.LBB178_17:
	s_wait_alu 0xfffe
	s_or_b32 exec_lo, exec_lo, s2
	ds_bpermute_b32 v0, v0, v7
	s_wait_dscnt 0x0
	v_add_f32_e32 v0, v7, v0
	ds_bpermute_b32 v1, v1, v0
	s_wait_dscnt 0x0
	v_add_f32_e32 v0, v0, v1
	;; [unrolled: 3-line block ×4, first 2 shown]
	ds_bpermute_b32 v1, v4, v0
	s_and_b32 exec_lo, exec_lo, vcc_lo
	s_cbranch_execz .LBB178_19
; %bb.18:
	s_mul_i32 s2, s6, 6
	s_mov_b32 s3, 0
	s_wait_dscnt 0x0
	v_dual_add_f32 v0, v0, v1 :: v_dual_mov_b32 v1, 0
	s_wait_alu 0xfffe
	s_lshl_b64 s[2:3], s[2:3], 2
	s_wait_alu 0xfffe
	s_add_nc_u64 s[0:1], s[0:1], s[2:3]
	global_store_b32 v1, v0, s[0:1]
.LBB178_19:
	s_endpgm
	.section	.rodata,"a",@progbits
	.p2align	6, 0x0
	.amdhsa_kernel _ZL13mul_mat_vec_qIL9ggml_type17ELi7ELb0ELb0EEvPKvS2_PKi31ggml_cuda_mm_fusion_args_devicePfj15HIP_vector_typeIjLj3EEjjjS8_jjjS8_jjjj
		.amdhsa_group_segment_fixed_size 0
		.amdhsa_private_segment_fixed_size 0
		.amdhsa_kernarg_size 144
		.amdhsa_user_sgpr_count 2
		.amdhsa_user_sgpr_dispatch_ptr 0
		.amdhsa_user_sgpr_queue_ptr 0
		.amdhsa_user_sgpr_kernarg_segment_ptr 1
		.amdhsa_user_sgpr_dispatch_id 0
		.amdhsa_user_sgpr_private_segment_size 0
		.amdhsa_wavefront_size32 1
		.amdhsa_uses_dynamic_stack 0
		.amdhsa_enable_private_segment 0
		.amdhsa_system_sgpr_workgroup_id_x 1
		.amdhsa_system_sgpr_workgroup_id_y 1
		.amdhsa_system_sgpr_workgroup_id_z 1
		.amdhsa_system_sgpr_workgroup_info 0
		.amdhsa_system_vgpr_workitem_id 1
		.amdhsa_next_free_vgpr 42
		.amdhsa_next_free_sgpr 30
		.amdhsa_reserve_vcc 1
		.amdhsa_float_round_mode_32 0
		.amdhsa_float_round_mode_16_64 0
		.amdhsa_float_denorm_mode_32 3
		.amdhsa_float_denorm_mode_16_64 3
		.amdhsa_fp16_overflow 0
		.amdhsa_workgroup_processor_mode 1
		.amdhsa_memory_ordered 1
		.amdhsa_forward_progress 1
		.amdhsa_inst_pref_size 48
		.amdhsa_round_robin_scheduling 0
		.amdhsa_exception_fp_ieee_invalid_op 0
		.amdhsa_exception_fp_denorm_src 0
		.amdhsa_exception_fp_ieee_div_zero 0
		.amdhsa_exception_fp_ieee_overflow 0
		.amdhsa_exception_fp_ieee_underflow 0
		.amdhsa_exception_fp_ieee_inexact 0
		.amdhsa_exception_int_div_zero 0
	.end_amdhsa_kernel
	.section	.text._ZL13mul_mat_vec_qIL9ggml_type17ELi7ELb0ELb0EEvPKvS2_PKi31ggml_cuda_mm_fusion_args_devicePfj15HIP_vector_typeIjLj3EEjjjS8_jjjS8_jjjj,"axG",@progbits,_ZL13mul_mat_vec_qIL9ggml_type17ELi7ELb0ELb0EEvPKvS2_PKi31ggml_cuda_mm_fusion_args_devicePfj15HIP_vector_typeIjLj3EEjjjS8_jjjS8_jjjj,comdat
.Lfunc_end178:
	.size	_ZL13mul_mat_vec_qIL9ggml_type17ELi7ELb0ELb0EEvPKvS2_PKi31ggml_cuda_mm_fusion_args_devicePfj15HIP_vector_typeIjLj3EEjjjS8_jjjS8_jjjj, .Lfunc_end178-_ZL13mul_mat_vec_qIL9ggml_type17ELi7ELb0ELb0EEvPKvS2_PKi31ggml_cuda_mm_fusion_args_devicePfj15HIP_vector_typeIjLj3EEjjjS8_jjjS8_jjjj
                                        ; -- End function
	.set _ZL13mul_mat_vec_qIL9ggml_type17ELi7ELb0ELb0EEvPKvS2_PKi31ggml_cuda_mm_fusion_args_devicePfj15HIP_vector_typeIjLj3EEjjjS8_jjjS8_jjjj.num_vgpr, 42
	.set _ZL13mul_mat_vec_qIL9ggml_type17ELi7ELb0ELb0EEvPKvS2_PKi31ggml_cuda_mm_fusion_args_devicePfj15HIP_vector_typeIjLj3EEjjjS8_jjjS8_jjjj.num_agpr, 0
	.set _ZL13mul_mat_vec_qIL9ggml_type17ELi7ELb0ELb0EEvPKvS2_PKi31ggml_cuda_mm_fusion_args_devicePfj15HIP_vector_typeIjLj3EEjjjS8_jjjS8_jjjj.numbered_sgpr, 30
	.set _ZL13mul_mat_vec_qIL9ggml_type17ELi7ELb0ELb0EEvPKvS2_PKi31ggml_cuda_mm_fusion_args_devicePfj15HIP_vector_typeIjLj3EEjjjS8_jjjS8_jjjj.num_named_barrier, 0
	.set _ZL13mul_mat_vec_qIL9ggml_type17ELi7ELb0ELb0EEvPKvS2_PKi31ggml_cuda_mm_fusion_args_devicePfj15HIP_vector_typeIjLj3EEjjjS8_jjjS8_jjjj.private_seg_size, 0
	.set _ZL13mul_mat_vec_qIL9ggml_type17ELi7ELb0ELb0EEvPKvS2_PKi31ggml_cuda_mm_fusion_args_devicePfj15HIP_vector_typeIjLj3EEjjjS8_jjjS8_jjjj.uses_vcc, 1
	.set _ZL13mul_mat_vec_qIL9ggml_type17ELi7ELb0ELb0EEvPKvS2_PKi31ggml_cuda_mm_fusion_args_devicePfj15HIP_vector_typeIjLj3EEjjjS8_jjjS8_jjjj.uses_flat_scratch, 0
	.set _ZL13mul_mat_vec_qIL9ggml_type17ELi7ELb0ELb0EEvPKvS2_PKi31ggml_cuda_mm_fusion_args_devicePfj15HIP_vector_typeIjLj3EEjjjS8_jjjS8_jjjj.has_dyn_sized_stack, 0
	.set _ZL13mul_mat_vec_qIL9ggml_type17ELi7ELb0ELb0EEvPKvS2_PKi31ggml_cuda_mm_fusion_args_devicePfj15HIP_vector_typeIjLj3EEjjjS8_jjjS8_jjjj.has_recursion, 0
	.set _ZL13mul_mat_vec_qIL9ggml_type17ELi7ELb0ELb0EEvPKvS2_PKi31ggml_cuda_mm_fusion_args_devicePfj15HIP_vector_typeIjLj3EEjjjS8_jjjS8_jjjj.has_indirect_call, 0
	.section	.AMDGPU.csdata,"",@progbits
; Kernel info:
; codeLenInByte = 6072
; TotalNumSgprs: 32
; NumVgprs: 42
; ScratchSize: 0
; MemoryBound: 0
; FloatMode: 240
; IeeeMode: 1
; LDSByteSize: 0 bytes/workgroup (compile time only)
; SGPRBlocks: 0
; VGPRBlocks: 5
; NumSGPRsForWavesPerEU: 32
; NumVGPRsForWavesPerEU: 42
; Occupancy: 16
; WaveLimiterHint : 0
; COMPUTE_PGM_RSRC2:SCRATCH_EN: 0
; COMPUTE_PGM_RSRC2:USER_SGPR: 2
; COMPUTE_PGM_RSRC2:TRAP_HANDLER: 0
; COMPUTE_PGM_RSRC2:TGID_X_EN: 1
; COMPUTE_PGM_RSRC2:TGID_Y_EN: 1
; COMPUTE_PGM_RSRC2:TGID_Z_EN: 1
; COMPUTE_PGM_RSRC2:TIDIG_COMP_CNT: 1
	.section	.text._ZL13mul_mat_vec_qIL9ggml_type17ELi8ELb0ELb0EEvPKvS2_PKi31ggml_cuda_mm_fusion_args_devicePfj15HIP_vector_typeIjLj3EEjjjS8_jjjS8_jjjj,"axG",@progbits,_ZL13mul_mat_vec_qIL9ggml_type17ELi8ELb0ELb0EEvPKvS2_PKi31ggml_cuda_mm_fusion_args_devicePfj15HIP_vector_typeIjLj3EEjjjS8_jjjS8_jjjj,comdat
	.globl	_ZL13mul_mat_vec_qIL9ggml_type17ELi8ELb0ELb0EEvPKvS2_PKi31ggml_cuda_mm_fusion_args_devicePfj15HIP_vector_typeIjLj3EEjjjS8_jjjS8_jjjj ; -- Begin function _ZL13mul_mat_vec_qIL9ggml_type17ELi8ELb0ELb0EEvPKvS2_PKi31ggml_cuda_mm_fusion_args_devicePfj15HIP_vector_typeIjLj3EEjjjS8_jjjS8_jjjj
	.p2align	8
	.type	_ZL13mul_mat_vec_qIL9ggml_type17ELi8ELb0ELb0EEvPKvS2_PKi31ggml_cuda_mm_fusion_args_devicePfj15HIP_vector_typeIjLj3EEjjjS8_jjjS8_jjjj,@function
_ZL13mul_mat_vec_qIL9ggml_type17ELi8ELb0ELb0EEvPKvS2_PKi31ggml_cuda_mm_fusion_args_devicePfj15HIP_vector_typeIjLj3EEjjjS8_jjjS8_jjjj: ; @_ZL13mul_mat_vec_qIL9ggml_type17ELi8ELb0ELb0EEvPKvS2_PKi31ggml_cuda_mm_fusion_args_devicePfj15HIP_vector_typeIjLj3EEjjjS8_jjjS8_jjjj
; %bb.0:
	s_clause 0x5
	s_load_b96 s[16:18], s[0:1], 0x80
	s_load_b32 s3, s[0:1], 0x40
	s_load_b128 s[4:7], s[0:1], 0x50
	s_load_b32 s2, s[0:1], 0x60
	s_load_b128 s[8:11], s[0:1], 0x68
	s_load_b32 s23, s[0:1], 0x78
	v_bfe_u32 v11, v0, 10, 10
	v_dual_mov_b32 v4, 0 :: v_dual_and_b32 v7, 0x3ff, v0
	v_dual_mov_b32 v5, 0 :: v_dual_mov_b32 v6, 0
	v_dual_mov_b32 v8, 0 :: v_dual_mov_b32 v9, 0
	s_delay_alu instid0(VALU_DEP_3)
	v_lshl_or_b32 v0, v11, 5, v7
	v_mov_b32_e32 v10, 0
	v_mov_b32_e32 v12, 0
	;; [unrolled: 1-line block ×3, first 2 shown]
	s_and_b32 s19, ttmp7, 0xffff
	v_lshrrev_b32_e32 v13, 3, v0
	s_lshr_b32 s20, ttmp7, 16
	s_mov_b32 s21, exec_lo
	s_wait_kmcnt 0x0
	s_lshr_b32 s22, s3, 8
	s_delay_alu instid0(SALU_CYCLE_1)
	v_cmpx_gt_u32_e64 s22, v13
	s_cbranch_execz .LBB179_4
; %bb.1:
	v_lshl_add_u32 v0, v11, 5, v7
	s_mul_hi_u32 s3, s7, s19
	s_mul_i32 s24, s9, s19
	s_add_co_i32 s7, s19, s3
	s_mov_b32 s3, 0
	v_lshrrev_b32_e32 v0, 3, v0
	s_mov_b32 s25, s3
	s_load_b128 s[12:15], s[0:1], 0x0
	s_mul_u64 s[24:25], s[24:25], 36
	s_lshr_b32 s7, s7, s2
	v_mad_co_u64_u32 v[0:1], null, 0x120, v0, s[24:25]
	s_mul_i32 s2, s17, s20
	v_lshlrev_b32_e32 v2, 1, v7
	v_dual_mov_b32 v4, 0 :: v_dual_and_b32 v15, 7, v7
	v_mov_b32_e32 v9, 0
	s_mul_hi_u32 s9, s11, s20
	v_mad_co_u64_u32 v[0:1], null, s2, 36, v[0:1]
	v_and_b32_e32 v2, 14, v2
	s_add_co_i32 s9, s20, s9
	s_mul_u64 s[26:27], s[2:3], 36
	s_mul_i32 s7, s7, s8
	s_lshr_b32 s8, s9, s23
	v_dual_mov_b32 v6, 0 :: v_dual_lshlrev_b32 v5, 1, v2
	s_delay_alu instid0(VALU_DEP_3)
	v_mad_co_u64_u32 v[2:3], null, v15, 36, v[0:1]
	s_mul_i32 s11, s8, s16
	s_wait_kmcnt 0x0
	s_add_nc_u64 s[8:9], s[14:15], s[26:27]
	s_mul_i32 s4, s4, ttmp9
	s_add_nc_u64 s[8:9], s[8:9], s[24:25]
	v_lshlrev_b32_e32 v16, 3, v13
	v_mad_co_u64_u32 v[0:1], null, v15, 36, s[8:9]
	v_add_co_u32 v2, vcc_lo, s14, v2
	s_delay_alu instid0(VALU_DEP_1) | instskip(SKIP_1) | instid1(VALU_DEP_3)
	v_add_co_ci_u32_e64 v3, null, s15, v3, vcc_lo
	v_dual_mov_b32 v8, 0 :: v_dual_lshlrev_b32 v17, 1, v5
	v_add_co_u32 v2, vcc_lo, v2, 16
	s_wait_alu 0xfffd
	s_delay_alu instid0(VALU_DEP_3)
	v_add_co_ci_u32_e64 v3, null, 0, v3, vcc_lo
	v_dual_mov_b32 v5, 0 :: v_dual_mov_b32 v10, 0
	v_mov_b32_e32 v12, 0
	v_mov_b32_e32 v14, 0
	s_add_co_i32 s7, s7, s4
	s_mul_i32 s14, s5, 5
	s_add_co_i32 s4, s11, s7
	s_mul_i32 s7, s5, 7
	s_mul_i32 s11, s5, 6
	s_lshl_b32 s15, s5, 2
	s_mul_i32 s16, s5, 3
	s_lshl_b32 s17, s5, 1
.LBB179_2:                              ; =>This Inner Loop Header: Depth=1
	v_add_nc_u32_e32 v18, s4, v13
	s_getpc_b64 s[8:9]
	s_wait_alu 0xfffe
	s_sext_i32_i16 s9, s9
	s_add_co_u32 s8, s8, _ZL10iq2xs_grid@rel32@lo+12
	s_wait_alu 0xfffe
	s_add_co_ci_u32 s9, s9, _ZL10iq2xs_grid@rel32@hi+24
	v_add_nc_u32_e32 v13, 4, v13
	v_mad_co_i64_i32 v[29:30], null, 0x4a, v18, s[12:13]
	s_delay_alu instid0(VALU_DEP_1) | instskip(SKIP_1) | instid1(VALU_DEP_2)
	v_add_co_u32 v18, vcc_lo, v29, v17
	s_wait_alu 0xfffd
	v_add_co_ci_u32_e64 v19, null, 0, v30, vcc_lo
	global_load_b64 v[23:24], v[18:19], off offset:2
	v_add_co_u32 v18, vcc_lo, v29, v15
	s_wait_alu 0xfffd
	v_add_co_ci_u32_e64 v19, null, 0, v30, vcc_lo
	global_load_u8 v28, v[18:19], off offset:66
	s_wait_loadcnt 0x1
	v_and_b32_e32 v18, 0x1ff, v23
	v_bfe_u32 v20, v23, 9, 7
	s_delay_alu instid0(VALU_DEP_2) | instskip(NEXT) | instid1(VALU_DEP_2)
	v_lshlrev_b32_e32 v18, 3, v18
	v_bcnt_u32_b32 v21, v20, 0
	global_load_b64 v[18:19], v18, s[8:9]
	v_and_b32_e32 v21, 1, v21
	s_delay_alu instid0(VALU_DEP_1) | instskip(NEXT) | instid1(VALU_DEP_1)
	v_lshl_or_b32 v20, v21, 7, v20
	v_mul_lo_u32 v20, 0x1010101, v20
	s_delay_alu instid0(VALU_DEP_1) | instskip(NEXT) | instid1(VALU_DEP_1)
	v_and_b32_e32 v21, 0x8040201, v20
	v_lshrrev_b16 v22, 8, v21
	v_lshrrev_b32_e32 v21, 24, v21
	s_delay_alu instid0(VALU_DEP_2) | instskip(NEXT) | instid1(VALU_DEP_2)
	v_cmp_ne_u16_e64 s2, 0, v22
	v_cmp_ne_u16_e32 vcc_lo, 0, v21
	v_lshrrev_b32_e32 v21, 18, v20
	v_bfe_i32 v22, v20, 0, 1
	s_wait_alu 0xf1ff
	v_cndmask_b32_e64 v26, 0, -1, s2
	s_wait_alu 0xfffd
	v_cndmask_b32_e64 v31, 0, -1, vcc_lo
	v_bfe_i32 v21, v21, 0, 1
	v_and_b32_e32 v25, 0xff, v22
	v_lshlrev_b16 v22, 8, v22
	v_lshlrev_b16 v26, 8, v26
	;; [unrolled: 1-line block ×3, first 2 shown]
	v_and_b32_e32 v27, 0xff, v21
	v_lshlrev_b16 v21, 8, v21
	s_delay_alu instid0(VALU_DEP_4) | instskip(NEXT) | instid1(VALU_DEP_3)
	v_or_b32_e32 v25, v25, v26
	v_or_b32_e32 v27, v27, v31
	s_delay_alu instid0(VALU_DEP_2) | instskip(NEXT) | instid1(VALU_DEP_2)
	v_and_b32_e32 v25, 0xffff, v25
	v_lshlrev_b32_e32 v27, 16, v27
	s_delay_alu instid0(VALU_DEP_1) | instskip(SKIP_1) | instid1(VALU_DEP_1)
	v_or_b32_e32 v25, v25, v27
	s_wait_loadcnt 0x0
	v_xor_b32_e32 v18, v18, v25
	s_delay_alu instid0(VALU_DEP_1) | instskip(SKIP_2) | instid1(VALU_DEP_2)
	v_lshrrev_b32_e32 v25, 16, v18
	v_and_b32_e32 v27, 0xffffff00, v18
	v_lshlrev_b16 v18, 8, v18
	v_sub_nc_i16 v26, v27, v26 clamp
	s_delay_alu instid0(VALU_DEP_2) | instskip(SKIP_2) | instid1(VALU_DEP_3)
	v_sub_nc_i16 v18, v18, v22 clamp
	v_and_b32_e32 v22, 0xffffff00, v25
	v_lshlrev_b16 v25, 8, v25
	v_perm_b32 v18, v18, v26, 0xc0c0105
	s_delay_alu instid0(VALU_DEP_3) | instskip(NEXT) | instid1(VALU_DEP_3)
	v_sub_nc_i16 v22, v22, v31 clamp
	v_sub_nc_i16 v21, v25, v21 clamp
	s_delay_alu instid0(VALU_DEP_1) | instskip(NEXT) | instid1(VALU_DEP_1)
	v_perm_b32 v21, v21, v22, 0xc0c0105
	v_lshl_or_b32 v18, v21, 16, v18
	v_and_b32_e32 v21, 0x80402010, v20
	v_lshrrev_b32_e32 v20, 22, v20
	s_delay_alu instid0(VALU_DEP_2) | instskip(SKIP_2) | instid1(VALU_DEP_4)
	v_lshrrev_b16 v22, 8, v21
	v_lshrrev_b32_e32 v25, 24, v21
	v_lshrrev_b16 v21, 4, v21
	v_bfe_i32 v20, v20, 0, 1
	s_delay_alu instid0(VALU_DEP_4) | instskip(NEXT) | instid1(VALU_DEP_4)
	v_cmp_ne_u16_e64 s2, 0, v22
	v_cmp_ne_u16_e32 vcc_lo, 0, v25
	s_delay_alu instid0(VALU_DEP_4) | instskip(NEXT) | instid1(VALU_DEP_4)
	v_bfe_i32 v21, v21, 0, 1
	v_and_b32_e32 v26, 0xff, v20
	v_lshlrev_b16 v20, 8, v20
	s_wait_alu 0xf1ff
	v_cndmask_b32_e64 v25, 0, -1, s2
	s_wait_alu 0xfffd
	v_cndmask_b32_e64 v27, 0, -1, vcc_lo
	v_and_b32_e32 v22, 0xff, v21
	v_lshlrev_b16 v21, 8, v21
	v_lshlrev_b16 v25, 8, v25
	s_delay_alu instid0(VALU_DEP_4) | instskip(NEXT) | instid1(VALU_DEP_2)
	v_lshlrev_b16 v27, 8, v27
	v_or_b32_e32 v22, v22, v25
	s_delay_alu instid0(VALU_DEP_2) | instskip(NEXT) | instid1(VALU_DEP_2)
	v_or_b32_e32 v26, v26, v27
	v_and_b32_e32 v22, 0xffff, v22
	s_delay_alu instid0(VALU_DEP_2) | instskip(NEXT) | instid1(VALU_DEP_1)
	v_lshlrev_b32_e32 v26, 16, v26
	v_or_b32_e32 v22, v22, v26
	s_delay_alu instid0(VALU_DEP_1) | instskip(NEXT) | instid1(VALU_DEP_1)
	v_xor_b32_e32 v19, v19, v22
	v_lshrrev_b32_e32 v22, 16, v19
	v_and_b32_e32 v26, 0xffffff00, v19
	v_lshlrev_b16 v19, 8, v19
	s_delay_alu instid0(VALU_DEP_2) | instskip(NEXT) | instid1(VALU_DEP_2)
	v_sub_nc_i16 v25, v26, v25 clamp
	v_sub_nc_i16 v19, v19, v21 clamp
	v_and_b32_e32 v21, 0xffffff00, v22
	v_lshlrev_b16 v22, 8, v22
	s_delay_alu instid0(VALU_DEP_3) | instskip(NEXT) | instid1(VALU_DEP_3)
	v_perm_b32 v19, v19, v25, 0xc0c0105
	v_sub_nc_i16 v21, v21, v27 clamp
	s_delay_alu instid0(VALU_DEP_3) | instskip(SKIP_1) | instid1(VALU_DEP_2)
	v_sub_nc_i16 v20, v22, v20 clamp
	v_lshrrev_b32_e32 v22, 25, v23
	v_perm_b32 v20, v20, v21, 0xc0c0105
	s_delay_alu instid0(VALU_DEP_2) | instskip(NEXT) | instid1(VALU_DEP_2)
	v_bcnt_u32_b32 v22, v22, 0
	v_lshl_or_b32 v19, v20, 16, v19
	v_lshrrev_b32_e32 v20, 13, v23
	s_delay_alu instid0(VALU_DEP_3) | instskip(NEXT) | instid1(VALU_DEP_2)
	v_and_b32_e32 v22, 1, v22
	v_and_b32_e32 v20, 0xff8, v20
	s_delay_alu instid0(VALU_DEP_2) | instskip(SKIP_2) | instid1(VALU_DEP_1)
	v_alignbit_b32 v22, v22, v23, 25
	global_load_b64 v[20:21], v20, s[8:9]
	v_mul_lo_u32 v22, 0x1010101, v22
	v_and_b32_e32 v23, 0x8040201, v22
	s_delay_alu instid0(VALU_DEP_1) | instskip(SKIP_1) | instid1(VALU_DEP_2)
	v_lshrrev_b16 v25, 8, v23
	v_lshrrev_b32_e32 v23, 24, v23
	v_cmp_ne_u16_e64 s2, 0, v25
	s_delay_alu instid0(VALU_DEP_2)
	v_cmp_ne_u16_e32 vcc_lo, 0, v23
	v_lshrrev_b32_e32 v23, 18, v22
	v_bfe_i32 v25, v22, 0, 1
	s_wait_alu 0xf1ff
	v_cndmask_b32_e64 v27, 0, -1, s2
	s_wait_alu 0xfffd
	v_cndmask_b32_e64 v32, 0, -1, vcc_lo
	v_bfe_i32 v23, v23, 0, 1
	v_and_b32_e32 v26, 0xff, v25
	v_lshlrev_b16 v25, 8, v25
	v_lshlrev_b16 v27, 8, v27
	;; [unrolled: 1-line block ×3, first 2 shown]
	v_and_b32_e32 v31, 0xff, v23
	v_lshlrev_b16 v23, 8, v23
	s_delay_alu instid0(VALU_DEP_4) | instskip(NEXT) | instid1(VALU_DEP_3)
	v_or_b32_e32 v26, v26, v27
	v_or_b32_e32 v31, v31, v32
	s_delay_alu instid0(VALU_DEP_2) | instskip(NEXT) | instid1(VALU_DEP_2)
	v_and_b32_e32 v26, 0xffff, v26
	v_lshlrev_b32_e32 v31, 16, v31
	s_delay_alu instid0(VALU_DEP_1) | instskip(SKIP_1) | instid1(VALU_DEP_1)
	v_or_b32_e32 v26, v26, v31
	s_wait_loadcnt 0x0
	v_xor_b32_e32 v20, v20, v26
	s_delay_alu instid0(VALU_DEP_1) | instskip(SKIP_2) | instid1(VALU_DEP_2)
	v_lshrrev_b32_e32 v26, 16, v20
	v_and_b32_e32 v31, 0xffffff00, v20
	v_lshlrev_b16 v20, 8, v20
	v_sub_nc_i16 v27, v31, v27 clamp
	s_delay_alu instid0(VALU_DEP_2) | instskip(SKIP_2) | instid1(VALU_DEP_3)
	v_sub_nc_i16 v20, v20, v25 clamp
	v_and_b32_e32 v25, 0xffffff00, v26
	v_lshlrev_b16 v26, 8, v26
	v_perm_b32 v20, v20, v27, 0xc0c0105
	s_delay_alu instid0(VALU_DEP_3) | instskip(NEXT) | instid1(VALU_DEP_3)
	v_sub_nc_i16 v25, v25, v32 clamp
	v_sub_nc_i16 v23, v26, v23 clamp
	s_delay_alu instid0(VALU_DEP_1) | instskip(NEXT) | instid1(VALU_DEP_1)
	v_perm_b32 v23, v23, v25, 0xc0c0105
	v_lshl_or_b32 v20, v23, 16, v20
	v_and_b32_e32 v23, 0x80402010, v22
	v_lshrrev_b32_e32 v22, 22, v22
	s_delay_alu instid0(VALU_DEP_2) | instskip(SKIP_2) | instid1(VALU_DEP_4)
	v_lshrrev_b16 v25, 8, v23
	v_lshrrev_b32_e32 v26, 24, v23
	v_lshrrev_b16 v23, 4, v23
	v_bfe_i32 v22, v22, 0, 1
	s_delay_alu instid0(VALU_DEP_4) | instskip(NEXT) | instid1(VALU_DEP_4)
	v_cmp_ne_u16_e64 s2, 0, v25
	v_cmp_ne_u16_e32 vcc_lo, 0, v26
	s_delay_alu instid0(VALU_DEP_4) | instskip(NEXT) | instid1(VALU_DEP_4)
	v_bfe_i32 v23, v23, 0, 1
	v_and_b32_e32 v27, 0xff, v22
	v_lshlrev_b16 v22, 8, v22
	s_wait_alu 0xf1ff
	v_cndmask_b32_e64 v26, 0, -1, s2
	s_wait_alu 0xfffd
	v_cndmask_b32_e64 v31, 0, -1, vcc_lo
	v_and_b32_e32 v25, 0xff, v23
	v_lshlrev_b16 v23, 8, v23
	v_lshlrev_b16 v26, 8, v26
	s_delay_alu instid0(VALU_DEP_4) | instskip(NEXT) | instid1(VALU_DEP_2)
	v_lshlrev_b16 v31, 8, v31
	v_or_b32_e32 v25, v25, v26
	s_delay_alu instid0(VALU_DEP_2) | instskip(NEXT) | instid1(VALU_DEP_2)
	v_or_b32_e32 v27, v27, v31
	v_and_b32_e32 v25, 0xffff, v25
	s_delay_alu instid0(VALU_DEP_2) | instskip(NEXT) | instid1(VALU_DEP_1)
	v_lshlrev_b32_e32 v27, 16, v27
	v_or_b32_e32 v25, v25, v27
	s_delay_alu instid0(VALU_DEP_1) | instskip(NEXT) | instid1(VALU_DEP_1)
	v_xor_b32_e32 v21, v21, v25
	v_lshrrev_b32_e32 v25, 16, v21
	v_and_b32_e32 v27, 0xffffff00, v21
	v_lshlrev_b16 v21, 8, v21
	s_delay_alu instid0(VALU_DEP_2) | instskip(NEXT) | instid1(VALU_DEP_2)
	v_sub_nc_i16 v26, v27, v26 clamp
	v_sub_nc_i16 v21, v21, v23 clamp
	v_and_b32_e32 v23, 0xffffff00, v25
	v_lshlrev_b16 v25, 8, v25
	s_delay_alu instid0(VALU_DEP_3) | instskip(NEXT) | instid1(VALU_DEP_3)
	v_perm_b32 v21, v21, v26, 0xc0c0105
	v_sub_nc_i16 v23, v23, v31 clamp
	s_delay_alu instid0(VALU_DEP_3) | instskip(SKIP_1) | instid1(VALU_DEP_2)
	v_sub_nc_i16 v22, v25, v22 clamp
	v_bfe_u32 v25, v24, 9, 7
	v_perm_b32 v22, v22, v23, 0xc0c0105
	s_delay_alu instid0(VALU_DEP_2) | instskip(NEXT) | instid1(VALU_DEP_2)
	v_bcnt_u32_b32 v26, v25, 0
	v_lshl_or_b32 v21, v22, 16, v21
	v_and_b32_e32 v22, 0x1ff, v24
	s_delay_alu instid0(VALU_DEP_3) | instskip(NEXT) | instid1(VALU_DEP_2)
	v_and_b32_e32 v26, 1, v26
	v_lshlrev_b32_e32 v22, 3, v22
	s_delay_alu instid0(VALU_DEP_2) | instskip(SKIP_2) | instid1(VALU_DEP_1)
	v_lshl_or_b32 v25, v26, 7, v25
	global_load_b64 v[22:23], v22, s[8:9]
	v_mul_lo_u32 v25, 0x1010101, v25
	v_and_b32_e32 v26, 0x8040201, v25
	s_delay_alu instid0(VALU_DEP_1) | instskip(SKIP_1) | instid1(VALU_DEP_2)
	v_lshrrev_b16 v27, 8, v26
	v_lshrrev_b32_e32 v26, 24, v26
	v_cmp_ne_u16_e64 s2, 0, v27
	s_delay_alu instid0(VALU_DEP_2)
	v_cmp_ne_u16_e32 vcc_lo, 0, v26
	v_lshrrev_b32_e32 v26, 18, v25
	v_bfe_i32 v27, v25, 0, 1
	s_wait_alu 0xf1ff
	v_cndmask_b32_e64 v32, 0, -1, s2
	s_wait_alu 0xfffd
	v_cndmask_b32_e64 v34, 0, -1, vcc_lo
	v_bfe_i32 v26, v26, 0, 1
	v_and_b32_e32 v31, 0xff, v27
	v_lshlrev_b16 v27, 8, v27
	v_lshlrev_b16 v32, 8, v32
	v_lshlrev_b16 v34, 8, v34
	v_and_b32_e32 v33, 0xff, v26
	v_lshlrev_b16 v26, 8, v26
	s_delay_alu instid0(VALU_DEP_4) | instskip(NEXT) | instid1(VALU_DEP_3)
	v_or_b32_e32 v31, v31, v32
	v_or_b32_e32 v33, v33, v34
	s_delay_alu instid0(VALU_DEP_2) | instskip(NEXT) | instid1(VALU_DEP_2)
	v_and_b32_e32 v31, 0xffff, v31
	v_lshlrev_b32_e32 v33, 16, v33
	s_delay_alu instid0(VALU_DEP_1) | instskip(SKIP_1) | instid1(VALU_DEP_1)
	v_or_b32_e32 v31, v31, v33
	s_wait_loadcnt 0x0
	v_xor_b32_e32 v22, v22, v31
	s_delay_alu instid0(VALU_DEP_1) | instskip(SKIP_2) | instid1(VALU_DEP_2)
	v_lshrrev_b32_e32 v31, 16, v22
	v_and_b32_e32 v33, 0xffffff00, v22
	v_lshlrev_b16 v22, 8, v22
	v_sub_nc_i16 v32, v33, v32 clamp
	s_delay_alu instid0(VALU_DEP_2) | instskip(SKIP_2) | instid1(VALU_DEP_3)
	v_sub_nc_i16 v22, v22, v27 clamp
	v_and_b32_e32 v27, 0xffffff00, v31
	v_lshlrev_b16 v31, 8, v31
	v_perm_b32 v22, v22, v32, 0xc0c0105
	s_delay_alu instid0(VALU_DEP_3) | instskip(NEXT) | instid1(VALU_DEP_3)
	v_sub_nc_i16 v27, v27, v34 clamp
	v_sub_nc_i16 v26, v31, v26 clamp
	s_delay_alu instid0(VALU_DEP_1) | instskip(NEXT) | instid1(VALU_DEP_1)
	v_perm_b32 v26, v26, v27, 0xc0c0105
	v_lshl_or_b32 v22, v26, 16, v22
	v_and_b32_e32 v26, 0x80402010, v25
	v_lshrrev_b32_e32 v25, 22, v25
	s_delay_alu instid0(VALU_DEP_2) | instskip(SKIP_2) | instid1(VALU_DEP_4)
	v_lshrrev_b16 v27, 8, v26
	v_lshrrev_b32_e32 v31, 24, v26
	v_lshrrev_b16 v26, 4, v26
	v_bfe_i32 v25, v25, 0, 1
	s_delay_alu instid0(VALU_DEP_4) | instskip(NEXT) | instid1(VALU_DEP_4)
	v_cmp_ne_u16_e64 s2, 0, v27
	v_cmp_ne_u16_e32 vcc_lo, 0, v31
	s_delay_alu instid0(VALU_DEP_4) | instskip(NEXT) | instid1(VALU_DEP_4)
	v_bfe_i32 v26, v26, 0, 1
	v_and_b32_e32 v32, 0xff, v25
	v_lshlrev_b16 v25, 8, v25
	s_wait_alu 0xf1ff
	v_cndmask_b32_e64 v31, 0, -1, s2
	s_wait_alu 0xfffd
	v_cndmask_b32_e64 v33, 0, -1, vcc_lo
	v_and_b32_e32 v27, 0xff, v26
	v_lshlrev_b16 v26, 8, v26
	v_lshlrev_b16 v31, 8, v31
	s_delay_alu instid0(VALU_DEP_4) | instskip(NEXT) | instid1(VALU_DEP_2)
	v_lshlrev_b16 v33, 8, v33
	v_or_b32_e32 v27, v27, v31
	s_delay_alu instid0(VALU_DEP_2) | instskip(NEXT) | instid1(VALU_DEP_2)
	v_or_b32_e32 v32, v32, v33
	v_and_b32_e32 v27, 0xffff, v27
	s_delay_alu instid0(VALU_DEP_2) | instskip(NEXT) | instid1(VALU_DEP_1)
	v_lshlrev_b32_e32 v32, 16, v32
	v_or_b32_e32 v27, v27, v32
	s_delay_alu instid0(VALU_DEP_1) | instskip(NEXT) | instid1(VALU_DEP_1)
	v_xor_b32_e32 v23, v23, v27
	v_lshrrev_b32_e32 v27, 16, v23
	v_and_b32_e32 v32, 0xffffff00, v23
	v_lshlrev_b16 v23, 8, v23
	s_delay_alu instid0(VALU_DEP_2) | instskip(NEXT) | instid1(VALU_DEP_2)
	v_sub_nc_i16 v31, v32, v31 clamp
	v_sub_nc_i16 v23, v23, v26 clamp
	v_and_b32_e32 v26, 0xffffff00, v27
	v_lshlrev_b16 v27, 8, v27
	s_delay_alu instid0(VALU_DEP_3) | instskip(NEXT) | instid1(VALU_DEP_3)
	v_perm_b32 v23, v23, v31, 0xc0c0105
	v_sub_nc_i16 v26, v26, v33 clamp
	s_delay_alu instid0(VALU_DEP_3) | instskip(SKIP_1) | instid1(VALU_DEP_2)
	v_sub_nc_i16 v25, v27, v25 clamp
	v_lshrrev_b32_e32 v27, 25, v24
	v_perm_b32 v25, v25, v26, 0xc0c0105
	s_delay_alu instid0(VALU_DEP_2) | instskip(NEXT) | instid1(VALU_DEP_2)
	v_bcnt_u32_b32 v27, v27, 0
	v_lshl_or_b32 v23, v25, 16, v23
	v_lshrrev_b32_e32 v25, 13, v24
	s_delay_alu instid0(VALU_DEP_3) | instskip(NEXT) | instid1(VALU_DEP_2)
	v_and_b32_e32 v27, 1, v27
	v_and_b32_e32 v25, 0xff8, v25
	s_delay_alu instid0(VALU_DEP_2) | instskip(SKIP_2) | instid1(VALU_DEP_1)
	v_alignbit_b32 v24, v27, v24, 25
	global_load_b64 v[25:26], v25, s[8:9]
	v_mul_lo_u32 v27, 0x1010101, v24
	v_and_b32_e32 v24, 0x8040201, v27
	s_delay_alu instid0(VALU_DEP_1) | instskip(SKIP_1) | instid1(VALU_DEP_2)
	v_lshrrev_b16 v31, 8, v24
	v_lshrrev_b32_e32 v24, 24, v24
	v_cmp_ne_u16_e64 s2, 0, v31
	s_delay_alu instid0(VALU_DEP_2)
	v_cmp_ne_u16_e32 vcc_lo, 0, v24
	v_lshrrev_b32_e32 v24, 18, v27
	v_bfe_i32 v31, v27, 0, 1
	s_wait_alu 0xf1ff
	v_cndmask_b32_e64 v33, 0, -1, s2
	s_wait_alu 0xfffd
	v_cndmask_b32_e64 v35, 0, -1, vcc_lo
	v_bfe_i32 v24, v24, 0, 1
	v_and_b32_e32 v32, 0xff, v31
	v_lshlrev_b16 v31, 8, v31
	v_lshlrev_b16 v33, 8, v33
	;; [unrolled: 1-line block ×3, first 2 shown]
	v_and_b32_e32 v34, 0xff, v24
	v_lshlrev_b16 v24, 8, v24
	s_delay_alu instid0(VALU_DEP_4) | instskip(NEXT) | instid1(VALU_DEP_3)
	v_or_b32_e32 v32, v32, v33
	v_or_b32_e32 v34, v34, v35
	s_delay_alu instid0(VALU_DEP_2) | instskip(NEXT) | instid1(VALU_DEP_2)
	v_and_b32_e32 v32, 0xffff, v32
	v_lshlrev_b32_e32 v34, 16, v34
	s_delay_alu instid0(VALU_DEP_1) | instskip(SKIP_1) | instid1(VALU_DEP_1)
	v_or_b32_e32 v32, v32, v34
	s_wait_loadcnt 0x0
	v_xor_b32_e32 v25, v25, v32
	s_delay_alu instid0(VALU_DEP_1) | instskip(SKIP_2) | instid1(VALU_DEP_2)
	v_lshrrev_b32_e32 v32, 16, v25
	v_and_b32_e32 v34, 0xffffff00, v25
	v_lshlrev_b16 v25, 8, v25
	v_sub_nc_i16 v33, v34, v33 clamp
	s_delay_alu instid0(VALU_DEP_2) | instskip(SKIP_2) | instid1(VALU_DEP_3)
	v_sub_nc_i16 v25, v25, v31 clamp
	v_and_b32_e32 v31, 0xffffff00, v32
	v_lshlrev_b16 v32, 8, v32
	v_perm_b32 v25, v25, v33, 0xc0c0105
	s_delay_alu instid0(VALU_DEP_3) | instskip(NEXT) | instid1(VALU_DEP_3)
	v_sub_nc_i16 v31, v31, v35 clamp
	v_sub_nc_i16 v24, v32, v24 clamp
	s_delay_alu instid0(VALU_DEP_1) | instskip(NEXT) | instid1(VALU_DEP_1)
	v_perm_b32 v24, v24, v31, 0xc0c0105
	v_lshl_or_b32 v24, v24, 16, v25
	v_and_b32_e32 v25, 0x80402010, v27
	v_lshrrev_b32_e32 v27, 22, v27
	s_delay_alu instid0(VALU_DEP_2) | instskip(SKIP_2) | instid1(VALU_DEP_4)
	v_lshrrev_b16 v31, 8, v25
	v_lshrrev_b32_e32 v32, 24, v25
	v_lshrrev_b16 v25, 4, v25
	v_bfe_i32 v27, v27, 0, 1
	s_delay_alu instid0(VALU_DEP_4) | instskip(NEXT) | instid1(VALU_DEP_4)
	v_cmp_ne_u16_e64 s2, 0, v31
	v_cmp_ne_u16_e32 vcc_lo, 0, v32
	s_delay_alu instid0(VALU_DEP_4) | instskip(NEXT) | instid1(VALU_DEP_4)
	v_bfe_i32 v25, v25, 0, 1
	v_and_b32_e32 v33, 0xff, v27
	v_lshlrev_b16 v27, 8, v27
	s_wait_alu 0xf1ff
	v_cndmask_b32_e64 v32, 0, -1, s2
	s_wait_alu 0xfffd
	v_cndmask_b32_e64 v34, 0, -1, vcc_lo
	v_and_b32_e32 v31, 0xff, v25
	v_lshlrev_b16 v25, 8, v25
	v_lshlrev_b16 v32, 8, v32
	s_delay_alu instid0(VALU_DEP_4) | instskip(NEXT) | instid1(VALU_DEP_2)
	v_lshlrev_b16 v34, 8, v34
	v_or_b32_e32 v31, v31, v32
	s_delay_alu instid0(VALU_DEP_2) | instskip(NEXT) | instid1(VALU_DEP_2)
	v_or_b32_e32 v33, v33, v34
	v_and_b32_e32 v31, 0xffff, v31
	s_delay_alu instid0(VALU_DEP_2) | instskip(NEXT) | instid1(VALU_DEP_1)
	v_lshlrev_b32_e32 v33, 16, v33
	v_or_b32_e32 v31, v31, v33
	s_delay_alu instid0(VALU_DEP_1) | instskip(NEXT) | instid1(VALU_DEP_1)
	v_xor_b32_e32 v26, v26, v31
	v_lshrrev_b32_e32 v31, 16, v26
	v_and_b32_e32 v33, 0xffffff00, v26
	v_lshlrev_b16 v26, 8, v26
	s_delay_alu instid0(VALU_DEP_2) | instskip(NEXT) | instid1(VALU_DEP_2)
	v_sub_nc_i16 v32, v33, v32 clamp
	v_sub_nc_i16 v25, v26, v25 clamp
	v_and_b32_e32 v26, 0xffffff00, v31
	v_lshlrev_b16 v31, 8, v31
	s_delay_alu instid0(VALU_DEP_3) | instskip(NEXT) | instid1(VALU_DEP_3)
	v_perm_b32 v25, v25, v32, 0xc0c0105
	v_sub_nc_i16 v26, v26, v34 clamp
	s_delay_alu instid0(VALU_DEP_3) | instskip(NEXT) | instid1(VALU_DEP_1)
	v_sub_nc_i16 v27, v31, v27 clamp
	v_perm_b32 v26, v27, v26, 0xc0c0105
	s_delay_alu instid0(VALU_DEP_1)
	v_lshl_or_b32 v27, v26, 16, v25
	global_load_u16 v25, v[29:30], off
	s_clause 0x2
	global_load_b128 v[29:32], v[2:3], off offset:-16
	global_load_b32 v37, v[2:3], off offset:16
	global_load_b128 v[33:36], v[2:3], off
	v_lshrrev_b32_e32 v26, 4, v28
	v_and_b32_e32 v28, 15, v28
	v_add_co_u32 v2, vcc_lo, 0x480, v2
	s_wait_alu 0xfffd
	v_add_co_ci_u32_e64 v3, null, 0, v3, vcc_lo
	v_cmp_le_u32_e32 vcc_lo, s22, v13
	s_or_b32 s3, vcc_lo, s3
	s_wait_loadcnt 0x2
	v_dot4_i32_iu8 v30, v18, v30, 0 neg_lo:[1,1,0]
	v_cvt_f32_f16_e32 v25, v25
	v_cvt_f32_f16_e32 v29, v29
	s_delay_alu instid0(VALU_DEP_3) | instskip(SKIP_2) | instid1(VALU_DEP_3)
	v_dot4_i32_iu8 v30, v19, v31, v30 neg_lo:[1,1,0]
	s_wait_loadcnt 0x0
	v_dot4_i32_iu8 v31, v22, v34, 0 neg_lo:[1,1,0]
	v_mul_f32_e32 v29, v25, v29
	s_delay_alu instid0(VALU_DEP_3) | instskip(NEXT) | instid1(VALU_DEP_3)
	v_dot4_i32_iu8 v30, v20, v32, v30 neg_lo:[1,1,0]
	v_dot4_i32_iu8 v31, v23, v35, v31 neg_lo:[1,1,0]
	s_delay_alu instid0(VALU_DEP_2) | instskip(NEXT) | instid1(VALU_DEP_2)
	v_dot4_i32_iu8 v30, v21, v33, v30 neg_lo:[1,1,0]
	v_dot4_i32_iu8 v31, v24, v36, v31 neg_lo:[1,1,0]
	s_delay_alu instid0(VALU_DEP_2) | instskip(NEXT) | instid1(VALU_DEP_2)
	v_mul_lo_u32 v32, v30, v28
	v_dot4_i32_iu8 v31, v27, v37, v31 neg_lo:[1,1,0]
	s_delay_alu instid0(VALU_DEP_1) | instskip(SKIP_1) | instid1(VALU_DEP_2)
	v_add_nc_u32_e32 v30, v31, v30
	v_mul_lo_u32 v33, v31, v26
	v_lshrrev_b32_e32 v31, 31, v30
	s_delay_alu instid0(VALU_DEP_1) | instskip(NEXT) | instid1(VALU_DEP_1)
	v_add_nc_u32_e32 v30, v30, v31
	v_ashrrev_i32_e32 v30, 1, v30
	s_delay_alu instid0(VALU_DEP_1) | instskip(NEXT) | instid1(VALU_DEP_1)
	v_add3_u32 v30, v33, v32, v30
	v_ashrrev_i32_e32 v31, 31, v30
	s_delay_alu instid0(VALU_DEP_1) | instskip(NEXT) | instid1(VALU_DEP_1)
	v_lshrrev_b32_e32 v31, 30, v31
	v_add_nc_u32_e32 v30, v30, v31
	s_delay_alu instid0(VALU_DEP_1) | instskip(NEXT) | instid1(VALU_DEP_1)
	v_ashrrev_i32_e32 v30, 2, v30
	v_cvt_f32_i32_e32 v30, v30
	s_delay_alu instid0(VALU_DEP_1) | instskip(NEXT) | instid1(VALU_DEP_1)
	v_dual_fmac_f32 v14, v29, v30 :: v_dual_add_nc_u32 v29, s5, v16
	v_mad_co_u64_u32 v[33:34], null, v29, 36, v[0:1]
	s_clause 0x2
	global_load_b128 v[29:32], v[33:34], off
	global_load_b32 v37, v[33:34], off offset:32
	global_load_b128 v[33:36], v[33:34], off offset:16
	s_wait_loadcnt 0x2
	v_dot4_i32_iu8 v30, v18, v30, 0 neg_lo:[1,1,0]
	v_cvt_f32_f16_e32 v29, v29
	s_delay_alu instid0(VALU_DEP_2) | instskip(SKIP_2) | instid1(VALU_DEP_3)
	v_dot4_i32_iu8 v30, v19, v31, v30 neg_lo:[1,1,0]
	s_wait_loadcnt 0x0
	v_dot4_i32_iu8 v31, v22, v34, 0 neg_lo:[1,1,0]
	v_mul_f32_e32 v29, v25, v29
	s_delay_alu instid0(VALU_DEP_3) | instskip(NEXT) | instid1(VALU_DEP_3)
	v_dot4_i32_iu8 v30, v20, v32, v30 neg_lo:[1,1,0]
	v_dot4_i32_iu8 v31, v23, v35, v31 neg_lo:[1,1,0]
	s_delay_alu instid0(VALU_DEP_2) | instskip(NEXT) | instid1(VALU_DEP_2)
	v_dot4_i32_iu8 v30, v21, v33, v30 neg_lo:[1,1,0]
	v_dot4_i32_iu8 v31, v24, v36, v31 neg_lo:[1,1,0]
	s_delay_alu instid0(VALU_DEP_2) | instskip(NEXT) | instid1(VALU_DEP_2)
	v_mul_lo_u32 v32, v30, v28
	v_dot4_i32_iu8 v31, v27, v37, v31 neg_lo:[1,1,0]
	s_delay_alu instid0(VALU_DEP_1) | instskip(SKIP_1) | instid1(VALU_DEP_2)
	v_add_nc_u32_e32 v30, v31, v30
	v_mul_lo_u32 v33, v31, v26
	v_lshrrev_b32_e32 v31, 31, v30
	s_delay_alu instid0(VALU_DEP_1) | instskip(NEXT) | instid1(VALU_DEP_1)
	v_add_nc_u32_e32 v30, v30, v31
	v_ashrrev_i32_e32 v30, 1, v30
	s_delay_alu instid0(VALU_DEP_1) | instskip(NEXT) | instid1(VALU_DEP_1)
	v_add3_u32 v30, v33, v32, v30
	v_ashrrev_i32_e32 v31, 31, v30
	s_delay_alu instid0(VALU_DEP_1) | instskip(NEXT) | instid1(VALU_DEP_1)
	v_lshrrev_b32_e32 v31, 30, v31
	v_add_nc_u32_e32 v30, v30, v31
	s_delay_alu instid0(VALU_DEP_1) | instskip(NEXT) | instid1(VALU_DEP_1)
	v_ashrrev_i32_e32 v30, 2, v30
	v_cvt_f32_i32_e32 v30, v30
	s_delay_alu instid0(VALU_DEP_1) | instskip(NEXT) | instid1(VALU_DEP_1)
	v_dual_fmac_f32 v12, v29, v30 :: v_dual_add_nc_u32 v29, s17, v16
	v_mad_co_u64_u32 v[33:34], null, v29, 36, v[0:1]
	s_clause 0x2
	global_load_b128 v[29:32], v[33:34], off
	global_load_b32 v37, v[33:34], off offset:32
	global_load_b128 v[33:36], v[33:34], off offset:16
	s_wait_loadcnt 0x2
	v_dot4_i32_iu8 v30, v18, v30, 0 neg_lo:[1,1,0]
	v_cvt_f32_f16_e32 v29, v29
	s_delay_alu instid0(VALU_DEP_2) | instskip(SKIP_2) | instid1(VALU_DEP_3)
	;; [unrolled: 40-line block ×3, first 2 shown]
	v_dot4_i32_iu8 v30, v19, v31, v30 neg_lo:[1,1,0]
	s_wait_loadcnt 0x0
	v_dot4_i32_iu8 v31, v22, v34, 0 neg_lo:[1,1,0]
	v_mul_f32_e32 v29, v25, v29
	s_delay_alu instid0(VALU_DEP_3) | instskip(NEXT) | instid1(VALU_DEP_3)
	v_dot4_i32_iu8 v30, v20, v32, v30 neg_lo:[1,1,0]
	v_dot4_i32_iu8 v31, v23, v35, v31 neg_lo:[1,1,0]
	s_delay_alu instid0(VALU_DEP_2) | instskip(NEXT) | instid1(VALU_DEP_2)
	v_dot4_i32_iu8 v30, v21, v33, v30 neg_lo:[1,1,0]
	v_dot4_i32_iu8 v31, v24, v36, v31 neg_lo:[1,1,0]
	s_delay_alu instid0(VALU_DEP_2) | instskip(NEXT) | instid1(VALU_DEP_2)
	v_mul_lo_u32 v32, v30, v28
	v_dot4_i32_iu8 v31, v27, v37, v31 neg_lo:[1,1,0]
	s_delay_alu instid0(VALU_DEP_1) | instskip(SKIP_1) | instid1(VALU_DEP_2)
	v_add_nc_u32_e32 v30, v31, v30
	v_mul_lo_u32 v33, v31, v26
	v_lshrrev_b32_e32 v31, 31, v30
	s_delay_alu instid0(VALU_DEP_1) | instskip(NEXT) | instid1(VALU_DEP_1)
	v_add_nc_u32_e32 v30, v30, v31
	v_ashrrev_i32_e32 v30, 1, v30
	s_delay_alu instid0(VALU_DEP_1) | instskip(NEXT) | instid1(VALU_DEP_1)
	v_add3_u32 v30, v33, v32, v30
	v_ashrrev_i32_e32 v31, 31, v30
	s_delay_alu instid0(VALU_DEP_1) | instskip(NEXT) | instid1(VALU_DEP_1)
	v_lshrrev_b32_e32 v31, 30, v31
	v_add_nc_u32_e32 v30, v30, v31
	s_delay_alu instid0(VALU_DEP_1) | instskip(NEXT) | instid1(VALU_DEP_1)
	v_ashrrev_i32_e32 v30, 2, v30
	v_cvt_f32_i32_e32 v30, v30
	s_delay_alu instid0(VALU_DEP_1) | instskip(SKIP_1) | instid1(VALU_DEP_1)
	v_fmac_f32_e32 v9, v29, v30
	v_add_nc_u32_e32 v29, s15, v16
	v_mad_co_u64_u32 v[33:34], null, v29, 36, v[0:1]
	s_clause 0x2
	global_load_b128 v[29:32], v[33:34], off
	global_load_b32 v37, v[33:34], off offset:32
	global_load_b128 v[33:36], v[33:34], off offset:16
	s_wait_loadcnt 0x2
	v_dot4_i32_iu8 v30, v18, v30, 0 neg_lo:[1,1,0]
	v_cvt_f32_f16_e32 v29, v29
	s_delay_alu instid0(VALU_DEP_2) | instskip(SKIP_2) | instid1(VALU_DEP_3)
	v_dot4_i32_iu8 v30, v19, v31, v30 neg_lo:[1,1,0]
	s_wait_loadcnt 0x0
	v_dot4_i32_iu8 v31, v22, v34, 0 neg_lo:[1,1,0]
	v_mul_f32_e32 v29, v25, v29
	s_delay_alu instid0(VALU_DEP_3) | instskip(NEXT) | instid1(VALU_DEP_3)
	v_dot4_i32_iu8 v30, v20, v32, v30 neg_lo:[1,1,0]
	v_dot4_i32_iu8 v31, v23, v35, v31 neg_lo:[1,1,0]
	s_delay_alu instid0(VALU_DEP_2) | instskip(NEXT) | instid1(VALU_DEP_2)
	v_dot4_i32_iu8 v30, v21, v33, v30 neg_lo:[1,1,0]
	v_dot4_i32_iu8 v31, v24, v36, v31 neg_lo:[1,1,0]
	s_delay_alu instid0(VALU_DEP_2) | instskip(NEXT) | instid1(VALU_DEP_2)
	v_mul_lo_u32 v32, v30, v28
	v_dot4_i32_iu8 v31, v27, v37, v31 neg_lo:[1,1,0]
	s_delay_alu instid0(VALU_DEP_1) | instskip(SKIP_1) | instid1(VALU_DEP_2)
	v_add_nc_u32_e32 v30, v31, v30
	v_mul_lo_u32 v33, v31, v26
	v_lshrrev_b32_e32 v31, 31, v30
	s_delay_alu instid0(VALU_DEP_1) | instskip(NEXT) | instid1(VALU_DEP_1)
	v_add_nc_u32_e32 v30, v30, v31
	v_ashrrev_i32_e32 v30, 1, v30
	s_delay_alu instid0(VALU_DEP_1) | instskip(NEXT) | instid1(VALU_DEP_1)
	v_add3_u32 v30, v33, v32, v30
	v_ashrrev_i32_e32 v31, 31, v30
	s_delay_alu instid0(VALU_DEP_1) | instskip(NEXT) | instid1(VALU_DEP_1)
	v_lshrrev_b32_e32 v31, 30, v31
	v_add_nc_u32_e32 v30, v30, v31
	s_delay_alu instid0(VALU_DEP_1) | instskip(NEXT) | instid1(VALU_DEP_1)
	v_ashrrev_i32_e32 v30, 2, v30
	v_cvt_f32_i32_e32 v30, v30
	s_delay_alu instid0(VALU_DEP_1) | instskip(NEXT) | instid1(VALU_DEP_1)
	v_dual_fmac_f32 v8, v29, v30 :: v_dual_add_nc_u32 v29, s14, v16
	v_mad_co_u64_u32 v[33:34], null, v29, 36, v[0:1]
	s_clause 0x2
	global_load_b128 v[29:32], v[33:34], off
	global_load_b32 v37, v[33:34], off offset:32
	global_load_b128 v[33:36], v[33:34], off offset:16
	s_wait_loadcnt 0x2
	v_dot4_i32_iu8 v30, v18, v30, 0 neg_lo:[1,1,0]
	v_cvt_f32_f16_e32 v29, v29
	s_delay_alu instid0(VALU_DEP_2) | instskip(SKIP_2) | instid1(VALU_DEP_3)
	v_dot4_i32_iu8 v30, v19, v31, v30 neg_lo:[1,1,0]
	s_wait_loadcnt 0x0
	v_dot4_i32_iu8 v31, v22, v34, 0 neg_lo:[1,1,0]
	v_mul_f32_e32 v29, v25, v29
	s_delay_alu instid0(VALU_DEP_3) | instskip(NEXT) | instid1(VALU_DEP_3)
	v_dot4_i32_iu8 v30, v20, v32, v30 neg_lo:[1,1,0]
	v_dot4_i32_iu8 v31, v23, v35, v31 neg_lo:[1,1,0]
	s_delay_alu instid0(VALU_DEP_2) | instskip(NEXT) | instid1(VALU_DEP_2)
	v_dot4_i32_iu8 v30, v21, v33, v30 neg_lo:[1,1,0]
	v_dot4_i32_iu8 v31, v24, v36, v31 neg_lo:[1,1,0]
	s_delay_alu instid0(VALU_DEP_2) | instskip(NEXT) | instid1(VALU_DEP_2)
	v_mul_lo_u32 v32, v30, v28
	v_dot4_i32_iu8 v31, v27, v37, v31 neg_lo:[1,1,0]
	s_delay_alu instid0(VALU_DEP_1) | instskip(SKIP_1) | instid1(VALU_DEP_2)
	v_add_nc_u32_e32 v30, v31, v30
	v_mul_lo_u32 v33, v31, v26
	v_lshrrev_b32_e32 v31, 31, v30
	s_delay_alu instid0(VALU_DEP_1) | instskip(NEXT) | instid1(VALU_DEP_1)
	v_add_nc_u32_e32 v30, v30, v31
	v_ashrrev_i32_e32 v30, 1, v30
	s_delay_alu instid0(VALU_DEP_1) | instskip(NEXT) | instid1(VALU_DEP_1)
	v_add3_u32 v30, v33, v32, v30
	v_ashrrev_i32_e32 v31, 31, v30
	s_delay_alu instid0(VALU_DEP_1) | instskip(NEXT) | instid1(VALU_DEP_1)
	v_lshrrev_b32_e32 v31, 30, v31
	v_add_nc_u32_e32 v30, v30, v31
	s_delay_alu instid0(VALU_DEP_1) | instskip(NEXT) | instid1(VALU_DEP_1)
	v_ashrrev_i32_e32 v30, 2, v30
	v_cvt_f32_i32_e32 v30, v30
	s_delay_alu instid0(VALU_DEP_1) | instskip(NEXT) | instid1(VALU_DEP_1)
	v_dual_fmac_f32 v6, v29, v30 :: v_dual_add_nc_u32 v29, s11, v16
	v_mad_co_u64_u32 v[33:34], null, v29, 36, v[0:1]
	s_clause 0x2
	global_load_b128 v[29:32], v[33:34], off
	global_load_b32 v37, v[33:34], off offset:32
	global_load_b128 v[33:36], v[33:34], off offset:16
	s_wait_loadcnt 0x2
	v_dot4_i32_iu8 v30, v18, v30, 0 neg_lo:[1,1,0]
	v_cvt_f32_f16_e32 v29, v29
	s_delay_alu instid0(VALU_DEP_2) | instskip(SKIP_2) | instid1(VALU_DEP_3)
	v_dot4_i32_iu8 v30, v19, v31, v30 neg_lo:[1,1,0]
	s_wait_loadcnt 0x0
	v_dot4_i32_iu8 v31, v22, v34, 0 neg_lo:[1,1,0]
	v_mul_f32_e32 v29, v25, v29
	s_delay_alu instid0(VALU_DEP_3) | instskip(NEXT) | instid1(VALU_DEP_3)
	v_dot4_i32_iu8 v30, v20, v32, v30 neg_lo:[1,1,0]
	v_dot4_i32_iu8 v31, v23, v35, v31 neg_lo:[1,1,0]
	s_delay_alu instid0(VALU_DEP_2) | instskip(NEXT) | instid1(VALU_DEP_2)
	v_dot4_i32_iu8 v30, v21, v33, v30 neg_lo:[1,1,0]
	v_dot4_i32_iu8 v31, v24, v36, v31 neg_lo:[1,1,0]
	s_delay_alu instid0(VALU_DEP_2) | instskip(NEXT) | instid1(VALU_DEP_2)
	v_mul_lo_u32 v32, v30, v28
	v_dot4_i32_iu8 v31, v27, v37, v31 neg_lo:[1,1,0]
	s_delay_alu instid0(VALU_DEP_1) | instskip(SKIP_1) | instid1(VALU_DEP_2)
	v_add_nc_u32_e32 v30, v31, v30
	v_mul_lo_u32 v33, v31, v26
	v_lshrrev_b32_e32 v31, 31, v30
	s_delay_alu instid0(VALU_DEP_1) | instskip(NEXT) | instid1(VALU_DEP_1)
	v_add_nc_u32_e32 v30, v30, v31
	v_ashrrev_i32_e32 v30, 1, v30
	s_delay_alu instid0(VALU_DEP_1) | instskip(NEXT) | instid1(VALU_DEP_1)
	v_add3_u32 v30, v33, v32, v30
	v_ashrrev_i32_e32 v31, 31, v30
	s_delay_alu instid0(VALU_DEP_1) | instskip(NEXT) | instid1(VALU_DEP_1)
	v_lshrrev_b32_e32 v31, 30, v31
	v_add_nc_u32_e32 v30, v30, v31
	s_delay_alu instid0(VALU_DEP_1) | instskip(NEXT) | instid1(VALU_DEP_1)
	v_ashrrev_i32_e32 v30, 2, v30
	v_cvt_f32_i32_e32 v30, v30
	s_delay_alu instid0(VALU_DEP_1) | instskip(SKIP_2) | instid1(VALU_DEP_2)
	v_fmac_f32_e32 v5, v29, v30
	v_add_nc_u32_e32 v29, s7, v16
	v_add_nc_u32_e32 v16, 32, v16
	v_mad_co_u64_u32 v[33:34], null, v29, 36, v[0:1]
	s_clause 0x2
	global_load_b128 v[29:32], v[33:34], off
	global_load_b32 v37, v[33:34], off offset:32
	global_load_b128 v[33:36], v[33:34], off offset:16
	s_wait_loadcnt 0x2
	v_dot4_i32_iu8 v18, v18, v30, 0 neg_lo:[1,1,0]
	s_delay_alu instid0(VALU_DEP_1) | instskip(SKIP_2) | instid1(VALU_DEP_2)
	v_dot4_i32_iu8 v18, v19, v31, v18 neg_lo:[1,1,0]
	s_wait_loadcnt 0x0
	v_dot4_i32_iu8 v19, v22, v34, 0 neg_lo:[1,1,0]
	v_dot4_i32_iu8 v18, v20, v32, v18 neg_lo:[1,1,0]
	s_delay_alu instid0(VALU_DEP_2) | instskip(NEXT) | instid1(VALU_DEP_2)
	v_dot4_i32_iu8 v19, v23, v35, v19 neg_lo:[1,1,0]
	v_dot4_i32_iu8 v18, v21, v33, v18 neg_lo:[1,1,0]
	s_delay_alu instid0(VALU_DEP_2) | instskip(NEXT) | instid1(VALU_DEP_2)
	v_dot4_i32_iu8 v19, v24, v36, v19 neg_lo:[1,1,0]
	v_mul_lo_u32 v20, v18, v28
	s_delay_alu instid0(VALU_DEP_2) | instskip(NEXT) | instid1(VALU_DEP_1)
	v_dot4_i32_iu8 v19, v27, v37, v19 neg_lo:[1,1,0]
	v_add_nc_u32_e32 v18, v19, v18
	v_mul_lo_u32 v21, v19, v26
	s_delay_alu instid0(VALU_DEP_2) | instskip(NEXT) | instid1(VALU_DEP_1)
	v_lshrrev_b32_e32 v19, 31, v18
	v_add_nc_u32_e32 v18, v18, v19
	s_delay_alu instid0(VALU_DEP_1) | instskip(NEXT) | instid1(VALU_DEP_1)
	v_ashrrev_i32_e32 v18, 1, v18
	v_add3_u32 v18, v21, v20, v18
	s_delay_alu instid0(VALU_DEP_1) | instskip(NEXT) | instid1(VALU_DEP_1)
	v_ashrrev_i32_e32 v19, 31, v18
	v_lshrrev_b32_e32 v19, 30, v19
	s_delay_alu instid0(VALU_DEP_1) | instskip(SKIP_1) | instid1(VALU_DEP_2)
	v_add_nc_u32_e32 v18, v18, v19
	v_cvt_f32_f16_e32 v19, v29
	v_ashrrev_i32_e32 v18, 2, v18
	s_delay_alu instid0(VALU_DEP_2) | instskip(NEXT) | instid1(VALU_DEP_2)
	v_mul_f32_e32 v19, v25, v19
	v_cvt_f32_i32_e32 v18, v18
	s_delay_alu instid0(VALU_DEP_1)
	v_fmac_f32_e32 v4, v19, v18
	s_wait_alu 0xfffe
	s_and_not1_b32 exec_lo, exec_lo, s3
	s_cbranch_execnz .LBB179_2
; %bb.3:
	s_or_b32 exec_lo, exec_lo, s3
.LBB179_4:
	s_delay_alu instid0(SALU_CYCLE_1)
	s_or_b32 exec_lo, exec_lo, s21
	s_mov_b32 s3, 0
	; wave barrier
	global_inv scope:SCOPE_SE
	s_mov_b32 s2, exec_lo
	v_cmpx_eq_u32_e32 0, v11
	s_cbranch_execz .LBB179_21
; %bb.5:
	v_mbcnt_lo_u32_b32 v11, -1, 0
	s_load_b64 s[0:1], s[0:1], 0x38
	s_mul_i32 s2, s10, s19
	s_mul_i32 s4, s18, s20
	s_wait_alu 0xfffe
	s_add_co_i32 s2, s2, ttmp9
	v_xor_b32_e32 v0, 16, v11
	v_xor_b32_e32 v1, 8, v11
	;; [unrolled: 1-line block ×3, first 2 shown]
	s_wait_alu 0xfffe
	s_add_co_i32 s2, s2, s4
	s_wait_alu 0xfffe
	s_lshl_b64 s[2:3], s[2:3], 2
	v_cmp_gt_i32_e32 vcc_lo, 32, v0
	s_wait_alu 0xfffd
	v_cndmask_b32_e32 v0, v11, v0, vcc_lo
	v_cmp_gt_i32_e32 vcc_lo, 32, v1
	s_wait_kmcnt 0x0
	s_wait_alu 0xfffe
	s_add_nc_u64 s[0:1], s[0:1], s[2:3]
	s_wait_alu 0xfffd
	v_cndmask_b32_e32 v1, v11, v1, vcc_lo
	s_delay_alu instid0(VALU_DEP_1)
	v_lshlrev_b32_e32 v1, 2, v1
	v_lshlrev_b32_e32 v0, 2, v0
	ds_bpermute_b32 v2, v0, v14
	s_wait_dscnt 0x0
	v_add_f32_e32 v3, v14, v2
	v_xor_b32_e32 v2, 4, v11
	ds_bpermute_b32 v13, v1, v3
	v_cmp_gt_i32_e32 vcc_lo, 32, v2
	s_wait_alu 0xfffd
	v_cndmask_b32_e32 v2, v11, v2, vcc_lo
	s_wait_dscnt 0x0
	v_add_f32_e32 v13, v3, v13
	v_xor_b32_e32 v3, 2, v11
	s_delay_alu instid0(VALU_DEP_1) | instskip(SKIP_3) | instid1(VALU_DEP_2)
	v_cmp_gt_i32_e32 vcc_lo, 32, v3
	s_wait_alu 0xfffd
	v_cndmask_b32_e32 v3, v11, v3, vcc_lo
	v_cmp_gt_i32_e32 vcc_lo, 32, v15
	v_lshlrev_b32_e32 v3, 2, v3
	s_wait_alu 0xfffd
	v_dual_cndmask_b32 v11, v11, v15 :: v_dual_lshlrev_b32 v2, 2, v2
	v_cmp_eq_u32_e32 vcc_lo, 0, v7
	ds_bpermute_b32 v14, v2, v13
	v_lshlrev_b32_e32 v11, 2, v11
	s_wait_dscnt 0x0
	v_add_f32_e32 v13, v13, v14
	ds_bpermute_b32 v14, v3, v13
	s_wait_dscnt 0x0
	v_add_f32_e32 v13, v13, v14
	ds_bpermute_b32 v14, v11, v13
	s_and_saveexec_b32 s2, vcc_lo
	s_cbranch_execz .LBB179_7
; %bb.6:
	s_wait_dscnt 0x0
	v_add_f32_e32 v7, v13, v14
	v_mov_b32_e32 v13, 0
	global_store_b32 v13, v7, s[0:1]
.LBB179_7:
	s_wait_alu 0xfffe
	s_or_b32 exec_lo, exec_lo, s2
	ds_bpermute_b32 v7, v0, v12
	s_wait_dscnt 0x0
	v_add_f32_e32 v7, v12, v7
	ds_bpermute_b32 v12, v1, v7
	s_wait_dscnt 0x0
	v_add_f32_e32 v7, v7, v12
	;; [unrolled: 3-line block ×4, first 2 shown]
	ds_bpermute_b32 v12, v11, v7
	s_and_saveexec_b32 s2, vcc_lo
	s_cbranch_execz .LBB179_9
; %bb.8:
	s_mov_b32 s7, 0
	s_wait_dscnt 0x0
	v_dual_add_f32 v7, v7, v12 :: v_dual_mov_b32 v12, 0
	s_wait_alu 0xfffe
	s_lshl_b64 s[4:5], s[6:7], 2
	s_wait_alu 0xfffe
	s_add_nc_u64 s[4:5], s[0:1], s[4:5]
	global_store_b32 v12, v7, s[4:5]
.LBB179_9:
	s_wait_alu 0xfffe
	s_or_b32 exec_lo, exec_lo, s2
	ds_bpermute_b32 v7, v0, v10
	s_wait_dscnt 0x0
	v_add_f32_e32 v7, v10, v7
	ds_bpermute_b32 v10, v1, v7
	s_wait_dscnt 0x0
	v_add_f32_e32 v7, v7, v10
	;; [unrolled: 3-line block ×4, first 2 shown]
	ds_bpermute_b32 v10, v11, v7
	s_and_saveexec_b32 s2, vcc_lo
	s_cbranch_execz .LBB179_11
; %bb.10:
	s_lshl_b32 s4, s6, 1
	s_mov_b32 s5, 0
	s_wait_dscnt 0x0
	v_dual_add_f32 v7, v7, v10 :: v_dual_mov_b32 v10, 0
	s_wait_alu 0xfffe
	s_lshl_b64 s[4:5], s[4:5], 2
	s_wait_alu 0xfffe
	s_add_nc_u64 s[4:5], s[0:1], s[4:5]
	global_store_b32 v10, v7, s[4:5]
.LBB179_11:
	s_wait_alu 0xfffe
	s_or_b32 exec_lo, exec_lo, s2
	ds_bpermute_b32 v7, v0, v9
	s_wait_dscnt 0x0
	v_add_f32_e32 v7, v9, v7
	ds_bpermute_b32 v9, v1, v7
	s_wait_dscnt 0x0
	v_add_f32_e32 v7, v7, v9
	;; [unrolled: 3-line block ×4, first 2 shown]
	ds_bpermute_b32 v9, v11, v7
	s_and_saveexec_b32 s2, vcc_lo
	s_cbranch_execz .LBB179_13
; %bb.12:
	s_mul_i32 s4, s6, 3
	s_mov_b32 s5, 0
	s_wait_dscnt 0x0
	v_add_f32_e32 v7, v7, v9
	v_mov_b32_e32 v9, 0
	s_wait_alu 0xfffe
	s_lshl_b64 s[4:5], s[4:5], 2
	s_wait_alu 0xfffe
	s_add_nc_u64 s[4:5], s[0:1], s[4:5]
	global_store_b32 v9, v7, s[4:5]
.LBB179_13:
	s_wait_alu 0xfffe
	s_or_b32 exec_lo, exec_lo, s2
	ds_bpermute_b32 v7, v0, v8
	s_wait_dscnt 0x0
	v_add_f32_e32 v7, v8, v7
	ds_bpermute_b32 v8, v1, v7
	s_wait_dscnt 0x0
	v_add_f32_e32 v7, v7, v8
	;; [unrolled: 3-line block ×4, first 2 shown]
	ds_bpermute_b32 v8, v11, v7
	s_and_saveexec_b32 s2, vcc_lo
	s_cbranch_execz .LBB179_15
; %bb.14:
	s_lshl_b32 s4, s6, 2
	s_mov_b32 s5, 0
	s_wait_dscnt 0x0
	v_dual_add_f32 v7, v7, v8 :: v_dual_mov_b32 v8, 0
	s_wait_alu 0xfffe
	s_lshl_b64 s[4:5], s[4:5], 2
	s_wait_alu 0xfffe
	s_add_nc_u64 s[4:5], s[0:1], s[4:5]
	global_store_b32 v8, v7, s[4:5]
.LBB179_15:
	s_wait_alu 0xfffe
	s_or_b32 exec_lo, exec_lo, s2
	ds_bpermute_b32 v7, v0, v6
	s_wait_dscnt 0x0
	v_add_f32_e32 v6, v6, v7
	ds_bpermute_b32 v7, v1, v6
	s_wait_dscnt 0x0
	v_add_f32_e32 v6, v6, v7
	ds_bpermute_b32 v7, v2, v6
	s_wait_dscnt 0x0
	v_add_f32_e32 v6, v6, v7
	ds_bpermute_b32 v7, v3, v6
	s_wait_dscnt 0x0
	v_add_f32_e32 v6, v6, v7
	ds_bpermute_b32 v7, v11, v6
	s_and_saveexec_b32 s2, vcc_lo
	s_cbranch_execz .LBB179_17
; %bb.16:
	s_mul_i32 s4, s6, 5
	s_mov_b32 s5, 0
	s_wait_dscnt 0x0
	v_dual_add_f32 v6, v6, v7 :: v_dual_mov_b32 v7, 0
	s_wait_alu 0xfffe
	s_lshl_b64 s[4:5], s[4:5], 2
	s_wait_alu 0xfffe
	s_add_nc_u64 s[4:5], s[0:1], s[4:5]
	global_store_b32 v7, v6, s[4:5]
.LBB179_17:
	s_wait_alu 0xfffe
	s_or_b32 exec_lo, exec_lo, s2
	ds_bpermute_b32 v6, v0, v5
	s_wait_dscnt 0x0
	v_add_f32_e32 v5, v5, v6
	ds_bpermute_b32 v6, v1, v5
	s_wait_dscnt 0x0
	v_add_f32_e32 v5, v5, v6
	;; [unrolled: 3-line block ×4, first 2 shown]
	ds_bpermute_b32 v6, v11, v5
	s_and_saveexec_b32 s2, vcc_lo
	s_cbranch_execz .LBB179_19
; %bb.18:
	s_mul_i32 s4, s6, 6
	s_mov_b32 s5, 0
	s_wait_dscnt 0x0
	v_dual_add_f32 v5, v5, v6 :: v_dual_mov_b32 v6, 0
	s_wait_alu 0xfffe
	s_lshl_b64 s[4:5], s[4:5], 2
	s_wait_alu 0xfffe
	s_add_nc_u64 s[4:5], s[0:1], s[4:5]
	global_store_b32 v6, v5, s[4:5]
.LBB179_19:
	s_wait_alu 0xfffe
	s_or_b32 exec_lo, exec_lo, s2
	ds_bpermute_b32 v0, v0, v4
	s_wait_dscnt 0x0
	v_add_f32_e32 v0, v4, v0
	ds_bpermute_b32 v1, v1, v0
	s_wait_dscnt 0x0
	v_add_f32_e32 v0, v0, v1
	;; [unrolled: 3-line block ×4, first 2 shown]
	ds_bpermute_b32 v1, v11, v0
	s_and_b32 exec_lo, exec_lo, vcc_lo
	s_cbranch_execz .LBB179_21
; %bb.20:
	s_mul_i32 s2, s6, 7
	s_mov_b32 s3, 0
	s_wait_dscnt 0x0
	v_dual_add_f32 v0, v0, v1 :: v_dual_mov_b32 v1, 0
	s_wait_alu 0xfffe
	s_lshl_b64 s[2:3], s[2:3], 2
	s_wait_alu 0xfffe
	s_add_nc_u64 s[0:1], s[0:1], s[2:3]
	global_store_b32 v1, v0, s[0:1]
.LBB179_21:
	s_endpgm
	.section	.rodata,"a",@progbits
	.p2align	6, 0x0
	.amdhsa_kernel _ZL13mul_mat_vec_qIL9ggml_type17ELi8ELb0ELb0EEvPKvS2_PKi31ggml_cuda_mm_fusion_args_devicePfj15HIP_vector_typeIjLj3EEjjjS8_jjjS8_jjjj
		.amdhsa_group_segment_fixed_size 0
		.amdhsa_private_segment_fixed_size 0
		.amdhsa_kernarg_size 144
		.amdhsa_user_sgpr_count 2
		.amdhsa_user_sgpr_dispatch_ptr 0
		.amdhsa_user_sgpr_queue_ptr 0
		.amdhsa_user_sgpr_kernarg_segment_ptr 1
		.amdhsa_user_sgpr_dispatch_id 0
		.amdhsa_user_sgpr_private_segment_size 0
		.amdhsa_wavefront_size32 1
		.amdhsa_uses_dynamic_stack 0
		.amdhsa_enable_private_segment 0
		.amdhsa_system_sgpr_workgroup_id_x 1
		.amdhsa_system_sgpr_workgroup_id_y 1
		.amdhsa_system_sgpr_workgroup_id_z 1
		.amdhsa_system_sgpr_workgroup_info 0
		.amdhsa_system_vgpr_workitem_id 1
		.amdhsa_next_free_vgpr 38
		.amdhsa_next_free_sgpr 28
		.amdhsa_reserve_vcc 1
		.amdhsa_float_round_mode_32 0
		.amdhsa_float_round_mode_16_64 0
		.amdhsa_float_denorm_mode_32 3
		.amdhsa_float_denorm_mode_16_64 3
		.amdhsa_fp16_overflow 0
		.amdhsa_workgroup_processor_mode 1
		.amdhsa_memory_ordered 1
		.amdhsa_forward_progress 1
		.amdhsa_inst_pref_size 51
		.amdhsa_round_robin_scheduling 0
		.amdhsa_exception_fp_ieee_invalid_op 0
		.amdhsa_exception_fp_denorm_src 0
		.amdhsa_exception_fp_ieee_div_zero 0
		.amdhsa_exception_fp_ieee_overflow 0
		.amdhsa_exception_fp_ieee_underflow 0
		.amdhsa_exception_fp_ieee_inexact 0
		.amdhsa_exception_int_div_zero 0
	.end_amdhsa_kernel
	.section	.text._ZL13mul_mat_vec_qIL9ggml_type17ELi8ELb0ELb0EEvPKvS2_PKi31ggml_cuda_mm_fusion_args_devicePfj15HIP_vector_typeIjLj3EEjjjS8_jjjS8_jjjj,"axG",@progbits,_ZL13mul_mat_vec_qIL9ggml_type17ELi8ELb0ELb0EEvPKvS2_PKi31ggml_cuda_mm_fusion_args_devicePfj15HIP_vector_typeIjLj3EEjjjS8_jjjS8_jjjj,comdat
.Lfunc_end179:
	.size	_ZL13mul_mat_vec_qIL9ggml_type17ELi8ELb0ELb0EEvPKvS2_PKi31ggml_cuda_mm_fusion_args_devicePfj15HIP_vector_typeIjLj3EEjjjS8_jjjS8_jjjj, .Lfunc_end179-_ZL13mul_mat_vec_qIL9ggml_type17ELi8ELb0ELb0EEvPKvS2_PKi31ggml_cuda_mm_fusion_args_devicePfj15HIP_vector_typeIjLj3EEjjjS8_jjjS8_jjjj
                                        ; -- End function
	.set _ZL13mul_mat_vec_qIL9ggml_type17ELi8ELb0ELb0EEvPKvS2_PKi31ggml_cuda_mm_fusion_args_devicePfj15HIP_vector_typeIjLj3EEjjjS8_jjjS8_jjjj.num_vgpr, 38
	.set _ZL13mul_mat_vec_qIL9ggml_type17ELi8ELb0ELb0EEvPKvS2_PKi31ggml_cuda_mm_fusion_args_devicePfj15HIP_vector_typeIjLj3EEjjjS8_jjjS8_jjjj.num_agpr, 0
	.set _ZL13mul_mat_vec_qIL9ggml_type17ELi8ELb0ELb0EEvPKvS2_PKi31ggml_cuda_mm_fusion_args_devicePfj15HIP_vector_typeIjLj3EEjjjS8_jjjS8_jjjj.numbered_sgpr, 28
	.set _ZL13mul_mat_vec_qIL9ggml_type17ELi8ELb0ELb0EEvPKvS2_PKi31ggml_cuda_mm_fusion_args_devicePfj15HIP_vector_typeIjLj3EEjjjS8_jjjS8_jjjj.num_named_barrier, 0
	.set _ZL13mul_mat_vec_qIL9ggml_type17ELi8ELb0ELb0EEvPKvS2_PKi31ggml_cuda_mm_fusion_args_devicePfj15HIP_vector_typeIjLj3EEjjjS8_jjjS8_jjjj.private_seg_size, 0
	.set _ZL13mul_mat_vec_qIL9ggml_type17ELi8ELb0ELb0EEvPKvS2_PKi31ggml_cuda_mm_fusion_args_devicePfj15HIP_vector_typeIjLj3EEjjjS8_jjjS8_jjjj.uses_vcc, 1
	.set _ZL13mul_mat_vec_qIL9ggml_type17ELi8ELb0ELb0EEvPKvS2_PKi31ggml_cuda_mm_fusion_args_devicePfj15HIP_vector_typeIjLj3EEjjjS8_jjjS8_jjjj.uses_flat_scratch, 0
	.set _ZL13mul_mat_vec_qIL9ggml_type17ELi8ELb0ELb0EEvPKvS2_PKi31ggml_cuda_mm_fusion_args_devicePfj15HIP_vector_typeIjLj3EEjjjS8_jjjS8_jjjj.has_dyn_sized_stack, 0
	.set _ZL13mul_mat_vec_qIL9ggml_type17ELi8ELb0ELb0EEvPKvS2_PKi31ggml_cuda_mm_fusion_args_devicePfj15HIP_vector_typeIjLj3EEjjjS8_jjjS8_jjjj.has_recursion, 0
	.set _ZL13mul_mat_vec_qIL9ggml_type17ELi8ELb0ELb0EEvPKvS2_PKi31ggml_cuda_mm_fusion_args_devicePfj15HIP_vector_typeIjLj3EEjjjS8_jjjS8_jjjj.has_indirect_call, 0
	.section	.AMDGPU.csdata,"",@progbits
; Kernel info:
; codeLenInByte = 6424
; TotalNumSgprs: 30
; NumVgprs: 38
; ScratchSize: 0
; MemoryBound: 0
; FloatMode: 240
; IeeeMode: 1
; LDSByteSize: 0 bytes/workgroup (compile time only)
; SGPRBlocks: 0
; VGPRBlocks: 4
; NumSGPRsForWavesPerEU: 30
; NumVGPRsForWavesPerEU: 38
; Occupancy: 16
; WaveLimiterHint : 0
; COMPUTE_PGM_RSRC2:SCRATCH_EN: 0
; COMPUTE_PGM_RSRC2:USER_SGPR: 2
; COMPUTE_PGM_RSRC2:TRAP_HANDLER: 0
; COMPUTE_PGM_RSRC2:TGID_X_EN: 1
; COMPUTE_PGM_RSRC2:TGID_Y_EN: 1
; COMPUTE_PGM_RSRC2:TGID_Z_EN: 1
; COMPUTE_PGM_RSRC2:TIDIG_COMP_CNT: 1
	.section	.text._ZL17mul_mat_vec_q_moeIL9ggml_type22ELi2EEvPKvS2_PKiPfj15HIP_vector_typeIjLj3EEjjjjjjjjj,"axG",@progbits,_ZL17mul_mat_vec_q_moeIL9ggml_type22ELi2EEvPKvS2_PKiPfj15HIP_vector_typeIjLj3EEjjjjjjjjj,comdat
	.globl	_ZL17mul_mat_vec_q_moeIL9ggml_type22ELi2EEvPKvS2_PKiPfj15HIP_vector_typeIjLj3EEjjjjjjjjj ; -- Begin function _ZL17mul_mat_vec_q_moeIL9ggml_type22ELi2EEvPKvS2_PKiPfj15HIP_vector_typeIjLj3EEjjjjjjjjj
	.p2align	8
	.type	_ZL17mul_mat_vec_q_moeIL9ggml_type22ELi2EEvPKvS2_PKiPfj15HIP_vector_typeIjLj3EEjjjjjjjjj,@function
_ZL17mul_mat_vec_q_moeIL9ggml_type22ELi2EEvPKvS2_PKiPfj15HIP_vector_typeIjLj3EEjjjjjjjjj: ; @_ZL17mul_mat_vec_q_moeIL9ggml_type22ELi2EEvPKvS2_PKiPfj15HIP_vector_typeIjLj3EEjjjjjjjjj
; %bb.0:
	s_load_b256 s[4:11], s[0:1], 0x30
	v_bfe_u32 v13, v0, 10, 10
	s_mov_b32 s2, exec_lo
	s_wait_kmcnt 0x0
	s_delay_alu instid0(VALU_DEP_1)
	v_cmpx_gt_u32_e64 s11, v13
	s_cbranch_execz .LBB180_7
; %bb.1:
	s_clause 0x2
	s_load_b32 s3, s[0:1], 0x20
	s_load_b32 s2, s[0:1], 0x50
	s_load_b256 s[12:19], s[0:1], 0x0
	v_bfe_u32 v15, v0, 3, 7
	v_and_b32_e32 v14, 0x3ff, v0
	v_mov_b32_e32 v16, 0
	v_mov_b32_e32 v8, 0
	s_mov_b32 s20, exec_lo
	s_wait_kmcnt 0x0
	s_lshr_b32 s11, s3, 8
	s_lshl_b32 s3, ttmp9, 1
	s_wait_alu 0xfffe
	v_cmpx_gt_u32_e64 s11, v15
	s_cbranch_execz .LBB180_5
; %bb.2:
	s_mov_b32 s22, ttmp7
	v_lshrrev_b32_e32 v3, 3, v14
	v_mad_co_u64_u32 v[7:8], null, s2, v13, s[22:23]
	v_dual_mov_b32 v8, 0 :: v_dual_and_b32 v17, 7, v14
	s_load_b96 s[0:2], s[0:1], 0x24
	s_delay_alu instid0(VALU_DEP_1) | instskip(NEXT) | instid1(VALU_DEP_3)
	v_mov_b32_e32 v16, v8
	v_lshlrev_b64_e32 v[0:1], 2, v[7:8]
	s_delay_alu instid0(VALU_DEP_1) | instskip(NEXT) | instid1(VALU_DEP_1)
	v_add_co_u32 v0, vcc_lo, s16, v0
	v_add_co_ci_u32_e64 v1, null, s17, v1, vcc_lo
	global_load_b32 v2, v[0:1], off
	v_mul_lo_u32 v0, s6, v13
	s_wait_kmcnt 0x0
	s_mul_hi_u32 s0, s0, ttmp7
	s_delay_alu instid0(SALU_CYCLE_1) | instskip(NEXT) | instid1(SALU_CYCLE_1)
	s_add_co_i32 s0, ttmp7, s0
	s_lshr_b32 s0, s0, s1
	s_delay_alu instid0(VALU_DEP_1) | instskip(SKIP_1) | instid1(SALU_CYCLE_1)
	v_mad_co_u64_u32 v[0:1], null, v0, 36, 0
	s_mul_i32 s0, s0, s2
	s_sub_co_i32 s0, ttmp7, s0
	s_delay_alu instid0(SALU_CYCLE_1) | instskip(SKIP_2) | instid1(VALU_DEP_1)
	s_mul_i32 s0, s0, s9
	v_mad_co_u64_u32 v[0:1], null, 0x120, v3, v[0:1]
	v_lshlrev_b32_e32 v3, 1, v17
	v_lshlrev_b32_e32 v18, 1, v3
	s_delay_alu instid0(VALU_DEP_3) | instskip(SKIP_2) | instid1(VALU_DEP_1)
	v_mad_co_u64_u32 v[0:1], null, s0, 36, v[0:1]
	s_add_co_i32 s0, s3, 1
	v_mad_co_u64_u32 v[0:1], null, v17, 36, v[0:1]
	v_add_co_u32 v0, vcc_lo, s14, v0
	s_wait_alu 0xfffd
	s_delay_alu instid0(VALU_DEP_2) | instskip(SKIP_2) | instid1(VALU_DEP_1)
	v_add_co_ci_u32_e64 v1, null, s15, v1, vcc_lo
	s_wait_loadcnt 0x0
	v_mul_lo_u32 v2, v2, s8
	v_mad_co_u64_u32 v[9:10], null, s3, s5, v[2:3]
	s_wait_alu 0xfffe
	v_mad_co_u64_u32 v[10:11], null, s5, s0, v[2:3]
	v_add_co_u32 v11, vcc_lo, v0, 32
	s_wait_alu 0xfffd
	v_add_co_ci_u32_e64 v12, null, 0, v1, vcc_lo
	s_mov_b32 s5, 0
.LBB180_3:                              ; =>This Inner Loop Header: Depth=1
	s_clause 0x2
	global_load_b128 v[0:3], v[11:12], off offset:-32
	global_load_b128 v[4:7], v[11:12], off offset:-16
	global_load_b32 v21, v[11:12], off
	s_getpc_b64 s[0:1]
	s_wait_alu 0xfffe
	s_sext_i32_i16 s1, s1
	s_add_co_u32 s0, s0, _ZL9iq2s_grid@rel32@lo+12
	s_wait_alu 0xfffe
	s_add_co_ci_u32 s1, s1, _ZL9iq2s_grid@rel32@hi+24
	s_wait_loadcnt 0x2
	v_cvt_f32_f16_e32 v0, v0
	v_add_nc_u32_e32 v19, v9, v15
	v_add_nc_u32_e32 v20, v10, v15
	;; [unrolled: 1-line block ×3, first 2 shown]
	s_delay_alu instid0(VALU_DEP_3) | instskip(NEXT) | instid1(VALU_DEP_3)
	v_mad_co_i64_i32 v[24:25], null, 0x52, v19, s[12:13]
	v_mad_co_i64_i32 v[19:20], null, 0x52, v20, s[12:13]
	s_delay_alu instid0(VALU_DEP_2) | instskip(SKIP_1) | instid1(VALU_DEP_3)
	v_add_co_u32 v22, vcc_lo, v24, v18
	s_wait_alu 0xfffd
	v_add_co_ci_u32_e64 v23, null, 0, v25, vcc_lo
	v_add_co_u32 v26, vcc_lo, v24, v17
	s_wait_alu 0xfffd
	v_add_co_ci_u32_e64 v27, null, 0, v25, vcc_lo
	;; [unrolled: 3-line block ×4, first 2 shown]
	s_clause 0x9
	global_load_b32 v32, v[22:23], off offset:2
	global_load_b32 v33, v[22:23], off offset:34
	global_load_u8 v34, v[26:27], off offset:66
	global_load_b32 v35, v[28:29], off offset:2
	global_load_u8 v36, v[30:31], off offset:66
	global_load_b32 v28, v[28:29], off offset:34
	global_load_u16 v19, v[19:20], off
	global_load_u8 v23, v[26:27], off offset:74
	global_load_u16 v20, v[24:25], off
	global_load_u8 v22, v[30:31], off offset:74
	s_wait_loadcnt 0x9
	v_and_b32_e32 v26, 0xff, v32
	s_wait_loadcnt 0x8
	v_and_b32_e32 v29, 0xff, v33
	s_wait_loadcnt 0x7
	v_lshlrev_b32_e32 v27, 8, v34
	v_lshlrev_b32_e32 v30, 21, v33
	v_bfe_u32 v39, v32, 8, 8
	v_lshlrev_b32_e32 v40, 6, v34
	v_lshrrev_b32_e32 v24, 24, v32
	v_bfe_u32 v32, v32, 16, 8
	v_lshlrev_b32_e32 v47, 4, v34
	v_lshlrev_b32_e32 v34, 2, v34
	v_lshrrev_b32_e32 v25, 16, v33
	v_lshrrev_b32_e32 v31, 2, v33
	v_lshlrev_b32_e32 v37, 17, v33
	v_lshrrev_b32_e32 v38, 6, v33
	v_lshrrev_b32_e32 v41, 1, v33
	;; [unrolled: 1-line block ×17, first 2 shown]
	s_wait_loadcnt 0x6
	v_and_b32_e32 v57, 0xff, v35
	s_wait_loadcnt 0x5
	v_lshlrev_b32_e32 v58, 8, v36
	v_and_or_b32 v26, 0x300, v27, v26
	s_wait_loadcnt 0x4
	v_and_b32_e32 v59, 0xff, v28
	v_lshlrev_b32_e32 v62, 17, v28
	v_bfe_u32 v72, v35, 16, 8
	v_lshlrev_b32_e32 v73, 4, v36
	v_lshl_or_b32 v27, v29, 7, v30
	v_and_or_b32 v30, 0x300, v40, v39
	v_lshlrev_b32_e32 v60, 21, v28
	v_lshrrev_b32_e32 v61, 2, v28
	v_lshrrev_b32_e32 v63, 6, v28
	;; [unrolled: 1-line block ×19, first 2 shown]
	v_and_or_b32 v32, 0x300, v47, v32
	v_and_or_b32 v24, 0x300, v34, v24
	v_and_b32_e32 v40, 0x180, v44
	v_bfe_i32 v44, v49, 0, 1
	v_bfe_i32 v49, v33, 0, 1
	v_and_or_b32 v33, 0x300, v58, v57
	v_bfe_u32 v64, v35, 8, 8
	v_lshlrev_b32_e32 v65, 6, v36
	v_lshrrev_b32_e32 v35, 24, v35
	v_lshlrev_b32_e32 v36, 2, v36
	v_bfe_i32 v84, v31, 0, 1
	v_lshl_or_b32 v29, v29, 3, v37
	v_and_b32_e32 v31, 0x180, v41
	v_bfe_i32 v39, v43, 0, 1
	v_lshl_or_b32 v43, v25, 21, v48
	v_lshl_or_b32 v25, v25, 17, v50
	v_lshlrev_b32_e32 v26, 3, v26
	v_and_or_b32 v34, 0x1fe00000, v53, v52
	v_lshl_or_b32 v52, v59, 3, v62
	v_and_or_b32 v62, 0x300, v73, v72
	v_and_b32_e32 v72, 0x1800180, v27
	v_bfe_u32 v73, v27, 24, 1
	v_lshlrev_b32_e32 v27, 3, v30
	v_bfe_i32 v41, v45, 0, 1
	v_bfe_i32 v45, v51, 0, 1
	;; [unrolled: 1-line block ×5, first 2 shown]
	v_lshlrev_b32_e32 v28, 3, v32
	v_lshlrev_b32_e32 v30, 3, v24
	;; [unrolled: 1-line block ×3, first 2 shown]
	v_bfe_i32 v37, v42, 0, 1
	v_bfe_i32 v42, v46, 0, 1
	;; [unrolled: 1-line block ×3, first 2 shown]
	v_lshrrev_b16 v47, 8, v55
	v_lshrrev_b16 v48, 7, v55
	v_bfe_i32 v53, v63, 0, 1
	v_and_or_b32 v54, 0x300, v65, v64
	v_and_b32_e32 v55, 0x180, v66
	v_lshl_or_b32 v63, v74, 17, v75
	v_lshl_or_b32 v64, v74, 21, v76
	v_bfe_i32 v66, v78, 0, 1
	v_and_or_b32 v35, 0x300, v36, v35
	v_and_or_b32 v36, 0x1fe00000, v80, v79
	v_and_b32_e32 v75, 0x1800180, v29
	v_bfe_u32 v76, v29, 24, 1
	v_lshrrev_b16 v78, 8, v31
	v_lshrrev_b16 v79, 7, v31
	v_and_b32_e32 v86, 0x1800180, v25
	v_bfe_u32 v87, v25, 24, 1
	s_clause 0x4
	global_load_b64 v[24:25], v26, s[0:1]
	global_load_b64 v[26:27], v27, s[0:1]
	;; [unrolled: 1-line block ×5, first 2 shown]
	v_cmp_ne_u16_e32 vcc_lo, 0, v56
	v_lshl_or_b32 v50, v59, 7, v60
	v_bfe_i32 v60, v70, 0, 1
	v_and_b32_e32 v89, 0x1800180, v34
	v_bfe_u32 v90, v34, 24, 1
	s_wait_alu 0xfffd
	v_cndmask_b32_e64 v56, 0, -1, vcc_lo
	v_cmp_ne_u16_e32 vcc_lo, 0, v81
	v_bfe_i32 v34, v47, 0, 1
	v_lshlrev_b16 v80, 8, v37
	v_and_b32_e32 v37, 0xff, v39
	v_lshrrev_b16 v81, 8, v40
	s_wait_alu 0xfffd
	v_cndmask_b32_e64 v70, 0, -1, vcc_lo
	v_cmp_ne_u16_e32 vcc_lo, 0, v73
	v_lshlrev_b16 v113, 8, v34
	v_or_b32_e32 v109, v37, v80
	v_and_b32_e32 v59, 0x180, v69
	v_bfe_i32 v69, v83, 0, 1
	s_wait_alu 0xfffd
	v_cndmask_b32_e64 v34, 0, -1, vcc_lo
	v_cmp_ne_u16_e32 vcc_lo, 0, v76
	v_and_b32_e32 v83, 0x1800180, v43
	v_bfe_u32 v43, v43, 24, 1
	v_bfe_u32 v104, v36, 24, 1
	v_and_b32_e32 v105, 0x1800180, v36
	s_wait_alu 0xfffd
	v_cndmask_b32_e64 v37, 0, -1, vcc_lo
	v_cmp_ne_u16_e32 vcc_lo, 0, v78
	v_lshlrev_b32_e32 v36, 3, v35
	v_lshrrev_b16 v35, 8, v72
	v_lshrrev_b16 v72, 7, v72
	;; [unrolled: 1-line block ×3, first 2 shown]
	s_wait_alu 0xfffd
	v_cndmask_b32_e64 v73, 0, -1, vcc_lo
	v_cmp_ne_u16_e32 vcc_lo, 0, v81
	v_and_b32_e32 v74, 0xff, v84
	v_bfe_i32 v72, v72, 0, 1
	v_lshrrev_b16 v75, 7, v75
	v_bfe_i32 v38, v38, 0, 1
	s_wait_alu 0xfffd
	v_cndmask_b32_e64 v76, 0, -1, vcc_lo
	v_cmp_ne_u16_e32 vcc_lo, 0, v43
	v_bfe_i32 v65, v77, 0, 1
	v_bfe_i32 v75, v75, 0, 1
	v_and_b32_e32 v77, 0xff, v38
	v_lshlrev_b32_e32 v54, 3, v54
	s_wait_alu 0xfffd
	v_cndmask_b32_e64 v43, 0, -1, vcc_lo
	v_cmp_ne_u16_e32 vcc_lo, 0, v87
	v_lshlrev_b16 v87, 8, v34
	v_lshlrev_b32_e32 v62, 3, v62
	v_and_b32_e32 v92, 0x1800180, v50
	v_bfe_u32 v50, v50, 24, 1
	s_wait_alu 0xfffd
	v_cndmask_b32_e64 v78, 0, -1, vcc_lo
	v_cmp_ne_u16_e32 vcc_lo, 0, v35
	v_and_b32_e32 v94, 0x1800180, v52
	v_bfe_u32 v52, v52, 24, 1
	v_lshrrev_b16 v96, 8, v55
	v_bfe_i32 v57, v67, 0, 1
	s_wait_alu 0xfffd
	v_cndmask_b32_e64 v35, 0, -1, vcc_lo
	v_cmp_ne_u16_e32 vcc_lo, 0, v108
	v_lshlrev_b16 v108, 8, v37
	v_and_b32_e32 v37, 0xff, v72
	v_bfe_i32 v58, v68, 0, 1
	v_lshlrev_b16 v115, 8, v35
	v_or_b32_e32 v35, v74, v87
	s_wait_alu 0xfffd
	v_cndmask_b32_e64 v34, 0, -1, vcc_lo
	v_lshrrev_b16 v98, 8, v59
	v_lshlrev_b16 v57, 8, v57
	v_or_b32_e32 v37, v37, v115
	v_lshlrev_b32_e32 v35, 16, v35
	v_lshlrev_b16 v74, 8, v34
	v_or_b32_e32 v34, v77, v108
	v_and_b32_e32 v97, 0xff, v58
	v_and_b32_e32 v37, 0xffff, v37
	v_bfe_u32 v101, v64, 24, 1
	v_bfe_i32 v79, v79, 0, 1
	v_lshlrev_b32_e32 v34, 16, v34
	v_lshrrev_b16 v81, 8, v92
	v_or_b32_e32 v35, v37, v35
	v_and_b32_e32 v37, 0xff, v75
	v_lshlrev_b16 v73, 8, v73
	v_lshrrev_b16 v40, 7, v40
	v_lshrrev_b16 v67, 8, v82
	;; [unrolled: 1-line block ×3, first 2 shown]
	v_or_b32_e32 v37, v37, v74
	v_lshlrev_b16 v41, 8, v41
	v_bfe_i32 v40, v40, 0, 1
	v_and_b32_e32 v82, 0xff, v42
	v_lshlrev_b16 v76, 8, v76
	v_and_b32_e32 v37, 0xffff, v37
	v_lshrrev_b16 v110, 8, v83
	v_lshrrev_b16 v83, 7, v83
	v_or_b32_e32 v82, v82, v41
	v_and_b32_e32 v85, 0xff, v44
	v_or_b32_e32 v34, v37, v34
	v_cmp_ne_u16_e64 s2, 0, v110
	v_bfe_i32 v83, v83, 0, 1
	v_lshlrev_b32_e32 v82, 16, v82
	v_bfe_u32 v100, v63, 24, 1
	v_lshrrev_b16 v111, 8, v86
	v_lshlrev_b16 v43, 8, v43
	v_lshrrev_b16 v86, 7, v86
	v_and_b32_e32 v88, 0xff, v45
	v_cmp_ne_u16_e32 vcc_lo, 0, v100
	v_lshlrev_b16 v78, 8, v78
	v_or_b32_e32 v85, v85, v43
	v_bfe_i32 v86, v86, 0, 1
	v_lshrrev_b16 v59, 7, v59
	v_and_b32_e32 v64, 0x1800180, v64
	v_or_b32_e32 v88, v88, v78
	v_lshlrev_b32_e32 v85, 16, v85
	v_lshlrev_b16 v60, 8, v60
	v_bfe_i32 v59, v59, 0, 1
	v_and_b32_e32 v99, 0xff, v61
	v_lshlrev_b32_e32 v88, 16, v88
	v_lshrrev_b16 v112, 8, v89
	v_lshrrev_b16 v89, 7, v89
	;; [unrolled: 1-line block ×3, first 2 shown]
	v_and_b32_e32 v91, 0xff, v46
	v_and_b32_e32 v93, 0xff, v51
	v_bfe_i32 v47, v48, 0, 1
	v_bfe_i32 v89, v89, 0, 1
	v_and_b32_e32 v48, 0xff, v49
	v_lshlrev_b16 v56, 8, v56
	v_and_b32_e32 v95, 0xff, v53
	v_and_b32_e32 v114, 0xff, v47
	v_bfe_i32 v67, v67, 0, 1
	v_bfe_i32 v68, v68, 0, 1
	v_or_b32_e32 v48, v48, v56
	v_lshlrev_b16 v70, 8, v70
	v_and_b32_e32 v106, 0xff, v69
	v_and_b32_e32 v63, 0x1800180, v63
	v_lshlrev_b16 v67, 8, v67
	v_lshlrev_b32_e32 v48, 16, v48
	v_lshrrev_b16 v55, 7, v55
	v_and_b32_e32 v102, 0xff, v65
	v_and_b32_e32 v103, 0xff, v66
	;; [unrolled: 1-line block ×3, first 2 shown]
	v_lshlrev_b16 v72, 8, v72
	v_bfe_i32 v55, v55, 0, 1
	v_lshlrev_b16 v47, 8, v47
	v_lshlrev_b16 v75, 8, v75
	;; [unrolled: 1-line block ×18, first 2 shown]
	s_wait_loadcnt 0x4
	v_xor_b32_e32 v116, v24, v35
	v_xor_b32_e32 v117, v25, v34
	s_clause 0x2
	global_load_b64 v[24:25], v54, s[0:1]
	global_load_b64 v[34:35], v62, s[0:1]
	;; [unrolled: 1-line block ×3, first 2 shown]
	v_cmp_ne_u16_e64 s0, 0, v90
	v_lshrrev_b16 v54, 7, v92
	v_or_b32_e32 v92, v97, v57
	v_cmp_ne_u16_e64 s1, 0, v104
	v_lshlrev_b32_e32 v104, 16, v109
	s_wait_alu 0xf1ff
	v_cndmask_b32_e64 v90, 0, -1, s0
	v_cmp_ne_u16_e64 s0, 0, v50
	v_lshrrev_b16 v62, 7, v94
	v_or_b32_e32 v94, v99, v60
	v_bfe_i32 v54, v54, 0, 1
	v_lshlrev_b16 v90, 8, v90
	s_wait_alu 0xf1ff
	v_cndmask_b32_e64 v50, 0, -1, s0
	v_cmp_ne_u16_e64 s0, 0, v52
	v_lshlrev_b32_e32 v94, 16, v94
	v_bfe_i32 v62, v62, 0, 1
	v_or_b32_e32 v91, v91, v90
	v_lshlrev_b16 v50, 8, v50
	s_wait_alu 0xf1ff
	v_cndmask_b32_e64 v52, 0, -1, s0
	v_cmp_ne_u16_e64 s0, 0, v96
	v_or_b32_e32 v109, v114, v113
	v_lshlrev_b32_e32 v91, 16, v91
	v_or_b32_e32 v93, v93, v50
	v_lshlrev_b16 v52, 8, v52
	s_wait_alu 0xf1ff
	v_cndmask_b32_e64 v96, 0, -1, s0
	v_cmp_ne_u16_e64 s0, 0, v98
	v_lshrrev_b16 v98, 8, v64
	v_lshlrev_b32_e32 v93, 16, v93
	v_lshrrev_b16 v64, 7, v64
	v_and_b32_e32 v109, 0xffff, v109
	s_wait_alu 0xf1ff
	v_cndmask_b32_e64 v97, 0, -1, s0
	v_cmp_ne_u16_e64 s0, 0, v101
	v_and_b32_e32 v101, 0xff, v79
	v_or_b32_e32 v95, v95, v52
	v_bfe_i32 v64, v64, 0, 1
	v_lshlrev_b16 v97, 8, v97
	s_wait_alu 0xf1ff
	v_cndmask_b32_e64 v100, 0, -1, s0
	v_or_b32_e32 v101, v101, v73
	v_cmp_ne_u16_e64 s0, 0, v111
	v_or_b32_e32 v48, v109, v48
	v_lshlrev_b32_e32 v95, 16, v95
	v_lshrrev_b16 v99, 8, v63
	v_and_b32_e32 v101, 0xffff, v101
	v_lshlrev_b16 v100, 8, v100
	v_lshrrev_b16 v63, 7, v63
	v_lshlrev_b16 v96, 8, v96
	v_lshlrev_b32_e32 v92, 16, v92
	v_or_b32_e32 v101, v101, v104
	v_and_b32_e32 v104, 0xff, v40
	v_or_b32_e32 v102, v102, v100
	v_bfe_i32 v63, v63, 0, 1
	v_lshlrev_b16 v79, 8, v79
	s_wait_loadcnt 0x6
	v_xor_b32_e32 v26, v26, v101
	v_or_b32_e32 v104, v104, v76
	v_and_b32_e32 v101, 0xff, v83
	v_lshlrev_b32_e32 v102, 16, v102
	s_wait_loadcnt 0x4
	v_xor_b32_e32 v31, v31, v48
	v_lshlrev_b16 v40, 8, v40
	v_and_b32_e32 v104, 0xffff, v104
	v_lshlrev_b16 v83, 8, v83
	v_and_b32_e32 v48, 0xffffff00, v116
	v_lshrrev_b32_e32 v114, 16, v117
	s_delay_alu instid0(VALU_DEP_4) | instskip(SKIP_1) | instid1(VALU_DEP_4)
	v_or_b32_e32 v82, v104, v82
	v_cndmask_b32_e64 v104, 0, -1, s2
	v_sub_nc_i16 v48, v48, v115 clamp
	s_delay_alu instid0(VALU_DEP_3) | instskip(NEXT) | instid1(VALU_DEP_3)
	v_xor_b32_e32 v27, v27, v82
	v_lshlrev_b16 v104, 8, v104
	s_wait_alu 0xf1ff
	v_cndmask_b32_e64 v82, 0, -1, s0
	v_cmp_ne_u16_e64 s0, 0, v112
	s_delay_alu instid0(VALU_DEP_3) | instskip(NEXT) | instid1(VALU_DEP_3)
	v_or_b32_e32 v101, v101, v104
	v_lshlrev_b16 v82, 8, v82
	s_wait_alu 0xf1ff
	s_delay_alu instid0(VALU_DEP_3) | instskip(SKIP_2) | instid1(VALU_DEP_3)
	v_cndmask_b32_e64 v110, 0, -1, s0
	v_cmp_ne_u16_e64 s0, 0, v81
	v_and_b32_e32 v101, 0xffff, v101
	v_lshlrev_b16 v110, 8, v110
	s_wait_alu 0xf1ff
	s_delay_alu instid0(VALU_DEP_3)
	v_cndmask_b32_e64 v81, 0, -1, s0
	v_cmp_ne_u16_e64 s0, 0, v77
	v_or_b32_e32 v85, v101, v85
	v_and_b32_e32 v101, 0xff, v86
	v_lshlrev_b16 v86, 8, v86
	v_lshlrev_b16 v81, 8, v81
	s_wait_alu 0xf1ff
	v_cndmask_b32_e64 v77, 0, -1, s0
	v_xor_b32_e32 v28, v28, v85
	v_or_b32_e32 v101, v101, v82
	v_lshrrev_b16 v85, 8, v105
	v_cmp_ne_u16_e64 s0, 0, v99
	v_lshlrev_b16 v77, 8, v77
	v_and_b32_e32 v99, 0xff, v55
	v_and_b32_e32 v101, 0xffff, v101
	v_lshrrev_b16 v105, 7, v105
	v_lshlrev_b16 v55, 8, v55
	s_delay_alu instid0(VALU_DEP_4) | instskip(NEXT) | instid1(VALU_DEP_4)
	v_or_b32_e32 v99, v99, v96
	v_or_b32_e32 v88, v101, v88
	s_wait_alu 0xfffd
	v_cndmask_b32_e64 v101, 0, -1, vcc_lo
	v_cmp_ne_u16_e32 vcc_lo, 0, v98
	s_wait_alu 0xfffe
	v_cndmask_b32_e64 v98, 0, -1, s1
	v_cmp_ne_u16_e64 s1, 0, v85
	v_and_b32_e32 v85, 0xff, v59
	v_xor_b32_e32 v29, v29, v88
	v_or_b32_e32 v88, v106, v70
	v_and_b32_e32 v106, 0xff, v68
	s_wait_alu 0xfffd
	v_cndmask_b32_e64 v109, 0, -1, vcc_lo
	v_or_b32_e32 v85, v85, v97
	v_lshlrev_b16 v101, 8, v101
	v_lshlrev_b32_e32 v88, 16, v88
	v_or_b32_e32 v106, v106, v67
	v_lshlrev_b16 v109, 8, v109
	v_and_b32_e32 v85, 0xffff, v85
	v_and_b32_e32 v99, 0xffff, v99
	v_or_b32_e32 v103, v103, v101
	v_and_b32_e32 v106, 0xffff, v106
	v_bfe_i32 v105, v105, 0, 1
	v_or_b32_e32 v85, v85, v94
	v_and_b32_e32 v94, 0xff, v89
	v_or_b32_e32 v92, v99, v92
	v_or_b32_e32 v88, v106, v88
	s_wait_alu 0xf1ff
	v_cndmask_b32_e64 v106, 0, -1, s0
	v_cndmask_b32_e64 v99, 0, -1, s1
	v_or_b32_e32 v94, v94, v110
	v_lshlrev_b32_e32 v103, 16, v103
	v_lshlrev_b16 v98, 8, v98
	v_lshlrev_b16 v106, 8, v106
	;; [unrolled: 1-line block ×3, first 2 shown]
	v_and_b32_e32 v94, 0xffff, v94
	v_lshlrev_b16 v89, 8, v89
	v_or_b32_e32 v107, v107, v98
	v_and_b32_e32 v111, 0xffffff00, v29
	v_lshlrev_b16 v68, 8, v68
	v_or_b32_e32 v91, v94, v91
	v_and_b32_e32 v94, 0xff, v54
	v_lshlrev_b32_e32 v107, 16, v107
	v_lshlrev_b16 v59, 8, v59
	v_lshlrev_b16 v54, 8, v54
	v_xor_b32_e32 v30, v30, v91
	v_or_b32_e32 v94, v94, v81
	v_lshlrev_b16 v91, 8, v117
	v_sub_nc_i16 v82, v111, v82 clamp
	v_add_co_u32 v11, vcc_lo, 0x480, v11
	s_delay_alu instid0(VALU_DEP_4) | instskip(NEXT) | instid1(VALU_DEP_4)
	v_and_b32_e32 v94, 0xffff, v94
	v_sub_nc_i16 v75, v91, v75 clamp
	v_lshlrev_b16 v91, 8, v30
	v_cmp_le_u32_e64 s0, s11, v15
	s_wait_alu 0xfffd
	v_add_co_ci_u32_e64 v12, null, 0, v12, vcc_lo
	v_or_b32_e32 v93, v94, v93
	v_and_b32_e32 v94, 0xff, v62
	v_lshlrev_b16 v62, 8, v62
	v_sub_nc_i16 v89, v91, v89 clamp
	s_or_b32 s5, s0, s5
	s_wait_loadcnt 0x3
	v_xor_b32_e32 v32, v32, v93
	v_or_b32_e32 v94, v94, v77
	v_lshlrev_b16 v93, 8, v26
	s_delay_alu instid0(VALU_DEP_2) | instskip(NEXT) | instid1(VALU_DEP_2)
	v_and_b32_e32 v94, 0xffff, v94
	v_sub_nc_i16 v79, v93, v79 clamp
	v_lshlrev_b16 v93, 8, v31
	s_delay_alu instid0(VALU_DEP_3) | instskip(SKIP_2) | instid1(VALU_DEP_4)
	v_or_b32_e32 v94, v94, v95
	v_and_b32_e32 v95, 0xff, v64
	v_lshlrev_b16 v64, 8, v64
	v_sub_nc_i16 v47, v93, v47 clamp
	s_delay_alu instid0(VALU_DEP_4) | instskip(NEXT) | instid1(VALU_DEP_4)
	v_xor_b32_e32 v33, v33, v94
	v_or_b32_e32 v95, v95, v109
	v_and_b32_e32 v94, 0xffffff00, v27
	s_delay_alu instid0(VALU_DEP_2) | instskip(NEXT) | instid1(VALU_DEP_2)
	v_and_b32_e32 v95, 0xffff, v95
	v_sub_nc_i16 v76, v94, v76 clamp
	v_and_b32_e32 v94, 0xffffff00, v32
	s_delay_alu instid0(VALU_DEP_3) | instskip(SKIP_1) | instid1(VALU_DEP_3)
	v_or_b32_e32 v95, v95, v102
	v_and_b32_e32 v102, 0xff, v63
	v_sub_nc_i16 v81, v94, v81 clamp
	v_lshlrev_b16 v63, 8, v63
	s_delay_alu instid0(VALU_DEP_3) | instskip(NEXT) | instid1(VALU_DEP_1)
	v_or_b32_e32 v102, v102, v106
	v_and_b32_e32 v102, 0xffff, v102
	s_delay_alu instid0(VALU_DEP_1) | instskip(SKIP_2) | instid1(VALU_DEP_2)
	v_or_b32_e32 v102, v102, v103
	v_and_b32_e32 v103, 0xff, v105
	v_lshlrev_b16 v105, 8, v105
	v_or_b32_e32 v103, v103, v99
	s_delay_alu instid0(VALU_DEP_1) | instskip(NEXT) | instid1(VALU_DEP_1)
	v_and_b32_e32 v103, 0xffff, v103
	v_or_b32_e32 v103, v103, v107
	v_lshrrev_b32_e32 v107, 4, v23
	s_wait_loadcnt 0x2
	v_xor_b32_e32 v24, v24, v92
	v_xor_b32_e32 v25, v25, v85
	s_wait_loadcnt 0x1
	v_xor_b32_e32 v35, v35, v102
	v_lshlrev_b16 v85, 8, v116
	v_and_b32_e32 v92, 0xffffff00, v26
	v_and_b32_e32 v102, 0xffffff00, v28
	v_xor_b32_e32 v34, v34, v95
	s_wait_loadcnt 0x0
	v_xor_b32_e32 v36, v36, v103
	v_sub_nc_i16 v72, v85, v72 clamp
	v_lshlrev_b16 v85, 8, v29
	v_sub_nc_i16 v73, v92, v73 clamp
	v_and_b32_e32 v92, 0xffffff00, v31
	v_sub_nc_i16 v102, v102, v104 clamp
	v_and_b32_e32 v104, 0xffffff00, v33
	v_xor_b32_e32 v37, v37, v88
	v_and_b32_e32 v88, 0xffffff00, v117
	v_lshlrev_b16 v95, 8, v27
	v_lshlrev_b16 v103, 8, v28
	v_sub_nc_i16 v85, v85, v86 clamp
	v_lshlrev_b16 v86, 8, v24
	v_sub_nc_i16 v92, v92, v113 clamp
	v_lshlrev_b16 v93, 8, v34
	v_and_b32_e32 v94, 0xffffff00, v35
	v_sub_nc_i16 v77, v104, v77 clamp
	v_and_b32_e32 v104, 0xffffff00, v36
	v_lshrrev_b32_e32 v113, 16, v116
	v_sub_nc_i16 v74, v88, v74 clamp
	v_and_b32_e32 v88, 0xffffff00, v30
	v_sub_nc_i16 v40, v95, v40 clamp
	v_lshlrev_b16 v95, 8, v32
	v_sub_nc_i16 v83, v103, v83 clamp
	v_lshlrev_b16 v103, 8, v33
	v_and_b32_e32 v111, 0xffffff00, v24
	v_lshlrev_b16 v91, 8, v25
	v_and_b32_e32 v112, 0xffffff00, v34
	v_sub_nc_i16 v55, v86, v55 clamp
	v_lshlrev_b16 v86, 8, v37
	v_lshrrev_b32_e32 v27, 16, v27
	v_lshrrev_b32_e32 v28, 16, v28
	;; [unrolled: 1-line block ×5, first 2 shown]
	v_sub_nc_i16 v64, v93, v64 clamp
	v_sub_nc_i16 v93, v94, v106 clamp
	v_sub_nc_i16 v94, v104, v99 clamp
	v_lshlrev_b16 v99, 8, v113
	v_sub_nc_i16 v88, v88, v110 clamp
	v_and_b32_e32 v110, 0xffffff00, v25
	v_sub_nc_i16 v54, v95, v54 clamp
	v_lshlrev_b16 v95, 8, v35
	v_sub_nc_i16 v62, v103, v62 clamp
	v_lshlrev_b16 v103, 8, v36
	v_sub_nc_i16 v96, v111, v96 clamp
	v_and_b32_e32 v111, 0xffffff00, v37
	v_lshrrev_b32_e32 v26, 16, v26
	v_lshrrev_b32_e32 v29, 16, v29
	;; [unrolled: 1-line block ×7, first 2 shown]
	v_sub_nc_i16 v59, v91, v59 clamp
	v_sub_nc_i16 v91, v112, v109 clamp
	v_sub_nc_i16 v68, v86, v68 clamp
	v_and_b32_e32 v86, 0xffffff00, v113
	v_and_b32_e32 v106, 0xffffff00, v27
	v_lshlrev_b16 v27, 8, v27
	v_and_b32_e32 v109, 0xffffff00, v28
	v_lshlrev_b16 v28, 8, v28
	;; [unrolled: 2-line block ×3, first 2 shown]
	v_perm_b32 v48, v72, v48, 0xc0c0105
	v_and_b32_e32 v72, 0xffffff00, v24
	v_lshlrev_b16 v24, 8, v24
	v_sub_nc_i16 v84, v99, v84 clamp
	v_and_b32_e32 v99, 0xffffff00, v34
	v_lshlrev_b16 v34, 8, v34
	v_lshrrev_b32_e32 v36, 16, v36
	v_sub_nc_i16 v97, v110, v97 clamp
	v_sub_nc_i16 v63, v95, v63 clamp
	;; [unrolled: 1-line block ×4, first 2 shown]
	v_and_b32_e32 v103, 0xffffff00, v114
	v_lshlrev_b16 v104, 8, v114
	v_and_b32_e32 v105, 0xffffff00, v26
	v_lshlrev_b16 v26, 8, v26
	;; [unrolled: 2-line block ×6, first 2 shown]
	v_sub_nc_i16 v86, v86, v87 clamp
	v_and_b32_e32 v87, 0xffffff00, v25
	v_perm_b32 v74, v75, v74, 0xc0c0105
	v_and_b32_e32 v75, 0xffffff00, v35
	v_lshlrev_b16 v35, 8, v35
	v_sub_nc_i16 v27, v27, v42 clamp
	v_sub_nc_i16 v42, v109, v43 clamp
	;; [unrolled: 1-line block ×8, first 2 shown]
	v_lshrrev_b32_e32 v37, 16, v37
	v_sub_nc_i16 v103, v103, v108 clamp
	v_and_b32_e32 v108, 0xffffff00, v36
	v_lshlrev_b16 v36, 8, v36
	v_sub_nc_i16 v38, v104, v38 clamp
	v_sub_nc_i16 v26, v26, v39 clamp
	v_perm_b32 v39, v40, v76, 0xc0c0105
	v_sub_nc_i16 v40, v106, v41 clamp
	v_perm_b32 v41, v83, v102, 0xc0c0105
	v_sub_nc_i16 v44, v110, v78 clamp
	v_sub_nc_i16 v29, v29, v45 clamp
	;; [unrolled: 1-line block ×3, first 2 shown]
	v_perm_b32 v46, v47, v92, 0xc0c0105
	v_sub_nc_i16 v47, v112, v56 clamp
	v_sub_nc_i16 v31, v31, v49 clamp
	v_perm_b32 v49, v54, v81, 0xc0c0105
	v_sub_nc_i16 v52, v114, v52 clamp
	v_sub_nc_i16 v33, v33, v53 clamp
	;; [unrolled: 1-line block ×4, first 2 shown]
	v_perm_b32 v57, v64, v91, 0xc0c0105
	v_sub_nc_i16 v60, v75, v101 clamp
	v_sub_nc_i16 v35, v35, v66 clamp
	v_perm_b32 v65, v84, v86, 0xc0c0105
	v_perm_b32 v28, v28, v42, 0xc0c0105
	;; [unrolled: 1-line block ×4, first 2 shown]
	v_lshlrev_b16 v25, 8, v25
	v_and_b32_e32 v104, 0xffffff00, v37
	v_lshlrev_b16 v37, 8, v37
	v_perm_b32 v73, v79, v73, 0xc0c0105
	v_sub_nc_i16 v79, v105, v80 clamp
	v_perm_b32 v43, v85, v82, 0xc0c0105
	v_sub_nc_i16 v76, v111, v90 clamp
	v_perm_b32 v51, v62, v77, 0xc0c0105
	v_perm_b32 v53, v55, v96, 0xc0c0105
	;; [unrolled: 1-line block ×4, first 2 shown]
	v_sub_nc_i16 v62, v108, v98 clamp
	v_sub_nc_i16 v36, v36, v71 clamp
	v_perm_b32 v38, v38, v103, 0xc0c0105
	v_perm_b32 v27, v27, v40, 0xc0c0105
	v_perm_b32 v29, v29, v44, 0xc0c0105
	v_perm_b32 v33, v33, v52, 0xc0c0105
	v_perm_b32 v35, v35, v60, 0xc0c0105
	v_lshl_or_b32 v40, v65, 16, v48
	v_lshl_or_b32 v28, v28, 16, v41
	;; [unrolled: 1-line block ×4, first 2 shown]
	v_perm_b32 v45, v89, v88, 0xc0c0105
	v_sub_nc_i16 v25, v25, v61 clamp
	v_perm_b32 v61, v95, v94, 0xc0c0105
	v_sub_nc_i16 v64, v104, v70 clamp
	v_sub_nc_i16 v37, v37, v69 clamp
	v_perm_b32 v26, v26, v79, 0xc0c0105
	v_perm_b32 v30, v30, v76, 0xc0c0105
	;; [unrolled: 1-line block ×4, first 2 shown]
	v_lshl_or_b32 v38, v38, 16, v74
	v_lshl_or_b32 v27, v27, 16, v39
	;; [unrolled: 1-line block ×5, first 2 shown]
	v_dot4_i32_iu8 v39, v40, v1, 0 neg_lo:[1,1,0]
	v_dot4_i32_iu8 v28, v28, v5, 0 neg_lo:[1,1,0]
	;; [unrolled: 1-line block ×4, first 2 shown]
	v_perm_b32 v63, v68, v67, 0xc0c0105
	v_perm_b32 v31, v31, v47, 0xc0c0105
	;; [unrolled: 1-line block ×4, first 2 shown]
	v_lshl_or_b32 v26, v26, 16, v73
	v_lshl_or_b32 v30, v30, 16, v45
	;; [unrolled: 1-line block ×4, first 2 shown]
	v_dot4_i32_iu8 v32, v38, v2, v39 neg_lo:[1,1,0]
	v_dot4_i32_iu8 v28, v29, v6, v28 neg_lo:[1,1,0]
	;; [unrolled: 1-line block ×4, first 2 shown]
	v_lshl_or_b32 v31, v31, 16, v46
	v_lshl_or_b32 v25, v25, 16, v55
	;; [unrolled: 1-line block ×3, first 2 shown]
	v_dot4_i32_iu8 v5, v26, v3, v32 neg_lo:[1,1,0]
	v_dot4_i32_iu8 v6, v30, v7, v28 neg_lo:[1,1,0]
	;; [unrolled: 1-line block ×4, first 2 shown]
	s_delay_alu instid0(VALU_DEP_4) | instskip(NEXT) | instid1(VALU_DEP_4)
	v_dot4_i32_iu8 v3, v27, v4, v5 neg_lo:[1,1,0]
	v_dot4_i32_iu8 v5, v31, v21, v6 neg_lo:[1,1,0]
	s_delay_alu instid0(VALU_DEP_4) | instskip(NEXT) | instid1(VALU_DEP_4)
	v_dot4_i32_iu8 v1, v25, v4, v1 neg_lo:[1,1,0]
	v_dot4_i32_iu8 v2, v37, v21, v2 neg_lo:[1,1,0]
	v_and_b32_e32 v4, 15, v23
	v_lshrrev_b32_e32 v6, 4, v22
	v_add_nc_u32_e32 v7, v5, v3
	v_and_b32_e32 v22, 15, v22
	v_add_nc_u32_e32 v21, v2, v1
	v_mul_lo_u32 v3, v3, v4
	v_mul_lo_u32 v5, v5, v107
	v_lshrrev_b32_e32 v4, 31, v7
	v_mul_lo_u32 v1, v1, v22
	v_lshrrev_b32_e32 v23, 31, v21
	v_mul_lo_u32 v2, v2, v6
	s_delay_alu instid0(VALU_DEP_4) | instskip(NEXT) | instid1(VALU_DEP_3)
	v_add_nc_u32_e32 v4, v7, v4
	v_add_nc_u32_e32 v7, v21, v23
	s_delay_alu instid0(VALU_DEP_2) | instskip(NEXT) | instid1(VALU_DEP_2)
	v_ashrrev_i32_e32 v4, 1, v4
	v_ashrrev_i32_e32 v6, 1, v7
	s_delay_alu instid0(VALU_DEP_2) | instskip(NEXT) | instid1(VALU_DEP_2)
	v_add3_u32 v3, v5, v3, v4
	v_add3_u32 v1, v2, v1, v6
	s_delay_alu instid0(VALU_DEP_2) | instskip(NEXT) | instid1(VALU_DEP_2)
	v_ashrrev_i32_e32 v2, 31, v3
	v_ashrrev_i32_e32 v4, 31, v1
	s_delay_alu instid0(VALU_DEP_2) | instskip(NEXT) | instid1(VALU_DEP_2)
	v_lshrrev_b32_e32 v2, 30, v2
	v_lshrrev_b32_e32 v4, 30, v4
	s_delay_alu instid0(VALU_DEP_2) | instskip(SKIP_1) | instid1(VALU_DEP_3)
	v_add_nc_u32_e32 v2, v3, v2
	v_cvt_f32_f16_e32 v3, v20
	v_add_nc_u32_e32 v1, v1, v4
	v_cvt_f32_f16_e32 v4, v19
	s_delay_alu instid0(VALU_DEP_4) | instskip(NEXT) | instid1(VALU_DEP_4)
	v_ashrrev_i32_e32 v2, 2, v2
	v_mul_f32_e32 v3, v3, v0
	s_delay_alu instid0(VALU_DEP_4) | instskip(NEXT) | instid1(VALU_DEP_4)
	v_ashrrev_i32_e32 v1, 2, v1
	v_mul_f32_e32 v0, v4, v0
	s_delay_alu instid0(VALU_DEP_4) | instskip(NEXT) | instid1(VALU_DEP_3)
	v_cvt_f32_i32_e32 v2, v2
	v_cvt_f32_i32_e32 v1, v1
	s_delay_alu instid0(VALU_DEP_2) | instskip(NEXT) | instid1(VALU_DEP_2)
	v_fmac_f32_e32 v8, v3, v2
	v_fmac_f32_e32 v16, v0, v1
	s_wait_alu 0xfffe
	s_and_not1_b32 exec_lo, exec_lo, s5
	s_cbranch_execnz .LBB180_3
; %bb.4:
	s_or_b32 exec_lo, exec_lo, s5
.LBB180_5:
	s_delay_alu instid0(SALU_CYCLE_1) | instskip(SKIP_1) | instid1(VALU_DEP_1)
	s_or_b32 exec_lo, exec_lo, s20
	v_mbcnt_lo_u32_b32 v0, -1, 0
	v_xor_b32_e32 v1, 16, v0
	v_xor_b32_e32 v3, 8, v0
	;; [unrolled: 1-line block ×3, first 2 shown]
	s_delay_alu instid0(VALU_DEP_3) | instskip(SKIP_3) | instid1(VALU_DEP_2)
	v_cmp_gt_i32_e32 vcc_lo, 32, v1
	s_wait_alu 0xfffd
	v_cndmask_b32_e32 v1, v0, v1, vcc_lo
	v_cmp_gt_i32_e32 vcc_lo, 32, v3
	v_lshlrev_b32_e32 v1, 2, v1
	s_wait_alu 0xfffd
	v_cndmask_b32_e32 v3, v0, v3, vcc_lo
	v_cmp_gt_i32_e32 vcc_lo, 32, v5
	ds_bpermute_b32 v2, v1, v8
	v_lshlrev_b32_e32 v3, 2, v3
	s_wait_alu 0xfffd
	v_cndmask_b32_e32 v5, v0, v5, vcc_lo
	s_wait_dscnt 0x0
	s_delay_alu instid0(VALU_DEP_1)
	v_dual_add_f32 v2, v8, v2 :: v_dual_lshlrev_b32 v5, 2, v5
	ds_bpermute_b32 v1, v1, v16
	ds_bpermute_b32 v4, v3, v2
	s_wait_dscnt 0x0
	v_dual_add_f32 v2, v2, v4 :: v_dual_add_f32 v1, v16, v1
	ds_bpermute_b32 v3, v3, v1
	s_wait_dscnt 0x0
	v_add_f32_e32 v1, v1, v3
	ds_bpermute_b32 v3, v5, v2
	ds_bpermute_b32 v4, v5, v1
	v_xor_b32_e32 v5, 2, v0
	s_delay_alu instid0(VALU_DEP_1) | instskip(SKIP_3) | instid1(VALU_DEP_1)
	v_cmp_gt_i32_e32 vcc_lo, 32, v5
	s_wait_alu 0xfffd
	v_cndmask_b32_e32 v5, v0, v5, vcc_lo
	s_wait_dscnt 0x1
	v_dual_add_f32 v2, v2, v3 :: v_dual_lshlrev_b32 v5, 2, v5
	s_wait_dscnt 0x0
	v_add_f32_e32 v1, v1, v4
	ds_bpermute_b32 v3, v5, v2
	ds_bpermute_b32 v4, v5, v1
	v_xor_b32_e32 v5, 1, v0
	s_delay_alu instid0(VALU_DEP_1) | instskip(SKIP_4) | instid1(VALU_DEP_2)
	v_cmp_gt_i32_e32 vcc_lo, 32, v5
	s_wait_alu 0xfffd
	v_cndmask_b32_e32 v0, v0, v5, vcc_lo
	v_cmp_gt_u32_e32 vcc_lo, 2, v14
	s_wait_dscnt 0x1
	v_dual_add_f32 v0, v2, v3 :: v_dual_lshlrev_b32 v5, 2, v0
	s_wait_dscnt 0x0
	v_dual_add_f32 v1, v1, v4 :: v_dual_add_nc_u32 v4, s3, v14
	ds_bpermute_b32 v2, v5, v0
	ds_bpermute_b32 v3, v5, v1
	v_cmp_gt_u32_e64 s0, s4, v4
	s_and_b32 s0, vcc_lo, s0
	s_wait_alu 0xfffe
	s_and_b32 exec_lo, exec_lo, s0
	s_cbranch_execz .LBB180_7
; %bb.6:
	v_mul_lo_u32 v4, s7, v13
	v_or_b32_e32 v6, s3, v14
	s_mul_i32 s0, s10, ttmp7
	s_wait_dscnt 0x1
	v_dual_mov_b32 v5, 0 :: v_dual_add_f32 v2, v0, v2
	s_wait_dscnt 0x0
	v_add_f32_e32 v3, v1, v3
	v_cmp_eq_u32_e32 vcc_lo, 1, v14
	s_wait_alu 0xfffe
	v_add3_u32 v4, v6, v4, s0
	s_wait_alu 0xfffd
	v_cndmask_b32_e32 v2, v2, v3, vcc_lo
	s_delay_alu instid0(VALU_DEP_2) | instskip(NEXT) | instid1(VALU_DEP_1)
	v_lshlrev_b64_e32 v[0:1], 2, v[4:5]
	v_add_co_u32 v0, vcc_lo, s18, v0
	s_wait_alu 0xfffd
	s_delay_alu instid0(VALU_DEP_2)
	v_add_co_ci_u32_e64 v1, null, s19, v1, vcc_lo
	global_store_b32 v[0:1], v2, off
.LBB180_7:
	s_nop 0
	s_sendmsg sendmsg(MSG_DEALLOC_VGPRS)
	s_endpgm
	.section	.rodata,"a",@progbits
	.p2align	6, 0x0
	.amdhsa_kernel _ZL17mul_mat_vec_q_moeIL9ggml_type22ELi2EEvPKvS2_PKiPfj15HIP_vector_typeIjLj3EEjjjjjjjjj
		.amdhsa_group_segment_fixed_size 0
		.amdhsa_private_segment_fixed_size 0
		.amdhsa_kernarg_size 84
		.amdhsa_user_sgpr_count 2
		.amdhsa_user_sgpr_dispatch_ptr 0
		.amdhsa_user_sgpr_queue_ptr 0
		.amdhsa_user_sgpr_kernarg_segment_ptr 1
		.amdhsa_user_sgpr_dispatch_id 0
		.amdhsa_user_sgpr_private_segment_size 0
		.amdhsa_wavefront_size32 1
		.amdhsa_uses_dynamic_stack 0
		.amdhsa_enable_private_segment 0
		.amdhsa_system_sgpr_workgroup_id_x 1
		.amdhsa_system_sgpr_workgroup_id_y 1
		.amdhsa_system_sgpr_workgroup_id_z 0
		.amdhsa_system_sgpr_workgroup_info 0
		.amdhsa_system_vgpr_workitem_id 1
		.amdhsa_next_free_vgpr 118
		.amdhsa_next_free_sgpr 24
		.amdhsa_reserve_vcc 1
		.amdhsa_float_round_mode_32 0
		.amdhsa_float_round_mode_16_64 0
		.amdhsa_float_denorm_mode_32 3
		.amdhsa_float_denorm_mode_16_64 3
		.amdhsa_fp16_overflow 0
		.amdhsa_workgroup_processor_mode 1
		.amdhsa_memory_ordered 1
		.amdhsa_forward_progress 1
		.amdhsa_inst_pref_size 49
		.amdhsa_round_robin_scheduling 0
		.amdhsa_exception_fp_ieee_invalid_op 0
		.amdhsa_exception_fp_denorm_src 0
		.amdhsa_exception_fp_ieee_div_zero 0
		.amdhsa_exception_fp_ieee_overflow 0
		.amdhsa_exception_fp_ieee_underflow 0
		.amdhsa_exception_fp_ieee_inexact 0
		.amdhsa_exception_int_div_zero 0
	.end_amdhsa_kernel
	.section	.text._ZL17mul_mat_vec_q_moeIL9ggml_type22ELi2EEvPKvS2_PKiPfj15HIP_vector_typeIjLj3EEjjjjjjjjj,"axG",@progbits,_ZL17mul_mat_vec_q_moeIL9ggml_type22ELi2EEvPKvS2_PKiPfj15HIP_vector_typeIjLj3EEjjjjjjjjj,comdat
.Lfunc_end180:
	.size	_ZL17mul_mat_vec_q_moeIL9ggml_type22ELi2EEvPKvS2_PKiPfj15HIP_vector_typeIjLj3EEjjjjjjjjj, .Lfunc_end180-_ZL17mul_mat_vec_q_moeIL9ggml_type22ELi2EEvPKvS2_PKiPfj15HIP_vector_typeIjLj3EEjjjjjjjjj
                                        ; -- End function
	.set _ZL17mul_mat_vec_q_moeIL9ggml_type22ELi2EEvPKvS2_PKiPfj15HIP_vector_typeIjLj3EEjjjjjjjjj.num_vgpr, 118
	.set _ZL17mul_mat_vec_q_moeIL9ggml_type22ELi2EEvPKvS2_PKiPfj15HIP_vector_typeIjLj3EEjjjjjjjjj.num_agpr, 0
	.set _ZL17mul_mat_vec_q_moeIL9ggml_type22ELi2EEvPKvS2_PKiPfj15HIP_vector_typeIjLj3EEjjjjjjjjj.numbered_sgpr, 24
	.set _ZL17mul_mat_vec_q_moeIL9ggml_type22ELi2EEvPKvS2_PKiPfj15HIP_vector_typeIjLj3EEjjjjjjjjj.num_named_barrier, 0
	.set _ZL17mul_mat_vec_q_moeIL9ggml_type22ELi2EEvPKvS2_PKiPfj15HIP_vector_typeIjLj3EEjjjjjjjjj.private_seg_size, 0
	.set _ZL17mul_mat_vec_q_moeIL9ggml_type22ELi2EEvPKvS2_PKiPfj15HIP_vector_typeIjLj3EEjjjjjjjjj.uses_vcc, 1
	.set _ZL17mul_mat_vec_q_moeIL9ggml_type22ELi2EEvPKvS2_PKiPfj15HIP_vector_typeIjLj3EEjjjjjjjjj.uses_flat_scratch, 0
	.set _ZL17mul_mat_vec_q_moeIL9ggml_type22ELi2EEvPKvS2_PKiPfj15HIP_vector_typeIjLj3EEjjjjjjjjj.has_dyn_sized_stack, 0
	.set _ZL17mul_mat_vec_q_moeIL9ggml_type22ELi2EEvPKvS2_PKiPfj15HIP_vector_typeIjLj3EEjjjjjjjjj.has_recursion, 0
	.set _ZL17mul_mat_vec_q_moeIL9ggml_type22ELi2EEvPKvS2_PKiPfj15HIP_vector_typeIjLj3EEjjjjjjjjj.has_indirect_call, 0
	.section	.AMDGPU.csdata,"",@progbits
; Kernel info:
; codeLenInByte = 6252
; TotalNumSgprs: 26
; NumVgprs: 118
; ScratchSize: 0
; MemoryBound: 0
; FloatMode: 240
; IeeeMode: 1
; LDSByteSize: 0 bytes/workgroup (compile time only)
; SGPRBlocks: 0
; VGPRBlocks: 14
; NumSGPRsForWavesPerEU: 26
; NumVGPRsForWavesPerEU: 118
; Occupancy: 12
; WaveLimiterHint : 1
; COMPUTE_PGM_RSRC2:SCRATCH_EN: 0
; COMPUTE_PGM_RSRC2:USER_SGPR: 2
; COMPUTE_PGM_RSRC2:TRAP_HANDLER: 0
; COMPUTE_PGM_RSRC2:TGID_X_EN: 1
; COMPUTE_PGM_RSRC2:TGID_Y_EN: 1
; COMPUTE_PGM_RSRC2:TGID_Z_EN: 0
; COMPUTE_PGM_RSRC2:TIDIG_COMP_CNT: 1
	.section	.text._ZL13mul_mat_vec_qIL9ggml_type22ELi1ELb1ELb1EEvPKvS2_PKi31ggml_cuda_mm_fusion_args_devicePfj15HIP_vector_typeIjLj3EEjjjS8_jjjS8_jjjj,"axG",@progbits,_ZL13mul_mat_vec_qIL9ggml_type22ELi1ELb1ELb1EEvPKvS2_PKi31ggml_cuda_mm_fusion_args_devicePfj15HIP_vector_typeIjLj3EEjjjS8_jjjS8_jjjj,comdat
	.globl	_ZL13mul_mat_vec_qIL9ggml_type22ELi1ELb1ELb1EEvPKvS2_PKi31ggml_cuda_mm_fusion_args_devicePfj15HIP_vector_typeIjLj3EEjjjS8_jjjS8_jjjj ; -- Begin function _ZL13mul_mat_vec_qIL9ggml_type22ELi1ELb1ELb1EEvPKvS2_PKi31ggml_cuda_mm_fusion_args_devicePfj15HIP_vector_typeIjLj3EEjjjS8_jjjS8_jjjj
	.p2align	8
	.type	_ZL13mul_mat_vec_qIL9ggml_type22ELi1ELb1ELb1EEvPKvS2_PKi31ggml_cuda_mm_fusion_args_devicePfj15HIP_vector_typeIjLj3EEjjjS8_jjjS8_jjjj,@function
_ZL13mul_mat_vec_qIL9ggml_type22ELi1ELb1ELb1EEvPKvS2_PKi31ggml_cuda_mm_fusion_args_devicePfj15HIP_vector_typeIjLj3EEjjjS8_jjjS8_jjjj: ; @_ZL13mul_mat_vec_qIL9ggml_type22ELi1ELb1ELb1EEvPKvS2_PKi31ggml_cuda_mm_fusion_args_devicePfj15HIP_vector_typeIjLj3EEjjjS8_jjjS8_jjjj
; %bb.0:
	s_clause 0x3
	s_load_b256 s[8:15], s[0:1], 0x0
	s_load_b128 s[16:19], s[0:1], 0x20
	s_load_b128 s[20:23], s[0:1], 0x40
	;; [unrolled: 1-line block ×3, first 2 shown]
	s_and_b32 s27, ttmp7, 0xffff
	s_wait_kmcnt 0x0
	s_cmp_lg_u64 s[12:13], 0
	s_cselect_b32 s2, -1, 0
	s_cmp_eq_u64 s[12:13], 0
	s_cbranch_scc1 .LBB181_24
; %bb.1:
	s_lshl_b32 s3, s27, 2
	s_load_b32 s28, s[12:13], s3 offset:0x0
	s_clause 0x1
	s_load_b32 s30, s[0:1], 0x50
	s_load_b32 s29, s[0:1], 0x78
	s_cbranch_execnz .LBB181_3
.LBB181_2:
	s_load_b64 s[12:13], s[0:1], 0x5c
	s_wait_kmcnt 0x0
	s_mul_hi_u32 s3, s12, s27
	s_delay_alu instid0(SALU_CYCLE_1) | instskip(NEXT) | instid1(SALU_CYCLE_1)
	s_add_co_i32 s3, s27, s3
	s_lshr_b32 s28, s3, s13
.LBB181_3:
	s_and_not1_b32 vcc_lo, exec_lo, s2
	s_mov_b32 s3, s27
	s_mov_b32 s31, s27
	s_cbranch_vccnz .LBB181_5
; %bb.4:
	s_mul_hi_u32 s2, s21, s27
	s_wait_kmcnt 0x0
	s_mov_b32 s3, s28
	s_add_co_i32 s2, s27, s2
	s_delay_alu instid0(SALU_CYCLE_1) | instskip(NEXT) | instid1(SALU_CYCLE_1)
	s_lshr_b32 s2, s2, s22
	s_mul_i32 s2, s2, s23
	s_delay_alu instid0(SALU_CYCLE_1)
	s_sub_co_i32 s31, s27, s2
.LBB181_5:
	s_load_b96 s[24:26], s[0:1], 0x80
	v_bfe_u32 v21, v0, 10, 10
	v_dual_mov_b32 v19, 0 :: v_dual_and_b32 v18, 0x3ff, v0
	s_lshr_b32 s21, ttmp7, 16
	s_cmp_lg_u64 s[14:15], 0
	v_mov_b32_e32 v20, 0
	s_delay_alu instid0(VALU_DEP_2) | instskip(SKIP_3) | instid1(VALU_DEP_1)
	v_or_b32_e32 v0, v18, v21
	s_cselect_b32 s2, -1, 0
	s_mov_b32 s23, 0
	s_mul_i32 s12, s3, s6
	v_cmp_eq_u32_e32 vcc_lo, 0, v0
	s_and_b32 s13, s2, vcc_lo
	s_delay_alu instid0(SALU_CYCLE_1)
	s_and_saveexec_b32 s3, s13
	s_cbranch_execz .LBB181_7
; %bb.6:
	s_wait_kmcnt 0x0
	s_mul_i32 s22, s26, s21
	s_mov_b32 s13, s23
	s_lshl_b64 s[22:23], s[22:23], 2
	s_mov_b32 s34, ttmp9
	s_lshl_b64 s[36:37], s[12:13], 2
	s_add_nc_u64 s[14:15], s[14:15], s[22:23]
	s_ashr_i32 s35, ttmp9, 31
	v_lshlrev_b32_e32 v0, 2, v18
	s_add_nc_u64 s[14:15], s[14:15], s[36:37]
	s_lshl_b64 s[22:23], s[34:35], 2
	s_delay_alu instid0(SALU_CYCLE_1)
	s_add_nc_u64 s[14:15], s[14:15], s[22:23]
	global_load_b32 v20, v0, s[14:15]
.LBB181_7:
	s_or_b32 exec_lo, exec_lo, s3
	s_cmp_lg_u64 s[16:17], 0
	s_cselect_b32 s14, -1, 0
	s_cmp_lg_u64 s[18:19], 0
	s_cselect_b32 s3, -1, 0
	s_delay_alu instid0(SALU_CYCLE_1) | instskip(NEXT) | instid1(SALU_CYCLE_1)
	s_and_b32 s13, s3, s14
	s_and_b32 s13, s13, vcc_lo
	s_delay_alu instid0(SALU_CYCLE_1)
	s_and_saveexec_b32 s15, s13
	s_cbranch_execz .LBB181_9
; %bb.8:
	s_wait_kmcnt 0x0
	s_mul_i32 s34, s26, s21
	s_mov_b32 s35, 0
	s_mov_b32 s22, ttmp9
	s_lshl_b64 s[36:37], s[34:35], 2
	s_mov_b32 s13, s35
	s_add_nc_u64 s[18:19], s[18:19], s[36:37]
	s_lshl_b64 s[12:13], s[12:13], 2
	s_ashr_i32 s23, ttmp9, 31
	v_lshlrev_b32_e32 v0, 2, v18
	s_add_nc_u64 s[12:13], s[18:19], s[12:13]
	s_lshl_b64 s[18:19], s[22:23], 2
	s_delay_alu instid0(SALU_CYCLE_1)
	s_add_nc_u64 s[12:13], s[12:13], s[18:19]
	global_load_b32 v19, v0, s[12:13]
.LBB181_9:
	s_or_b32 exec_lo, exec_lo, s15
	v_lshl_add_u32 v0, v21, 5, v18
	v_dual_mov_b32 v24, 0 :: v_dual_mov_b32 v23, 0
	v_cndmask_b32_e64 v22, 0, 1, s14
	s_lshr_b32 s15, s20, 8
	s_delay_alu instid0(VALU_DEP_3) | instskip(SKIP_2) | instid1(VALU_DEP_1)
	v_lshrrev_b32_e32 v25, 3, v0
	s_mov_b32 s18, exec_lo
	s_wait_alu 0xfffe
	v_cmpx_gt_u32_e64 s15, v25
	s_cbranch_execz .LBB181_15
; %bb.10:
	v_lshrrev_b32_e32 v0, 3, v0
	s_mul_i32 s12, s31, s5
	s_mov_b32 s13, 0
	s_wait_kmcnt 0x0
	s_mul_i32 s5, s25, s21
	s_mul_u64 s[22:23], s[12:13], 36
	v_dual_mov_b32 v23, 0 :: v_dual_and_b32 v26, 7, v18
	v_mad_co_u64_u32 v[0:1], null, 0x120, v0, s[22:23]
	s_mul_i32 s30, s30, ttmp9
	v_lshlrev_b32_e32 v2, 1, v26
	s_delay_alu instid0(VALU_DEP_1)
	v_dual_mov_b32 v24, 0 :: v_dual_lshlrev_b32 v27, 1, v2
	v_mad_co_u64_u32 v[0:1], null, s5, 36, v[0:1]
	s_mul_hi_u32 s5, s7, s21
	s_mul_i32 s7, s28, s4
	s_wait_alu 0xfffe
	s_add_co_i32 s4, s21, s5
	s_wait_alu 0xfffe
	s_lshr_b32 s4, s4, s29
	v_mad_co_u64_u32 v[0:1], null, v26, 36, v[0:1]
	s_wait_alu 0xfffe
	s_mul_i32 s4, s4, s24
	s_wait_alu 0xfffe
	s_add_co_i32 s4, s4, s30
	s_wait_alu 0xfffe
	s_add_co_i32 s7, s7, s4
	s_delay_alu instid0(VALU_DEP_1) | instskip(NEXT) | instid1(VALU_DEP_1)
	v_add_co_u32 v0, vcc_lo, s10, v0
	v_add_co_ci_u32_e64 v1, null, s11, v1, vcc_lo
	s_delay_alu instid0(VALU_DEP_2) | instskip(SKIP_1) | instid1(VALU_DEP_2)
	v_add_co_u32 v8, vcc_lo, v0, 32
	s_wait_alu 0xfffd
	v_add_co_ci_u32_e64 v9, null, 0, v1, vcc_lo
	s_branch .LBB181_12
.LBB181_11:                             ;   in Loop: Header=BB181_12 Depth=1
	v_and_b32_e32 v32, 0xff, v31
	v_lshlrev_b32_e32 v33, 21, v31
	v_lshlrev_b32_e32 v35, 17, v31
	v_lshrrev_b32_e32 v34, 2, v31
	v_lshrrev_b32_e32 v36, 6, v31
	;; [unrolled: 1-line block ×3, first 2 shown]
	v_lshl_or_b32 v33, v32, 7, v33
	v_lshl_or_b32 v32, v32, 3, v35
	v_bfe_i32 v34, v34, 0, 1
	v_bfe_i32 v36, v36, 0, 1
	;; [unrolled: 1-line block ×3, first 2 shown]
	v_and_b32_e32 v35, 0x1800180, v33
	v_bfe_u32 v33, v33, 24, 1
	v_and_b32_e32 v38, 0x1800180, v32
	v_bfe_u32 v32, v32, 24, 1
	v_and_b32_e32 v37, 0xff, v34
	v_lshrrev_b16 v39, 7, v35
	v_lshrrev_b16 v35, 8, v35
	v_cmp_ne_u16_e32 vcc_lo, 0, v33
	v_lshrrev_b16 v40, 8, v38
	v_lshrrev_b16 v38, 7, v38
	v_bfe_i32 v39, v39, 0, 1
	v_and_b32_e32 v43, 0xff, v36
	s_wait_alu 0xfffd
	v_cndmask_b32_e64 v33, 0, -1, vcc_lo
	v_cmp_ne_u16_e32 vcc_lo, 0, v35
	v_bfe_i32 v38, v38, 0, 1
	v_and_b32_e32 v41, 0xff, v39
	v_lshlrev_b16 v34, 8, v34
	v_lshlrev_b16 v33, 8, v33
	s_wait_alu 0xfffd
	v_cndmask_b32_e64 v35, 0, -1, vcc_lo
	v_cmp_ne_u16_e32 vcc_lo, 0, v32
	v_and_b32_e32 v42, 0xff, v38
	v_lshlrev_b16 v39, 8, v39
	v_or_b32_e32 v37, v37, v33
	v_lshlrev_b16 v35, 8, v35
	s_wait_alu 0xfffd
	v_cndmask_b32_e64 v32, 0, -1, vcc_lo
	v_cmp_ne_u16_e32 vcc_lo, 0, v40
	v_lshlrev_b16 v36, 8, v36
	v_lshlrev_b32_e32 v37, 16, v37
	v_or_b32_e32 v41, v41, v35
	v_lshlrev_b16 v32, 8, v32
	s_wait_alu 0xfffd
	v_cndmask_b32_e64 v40, 0, -1, vcc_lo
	v_and_b32_e32 v48, 0xff, v46
	v_lshrrev_b32_e32 v44, 16, v31
	v_and_b32_e32 v41, 0xffff, v41
	v_add_nc_u32_e32 v25, 4, v25
	v_lshlrev_b16 v40, 8, v40
	v_add_co_u32 v8, s4, 0x480, v8
	s_delay_alu instid0(VALU_DEP_4) | instskip(SKIP_1) | instid1(VALU_DEP_4)
	v_or_b32_e32 v37, v41, v37
	v_or_b32_e32 v41, v43, v32
	;; [unrolled: 1-line block ×3, first 2 shown]
	v_lshrrev_b32_e32 v43, 1, v31
	s_wait_alu 0xf1ff
	v_add_co_ci_u32_e64 v9, null, 0, v9, s4
	s_wait_loadcnt 0x3
	v_xor_b32_e32 v16, v16, v37
	v_lshlrev_b32_e32 v37, 16, v41
	v_and_b32_e32 v41, 0xffff, v42
	v_and_b32_e32 v42, 0x180, v43
	s_delay_alu instid0(VALU_DEP_4) | instskip(NEXT) | instid1(VALU_DEP_3)
	v_lshrrev_b32_e32 v43, 16, v16
	v_or_b32_e32 v37, v41, v37
	v_and_b32_e32 v41, 0xffffff00, v16
	v_lshlrev_b16 v16, 8, v16
	s_delay_alu instid0(VALU_DEP_4)
	v_and_b32_e32 v45, 0xffffff00, v43
	v_lshlrev_b16 v43, 8, v43
	v_xor_b32_e32 v17, v17, v37
	v_sub_nc_i16 v35, v41, v35 clamp
	v_sub_nc_i16 v16, v16, v39 clamp
	;; [unrolled: 1-line block ×4, first 2 shown]
	v_lshrrev_b32_e32 v37, 16, v17
	v_lshrrev_b16 v41, 8, v42
	v_and_b32_e32 v39, 0xffffff00, v17
	v_lshlrev_b16 v17, 8, v17
	v_perm_b32 v16, v16, v35, 0xc0c0105
	v_perm_b32 v33, v34, v33, 0xc0c0105
	v_lshlrev_b16 v34, 8, v38
	v_and_b32_e32 v35, 0xffffff00, v37
	v_lshrrev_b16 v38, 7, v42
	v_cmp_ne_u16_e32 vcc_lo, 0, v41
	v_sub_nc_i16 v39, v39, v40 clamp
	v_sub_nc_i16 v17, v17, v34 clamp
	;; [unrolled: 1-line block ×3, first 2 shown]
	v_bfe_i32 v34, v38, 0, 1
	s_wait_alu 0xfffd
	v_cndmask_b32_e64 v35, 0, -1, vcc_lo
	v_lshrrev_b32_e32 v38, 11, v31
	v_lshrrev_b32_e32 v40, 10, v31
	;; [unrolled: 1-line block ×3, first 2 shown]
	v_and_b32_e32 v41, 0xff, v34
	v_lshlrev_b16 v35, 8, v35
	v_bfe_i32 v38, v38, 0, 1
	v_bfe_i32 v40, v40, 0, 1
	v_lshlrev_b16 v37, 8, v37
	v_and_b32_e32 v42, 0x180, v42
	v_or_b32_e32 v41, v41, v35
	v_lshlrev_b16 v38, 8, v38
	v_and_b32_e32 v43, 0xff, v40
	v_lshrrev_b32_e32 v45, 15, v31
	v_sub_nc_i16 v36, v37, v36 clamp
	v_and_b32_e32 v37, 0xffff, v41
	v_lshrrev_b16 v41, 7, v42
	v_lshrrev_b16 v42, 8, v42
	v_or_b32_e32 v43, v43, v38
	v_bfe_i32 v45, v45, 0, 1
	v_perm_b32 v17, v17, v39, 0xc0c0105
	v_bfe_i32 v41, v41, 0, 1
	v_cmp_ne_u16_e32 vcc_lo, 0, v42
	v_lshlrev_b32_e32 v43, 16, v43
	v_lshlrev_b16 v45, 8, v45
	v_lshl_or_b32 v16, v33, 16, v16
	v_and_b32_e32 v47, 0xff, v41
	s_wait_alu 0xfffd
	v_cndmask_b32_e64 v42, 0, -1, vcc_lo
	v_or_b32_e32 v37, v37, v43
	v_or_b32_e32 v39, v48, v45
	v_perm_b32 v32, v36, v32, 0xc0c0105
	v_lshlrev_b16 v34, 8, v34
	v_lshlrev_b16 v42, 8, v42
	s_wait_loadcnt 0x2
	v_xor_b32_e32 v14, v14, v37
	v_lshlrev_b32_e32 v33, 16, v39
	v_lshrrev_b32_e32 v39, 9, v31
	v_lshl_or_b32 v17, v32, 16, v17
	v_or_b32_e32 v36, v47, v42
	v_and_b32_e32 v37, 0xffffff00, v14
	v_lshlrev_b16 v40, 8, v40
	v_lshl_or_b32 v39, v44, 21, v39
	v_dot4_i32_iu8 v5, v16, v5, 0 neg_lo:[1,1,0]
	v_and_b32_e32 v32, 0xffff, v36
	v_lshrrev_b32_e32 v36, 16, v14
	v_sub_nc_i16 v35, v37, v35 clamp
	v_and_b32_e32 v37, 0x1800180, v39
	v_lshlrev_b16 v14, 8, v14
	v_or_b32_e32 v16, v32, v33
	v_and_b32_e32 v43, 0xffffff00, v36
	v_lshlrev_b16 v36, 8, v36
	v_lshrrev_b16 v33, 7, v37
	v_sub_nc_i16 v14, v14, v34 clamp
	v_dot4_i32_iu8 v5, v17, v6, v5 neg_lo:[1,1,0]
	v_sub_nc_i16 v34, v43, v38 clamp
	v_sub_nc_i16 v36, v36, v40 clamp
	v_xor_b32_e32 v6, v15, v16
	v_bfe_i32 v15, v33, 0, 1
	v_lshrrev_b32_e32 v33, 13, v31
	v_perm_b32 v14, v14, v35, 0xc0c0105
	v_perm_b32 v32, v36, v34, 0xc0c0105
	v_lshrrev_b16 v34, 8, v37
	v_bfe_u32 v35, v39, 24, 1
	v_lshl_or_b32 v33, v44, 17, v33
	v_lshrrev_b32_e32 v36, 18, v31
	v_lshlrev_b16 v38, 8, v41
	v_cmp_ne_u16_e32 vcc_lo, 0, v34
	v_and_b32_e32 v34, 0xff, v15
	v_and_b32_e32 v37, 0x1800180, v33
	v_bfe_i32 v36, v36, 0, 1
	v_bfe_u32 v33, v33, 24, 1
	s_wait_alu 0xfffd
	v_cndmask_b32_e64 v16, 0, -1, vcc_lo
	v_cmp_ne_u16_e32 vcc_lo, 0, v35
	v_lshrrev_b16 v39, 7, v37
	v_lshrrev_b16 v37, 8, v37
	v_and_b32_e32 v40, 0xff, v36
	v_lshlrev_b16 v16, 8, v16
	s_wait_alu 0xfffd
	v_cndmask_b32_e64 v35, 0, -1, vcc_lo
	v_lshrrev_b32_e32 v41, 22, v31
	v_cmp_ne_u16_e32 vcc_lo, 0, v37
	v_bfe_i32 v39, v39, 0, 1
	v_or_b32_e32 v34, v34, v16
	v_lshlrev_b16 v35, 8, v35
	v_bfe_i32 v41, v41, 0, 1
	s_wait_alu 0xfffd
	v_cndmask_b32_e64 v37, 0, -1, vcc_lo
	v_cmp_ne_u16_e32 vcc_lo, 0, v33
	v_lshl_or_b32 v14, v32, 16, v14
	v_or_b32_e32 v40, v40, v35
	v_lshrrev_b32_e32 v17, 16, v6
	v_and_b32_e32 v32, 0xffffff00, v6
	s_wait_alu 0xfffd
	v_cndmask_b32_e64 v33, 0, -1, vcc_lo
	v_lshlrev_b16 v6, 8, v6
	v_and_b32_e32 v34, 0xffff, v34
	v_and_b32_e32 v43, 0xff, v39
	v_lshlrev_b16 v37, 8, v37
	v_lshlrev_b16 v33, 8, v33
	v_and_b32_e32 v44, 0xff, v41
	v_lshlrev_b32_e32 v40, 16, v40
	v_sub_nc_i16 v32, v32, v42 clamp
	v_sub_nc_i16 v6, v6, v38 clamp
	v_or_b32_e32 v38, v43, v37
	v_or_b32_e32 v42, v44, v33
	;; [unrolled: 1-line block ×3, first 2 shown]
	v_and_b32_e32 v40, 0xffffff00, v17
	v_perm_b32 v6, v6, v32, 0xc0c0105
	v_and_b32_e32 v32, 0xffff, v38
	v_lshlrev_b32_e32 v38, 16, v42
	s_wait_loadcnt 0x1
	v_xor_b32_e32 v12, v12, v34
	v_lshrrev_b32_e32 v43, 17, v31
	v_lshrrev_b32_e32 v44, 3, v31
	v_sub_nc_i16 v34, v40, v45 clamp
	v_or_b32_e32 v32, v32, v38
	v_lshrrev_b32_e32 v38, 16, v12
	v_and_b32_e32 v42, 0xffffff00, v12
	v_lshlrev_b16 v12, 8, v12
	v_lshlrev_b16 v15, 8, v15
	;; [unrolled: 1-line block ×3, first 2 shown]
	v_and_b32_e32 v45, 0xffffff00, v38
	v_lshlrev_b16 v38, 8, v38
	v_and_or_b32 v43, 0x1fe00000, v44, v43
	v_sub_nc_i16 v12, v12, v15 clamp
	v_sub_nc_i16 v16, v42, v16 clamp
	;; [unrolled: 1-line block ×4, first 2 shown]
	v_and_b32_e32 v36, 0x1800180, v43
	v_xor_b32_e32 v13, v13, v32
	v_perm_b32 v12, v12, v16, 0xc0c0105
	v_lshlrev_b16 v38, 8, v39
	v_perm_b32 v15, v35, v15, 0xc0c0105
	v_lshrrev_b16 v32, 8, v36
	v_lshrrev_b16 v16, 7, v36
	v_and_b32_e32 v35, 0xffffff00, v13
	v_lshlrev_b16 v36, 8, v13
	v_lshl_or_b32 v12, v15, 16, v12
	v_cmp_ne_u16_e32 vcc_lo, 0, v32
	v_bfe_i32 v16, v16, 0, 1
	v_sub_nc_i16 v15, v35, v37 clamp
	v_bfe_u32 v37, v43, 24, 1
	v_sub_nc_i16 v35, v36, v38 clamp
	s_wait_alu 0xfffd
	v_cndmask_b32_e64 v32, 0, -1, vcc_lo
	v_and_b32_e32 v36, 0xff, v16
	v_lshrrev_b32_e32 v38, 26, v31
	v_cmp_ne_u16_e32 vcc_lo, 0, v37
	v_lshlrev_b16 v17, 8, v17
	v_lshlrev_b16 v32, 8, v32
	;; [unrolled: 1-line block ×3, first 2 shown]
	v_perm_b32 v15, v35, v15, 0xc0c0105
	v_bfe_i32 v37, v38, 0, 1
	v_lshrrev_b32_e32 v38, 21, v31
	v_or_b32_e32 v35, v36, v32
	s_wait_alu 0xfffd
	v_cndmask_b32_e64 v36, 0, -1, vcc_lo
	v_lshrrev_b32_e32 v43, 30, v31
	v_lshrrev_b32_e32 v31, 31, v31
	v_sub_nc_i16 v17, v17, v40 clamp
	v_and_b32_e32 v40, 0xff, v37
	v_lshlrev_b16 v36, 8, v36
	v_lshrrev_b16 v42, 8, v38
	v_lshrrev_b16 v38, 7, v38
	v_cmp_ne_u16_e32 vcc_lo, 0, v31
	v_bfe_i32 v43, v43, 0, 1
	v_or_b32_e32 v40, v40, v36
	v_bfe_i32 v42, v42, 0, 1
	v_bfe_i32 v38, v38, 0, 1
	s_wait_alu 0xfffd
	v_cndmask_b32_e64 v31, 0, -1, vcc_lo
	v_lshrrev_b32_e32 v13, 16, v13
	v_and_b32_e32 v35, 0xffff, v35
	v_lshlrev_b32_e32 v40, 16, v40
	v_lshlrev_b16 v42, 8, v42
	v_and_b32_e32 v44, 0xff, v38
	v_and_b32_e32 v45, 0xff, v43
	v_lshlrev_b16 v31, 8, v31
	v_and_b32_e32 v39, 0xffffff00, v13
	v_or_b32_e32 v35, v35, v40
	v_lshlrev_b16 v13, 8, v13
	v_lshlrev_b16 v40, 8, v41
	v_or_b32_e32 v41, v44, v42
	v_or_b32_e32 v44, v45, v31
	s_wait_loadcnt 0x0
	v_xor_b32_e32 v10, v10, v35
	v_sub_nc_i16 v33, v39, v33 clamp
	v_sub_nc_i16 v13, v13, v40 clamp
	v_and_b32_e32 v35, 0xffff, v41
	v_lshlrev_b32_e32 v39, 16, v44
	v_and_b32_e32 v40, 0xffffff00, v10
	v_lshlrev_b16 v41, 8, v10
	v_lshlrev_b16 v16, 8, v16
	v_perm_b32 v13, v13, v33, 0xc0c0105
	v_or_b32_e32 v33, v35, v39
	v_lshrrev_b32_e32 v10, 16, v10
	v_sub_nc_i16 v32, v40, v32 clamp
	v_sub_nc_i16 v16, v41, v16 clamp
	v_dot4_i32_iu8 v1, v12, v1, 0 neg_lo:[1,1,0]
	v_xor_b32_e32 v11, v11, v33
	v_and_b32_e32 v35, 0xffffff00, v10
	v_lshlrev_b16 v10, 8, v10
	v_perm_b32 v12, v16, v32, 0xc0c0105
	v_lshlrev_b16 v32, 8, v37
	v_lshrrev_b32_e32 v16, 16, v11
	v_lshl_or_b32 v13, v13, 16, v15
	v_sub_nc_i16 v15, v35, v36 clamp
	v_and_b32_e32 v33, 0xffffff00, v11
	v_lshlrev_b16 v11, 8, v11
	v_lshlrev_b16 v35, 8, v38
	v_and_b32_e32 v36, 0xffffff00, v16
	v_lshlrev_b16 v16, 8, v16
	v_lshlrev_b16 v37, 8, v43
	v_sub_nc_i16 v10, v10, v32 clamp
	v_sub_nc_i16 v32, v33, v42 clamp
	;; [unrolled: 1-line block ×5, first 2 shown]
	v_perm_b32 v10, v10, v15, 0xc0c0105
	v_perm_b32 v15, v17, v34, 0xc0c0105
	v_dot4_i32_iu8 v1, v13, v2, v1 neg_lo:[1,1,0]
	v_perm_b32 v2, v11, v32, 0xc0c0105
	v_perm_b32 v11, v16, v31, 0xc0c0105
	v_lshl_or_b32 v10, v10, 16, v12
	v_lshl_or_b32 v6, v15, 16, v6
	v_dot4_i32_iu8 v5, v14, v7, v5 neg_lo:[1,1,0]
	v_cmp_le_u32_e32 vcc_lo, s15, v25
	v_lshl_or_b32 v2, v11, 16, v2
	v_dot4_i32_iu8 v1, v10, v3, v1 neg_lo:[1,1,0]
	s_delay_alu instid0(VALU_DEP_4) | instskip(SKIP_2) | instid1(VALU_DEP_4)
	v_dot4_i32_iu8 v0, v6, v0, v5 neg_lo:[1,1,0]
	v_and_b32_e32 v5, 15, v28
	v_bfe_u32 v6, v28, 4, 4
	v_dot4_i32_iu8 v1, v2, v30, v1 neg_lo:[1,1,0]
	s_or_b32 s13, vcc_lo, s13
	s_delay_alu instid0(VALU_DEP_1) | instskip(SKIP_2) | instid1(VALU_DEP_3)
	v_add_nc_u32_e32 v2, v1, v0
	v_mul_lo_u32 v0, v0, v5
	v_mul_lo_u32 v1, v1, v6
	v_lshrrev_b32_e32 v3, 31, v2
	s_delay_alu instid0(VALU_DEP_1) | instskip(NEXT) | instid1(VALU_DEP_1)
	v_add_nc_u32_e32 v2, v2, v3
	v_ashrrev_i32_e32 v2, 1, v2
	s_delay_alu instid0(VALU_DEP_1) | instskip(NEXT) | instid1(VALU_DEP_1)
	v_add3_u32 v0, v1, v0, v2
	v_ashrrev_i32_e32 v1, 31, v0
	s_delay_alu instid0(VALU_DEP_1) | instskip(NEXT) | instid1(VALU_DEP_1)
	v_lshrrev_b32_e32 v1, 30, v1
	v_add_nc_u32_e32 v0, v0, v1
	v_cvt_f32_f16_e32 v1, v29
	s_delay_alu instid0(VALU_DEP_2) | instskip(NEXT) | instid1(VALU_DEP_2)
	v_ashrrev_i32_e32 v0, 2, v0
	v_mul_f32_e32 v1, v1, v4
	s_delay_alu instid0(VALU_DEP_2) | instskip(NEXT) | instid1(VALU_DEP_1)
	v_cvt_f32_i32_e32 v0, v0
	v_fmac_f32_e32 v24, v1, v0
	s_and_not1_b32 exec_lo, exec_lo, s13
	s_cbranch_execz .LBB181_14
.LBB181_12:                             ; =>This Inner Loop Header: Depth=1
	v_add_nc_u32_e32 v32, s7, v25
	s_getpc_b64 s[4:5]
	s_wait_alu 0xfffe
	s_sext_i32_i16 s5, s5
	s_add_co_u32 s4, s4, _ZL9iq2s_grid@rel32@lo+12
	s_wait_alu 0xfffe
	s_add_co_ci_u32 s5, s5, _ZL9iq2s_grid@rel32@hi+24
	v_mad_co_i64_i32 v[0:1], null, 0x52, v32, s[8:9]
	s_delay_alu instid0(VALU_DEP_1) | instskip(SKIP_1) | instid1(VALU_DEP_2)
	v_add_co_u32 v2, vcc_lo, v0, v27
	s_wait_alu 0xfffd
	v_add_co_ci_u32_e64 v3, null, 0, v1, vcc_lo
	v_add_co_u32 v4, vcc_lo, v0, v26
	s_wait_alu 0xfffd
	v_add_co_ci_u32_e64 v5, null, 0, v1, vcc_lo
	s_clause 0x4
	global_load_b32 v6, v[2:3], off offset:2
	global_load_u8 v7, v[4:5], off offset:66
	global_load_u8 v28, v[4:5], off offset:74
	global_load_b32 v31, v[2:3], off offset:34
	global_load_u16 v29, v[0:1], off
	s_and_not1_b32 vcc_lo, exec_lo, s14
	s_wait_loadcnt 0x4
	v_and_b32_e32 v1, 0xff, v6
	s_wait_loadcnt 0x3
	v_lshlrev_b32_e32 v2, 8, v7
	v_bfe_u32 v3, v6, 8, 8
	v_lshlrev_b32_e32 v4, 6, v7
	v_lshrrev_b32_e32 v0, 24, v6
	v_bfe_u32 v5, v6, 16, 8
	v_lshlrev_b32_e32 v6, 4, v7
	v_lshlrev_b32_e32 v7, 2, v7
	v_and_or_b32 v10, 0x300, v2, v1
	v_and_or_b32 v11, 0x300, v4, v3
	s_delay_alu instid0(VALU_DEP_4) | instskip(NEXT) | instid1(VALU_DEP_4)
	v_and_or_b32 v12, 0x300, v6, v5
	v_and_or_b32 v13, 0x300, v7, v0
	s_delay_alu instid0(VALU_DEP_4) | instskip(NEXT) | instid1(VALU_DEP_4)
	v_lshlrev_b32_e32 v10, 3, v10
	v_lshlrev_b32_e32 v11, 3, v11
	s_clause 0x1
	global_load_b128 v[4:7], v[8:9], off offset:-32
	global_load_b128 v[0:3], v[8:9], off offset:-16
	v_lshlrev_b32_e32 v12, 3, v12
	v_lshlrev_b32_e32 v33, 3, v13
	global_load_b32 v30, v[8:9], off
	s_clause 0x3
	global_load_b64 v[16:17], v10, s[4:5]
	global_load_b64 v[14:15], v11, s[4:5]
	;; [unrolled: 1-line block ×4, first 2 shown]
	s_wait_loadcnt 0x6
	v_cvt_f32_f16_e32 v4, v4
	s_wait_alu 0xfffe
	s_cbranch_vccnz .LBB181_11
; %bb.13:                               ;   in Loop: Header=BB181_12 Depth=1
	v_mad_co_i64_i32 v[33:34], null, 0x52, v32, s[16:17]
	s_delay_alu instid0(VALU_DEP_1) | instskip(SKIP_1) | instid1(VALU_DEP_2)
	v_add_co_u32 v35, vcc_lo, v33, v27
	s_wait_alu 0xfffd
	v_add_co_ci_u32_e64 v36, null, 0, v34, vcc_lo
	v_add_co_u32 v37, vcc_lo, v33, v26
	s_wait_alu 0xfffd
	v_add_co_ci_u32_e64 v38, null, 0, v34, vcc_lo
	s_clause 0x4
	global_load_b32 v39, v[35:36], off offset:2
	global_load_u8 v40, v[37:38], off offset:66
	global_load_b32 v41, v[35:36], off offset:34
	global_load_u8 v32, v[37:38], off offset:74
	global_load_u16 v42, v[33:34], off
	s_wait_loadcnt 0x4
	v_and_b32_e32 v34, 0xff, v39
	s_wait_loadcnt 0x3
	v_lshlrev_b32_e32 v35, 8, v40
	v_bfe_u32 v36, v39, 8, 8
	v_lshlrev_b32_e32 v37, 6, v40
	v_lshrrev_b32_e32 v33, 24, v39
	v_bfe_u32 v38, v39, 16, 8
	v_lshlrev_b32_e32 v39, 4, v40
	v_and_or_b32 v34, 0x300, v35, v34
	v_lshlrev_b32_e32 v35, 2, v40
	v_and_or_b32 v36, 0x300, v37, v36
	s_wait_loadcnt 0x2
	v_and_b32_e32 v44, 0xff, v41
	v_and_or_b32 v37, 0x300, v39, v38
	v_lshlrev_b32_e32 v34, 3, v34
	v_and_or_b32 v35, 0x300, v35, v33
	v_lshlrev_b32_e32 v36, 3, v36
	v_lshlrev_b32_e32 v45, 21, v41
	;; [unrolled: 1-line block ×3, first 2 shown]
	global_load_b64 v[33:34], v34, s[4:5]
	v_lshlrev_b32_e32 v39, 3, v35
	s_clause 0x2
	global_load_b64 v[35:36], v36, s[4:5]
	global_load_b64 v[37:38], v37, s[4:5]
	;; [unrolled: 1-line block ×3, first 2 shown]
	v_lshrrev_b32_e32 v43, 16, v41
	v_lshlrev_b32_e32 v47, 17, v41
	v_lshrrev_b32_e32 v48, 6, v41
	v_lshrrev_b32_e32 v49, 1, v41
	;; [unrolled: 1-line block ×13, first 2 shown]
	v_lshl_or_b32 v45, v44, 7, v45
	v_lshrrev_b32_e32 v56, 18, v41
	v_lshrrev_b32_e32 v58, 22, v41
	;; [unrolled: 1-line block ×3, first 2 shown]
	v_lshl_or_b32 v44, v44, 3, v47
	v_bfe_i32 v47, v48, 0, 1
	v_and_b32_e32 v48, 0x180, v49
	v_bfe_i32 v49, v50, 0, 1
	v_bfe_i32 v50, v51, 0, 1
	v_and_b32_e32 v51, 0x180, v52
	v_bfe_i32 v52, v53, 0, 1
	v_bfe_i32 v53, v54, 0, 1
	v_lshl_or_b32 v54, v43, 21, v55
	v_lshl_or_b32 v43, v43, 17, v57
	v_and_or_b32 v57, 0x1fe00000, v60, v59
	v_lshrrev_b16 v59, 8, v62
	v_lshrrev_b16 v60, 7, v62
	v_cmp_ne_u16_e32 vcc_lo, 0, v63
	v_and_b32_e32 v62, 0x1800180, v45
	v_bfe_u32 v45, v45, 24, 1
	v_bfe_i32 v55, v56, 0, 1
	v_bfe_i32 v56, v58, 0, 1
	;; [unrolled: 1-line block ×3, first 2 shown]
	s_wait_alu 0xfffd
	v_cndmask_b32_e64 v61, 0, -1, vcc_lo
	v_and_b32_e32 v64, 0x1800180, v44
	v_bfe_u32 v44, v44, 24, 1
	v_cmp_ne_u16_e32 vcc_lo, 0, v45
	v_lshrrev_b16 v66, 8, v48
	v_lshrrev_b16 v68, 8, v51
	v_and_b32_e32 v70, 0x1800180, v54
	v_bfe_u32 v54, v54, 24, 1
	s_wait_alu 0xfffd
	v_cndmask_b32_e64 v45, 0, -1, vcc_lo
	v_cmp_ne_u16_e32 vcc_lo, 0, v44
	v_and_b32_e32 v72, 0x1800180, v43
	v_bfe_u32 v43, v43, 24, 1
	v_and_b32_e32 v74, 0x1800180, v57
	v_bfe_u32 v57, v57, 24, 1
	s_wait_alu 0xfffd
	v_cndmask_b32_e64 v44, 0, -1, vcc_lo
	v_cmp_ne_u16_e32 vcc_lo, 0, v66
	v_lshrrev_b16 v77, 8, v62
	v_lshrrev_b16 v78, 8, v64
	;; [unrolled: 1-line block ×3, first 2 shown]
	v_lshrrev_b32_e32 v46, 2, v41
	s_wait_alu 0xfffd
	v_cndmask_b32_e64 v66, 0, -1, vcc_lo
	v_cmp_ne_u16_e32 vcc_lo, 0, v68
	v_lshrrev_b32_e32 v41, 30, v41
	v_lshrrev_b16 v48, 7, v48
	v_lshrrev_b16 v80, 8, v72
	;; [unrolled: 1-line block ×3, first 2 shown]
	s_wait_alu 0xfffd
	v_cndmask_b32_e64 v68, 0, -1, vcc_lo
	v_cmp_ne_u16_e32 vcc_lo, 0, v54
	v_bfe_i32 v41, v41, 0, 1
	v_bfe_i32 v59, v59, 0, 1
	;; [unrolled: 1-line block ×3, first 2 shown]
	v_lshrrev_b16 v62, 7, v62
	s_wait_alu 0xfffd
	v_cndmask_b32_e64 v54, 0, -1, vcc_lo
	v_cmp_ne_u16_e32 vcc_lo, 0, v43
	v_bfe_i32 v48, v48, 0, 1
	v_lshrrev_b16 v70, 7, v70
	v_lshrrev_b16 v81, 8, v74
	v_bfe_i32 v46, v46, 0, 1
	s_wait_alu 0xfffd
	v_cndmask_b32_e64 v43, 0, -1, vcc_lo
	v_cmp_ne_u16_e32 vcc_lo, 0, v57
	v_lshlrev_b16 v49, 8, v49
	v_and_b32_e32 v67, 0xff, v50
	v_and_b32_e32 v76, 0xff, v41
	v_lshlrev_b16 v61, 8, v61
	s_wait_alu 0xfffd
	v_cndmask_b32_e64 v57, 0, -1, vcc_lo
	v_cmp_ne_u16_e32 vcc_lo, 0, v77
	v_lshrrev_b16 v64, 7, v64
	v_bfe_i32 v51, v51, 0, 1
	v_lshrrev_b16 v72, 7, v72
	v_lshrrev_b16 v74, 7, v74
	s_wait_alu 0xfffd
	v_cndmask_b32_e64 v77, 0, -1, vcc_lo
	v_cmp_ne_u16_e32 vcc_lo, 0, v78
	v_lshlrev_b16 v59, 8, v59
	v_and_b32_e32 v82, 0xff, v60
	v_bfe_i32 v62, v62, 0, 1
	v_and_b32_e32 v83, 0xff, v48
	s_wait_alu 0xfffd
	v_cndmask_b32_e64 v78, 0, -1, vcc_lo
	v_cmp_ne_u16_e32 vcc_lo, 0, v79
	v_lshlrev_b16 v66, 8, v66
	v_bfe_i32 v70, v70, 0, 1
	v_and_b32_e32 v63, 0xff, v46
	v_lshlrev_b16 v52, 8, v52
	s_wait_alu 0xfffd
	v_cndmask_b32_e64 v79, 0, -1, vcc_lo
	v_cmp_ne_u16_e32 vcc_lo, 0, v80
	v_and_b32_e32 v69, 0xff, v53
	v_and_b32_e32 v71, 0xff, v55
	v_or_b32_e32 v67, v67, v49
	v_or_b32_e32 v76, v76, v61
	s_wait_alu 0xfffd
	v_cndmask_b32_e64 v80, 0, -1, vcc_lo
	v_cmp_ne_u16_e32 vcc_lo, 0, v81
	v_lshlrev_b16 v45, 8, v45
	v_bfe_i32 v64, v64, 0, 1
	v_and_b32_e32 v84, 0xff, v51
	v_lshlrev_b16 v68, 8, v68
	v_lshlrev_b16 v54, 8, v54
	v_bfe_i32 v72, v72, 0, 1
	v_bfe_i32 v74, v74, 0, 1
	s_wait_alu 0xfffd
	v_cndmask_b32_e64 v81, 0, -1, vcc_lo
	v_or_b32_e32 v82, v82, v59
	v_and_b32_e32 v85, 0xff, v62
	v_lshlrev_b16 v77, 8, v77
	v_or_b32_e32 v83, v83, v66
	v_and_b32_e32 v87, 0xff, v70
	v_lshlrev_b16 v79, 8, v79
	v_and_b32_e32 v65, 0xff, v47
	v_and_b32_e32 v73, 0xff, v56
	;; [unrolled: 1-line block ×3, first 2 shown]
	v_or_b32_e32 v69, v69, v52
	v_lshlrev_b16 v44, 8, v44
	v_lshlrev_b32_e32 v67, 16, v67
	v_lshlrev_b16 v43, 8, v43
	v_lshlrev_b16 v57, 8, v57
	v_lshlrev_b32_e32 v76, 16, v76
	v_or_b32_e32 v63, v63, v45
	v_and_b32_e32 v86, 0xff, v64
	v_lshlrev_b16 v78, 8, v78
	v_or_b32_e32 v84, v84, v68
	v_or_b32_e32 v71, v71, v54
	v_and_b32_e32 v88, 0xff, v72
	v_lshlrev_b16 v80, 8, v80
	v_and_b32_e32 v89, 0xff, v74
	v_lshlrev_b16 v81, 8, v81
	v_and_b32_e32 v82, 0xffff, v82
	v_or_b32_e32 v85, v85, v77
	v_and_b32_e32 v83, 0xffff, v83
	v_or_b32_e32 v87, v87, v79
	v_lshlrev_b32_e32 v69, 16, v69
	v_or_b32_e32 v65, v65, v44
	v_or_b32_e32 v73, v73, v43
	;; [unrolled: 1-line block ×3, first 2 shown]
	v_lshlrev_b32_e32 v63, 16, v63
	v_or_b32_e32 v86, v86, v78
	v_and_b32_e32 v84, 0xffff, v84
	v_lshlrev_b32_e32 v71, 16, v71
	v_or_b32_e32 v88, v88, v80
	v_or_b32_e32 v89, v89, v81
	;; [unrolled: 1-line block ×3, first 2 shown]
	v_and_b32_e32 v82, 0xffff, v85
	v_or_b32_e32 v67, v83, v67
	v_and_b32_e32 v83, 0xffff, v87
	v_lshlrev_b32_e32 v65, 16, v65
	v_lshlrev_b32_e32 v73, 16, v73
	;; [unrolled: 1-line block ×3, first 2 shown]
	v_and_b32_e32 v85, 0xffff, v86
	v_or_b32_e32 v69, v84, v69
	v_and_b32_e32 v84, 0xffff, v88
	v_and_b32_e32 v86, 0xffff, v89
	v_or_b32_e32 v63, v82, v63
	v_or_b32_e32 v71, v83, v71
	;; [unrolled: 1-line block ×5, first 2 shown]
	v_lshlrev_b16 v48, 8, v48
	v_lshlrev_b16 v51, 8, v51
	;; [unrolled: 1-line block ×16, first 2 shown]
	s_wait_loadcnt 0x3
	v_xor_b32_e32 v33, v33, v63
	v_xor_b32_e32 v34, v34, v65
	s_wait_loadcnt 0x2
	v_xor_b32_e32 v35, v35, v67
	v_xor_b32_e32 v36, v36, v69
	;; [unrolled: 3-line block ×4, first 2 shown]
	v_lshrrev_b32_e32 v63, 16, v33
	v_and_b32_e32 v65, 0xffffff00, v33
	v_lshlrev_b16 v33, 8, v33
	v_lshrrev_b32_e32 v71, 16, v35
	v_and_b32_e32 v73, 0xffffff00, v35
	v_lshlrev_b16 v35, 8, v35
	;; [unrolled: 3-line block ×6, first 2 shown]
	v_sub_nc_i16 v33, v33, v62 clamp
	v_and_b32_e32 v62, 0xffffff00, v63
	v_lshlrev_b16 v63, 8, v63
	v_sub_nc_i16 v66, v73, v66 clamp
	v_sub_nc_i16 v35, v35, v48 clamp
	v_and_b32_e32 v48, 0xffffff00, v71
	v_lshlrev_b16 v71, 8, v71
	v_sub_nc_i16 v68, v76, v68 clamp
	;; [unrolled: 4-line block ×3, first 2 shown]
	v_and_b32_e32 v70, 0xffffff00, v82
	v_lshlrev_b16 v76, 8, v82
	v_lshrrev_b32_e32 v86, 16, v39
	v_and_b32_e32 v87, 0xffffff00, v39
	v_lshlrev_b16 v39, 8, v39
	v_sub_nc_i16 v65, v65, v77 clamp
	v_sub_nc_i16 v69, v69, v78 clamp
	;; [unrolled: 1-line block ×3, first 2 shown]
	v_and_b32_e32 v64, 0xffffff00, v67
	v_lshlrev_b16 v67, 8, v67
	v_sub_nc_i16 v75, v83, v79 clamp
	v_sub_nc_i16 v38, v38, v72 clamp
	v_and_b32_e32 v72, 0xffffff00, v84
	v_lshlrev_b16 v78, 8, v84
	v_sub_nc_i16 v45, v62, v45 clamp
	v_sub_nc_i16 v46, v63, v46 clamp
	;; [unrolled: 1-line block ×8, first 2 shown]
	v_lshrrev_b32_e32 v88, 16, v40
	v_and_b32_e32 v89, 0xffffff00, v40
	v_lshlrev_b16 v40, 8, v40
	v_sub_nc_i16 v77, v85, v80 clamp
	v_sub_nc_i16 v39, v39, v74 clamp
	v_and_b32_e32 v74, 0xffffff00, v86
	v_lshlrev_b16 v80, 8, v86
	v_perm_b32 v33, v33, v65, 0xc0c0105
	v_sub_nc_i16 v44, v64, v44 clamp
	v_sub_nc_i16 v47, v67, v47 clamp
	v_perm_b32 v37, v37, v75, 0xc0c0105
	v_sub_nc_i16 v43, v72, v43 clamp
	v_sub_nc_i16 v54, v78, v56 clamp
	v_perm_b32 v45, v46, v45, 0xc0c0105
	v_perm_b32 v46, v53, v52, 0xc0c0105
	v_sub_nc_i16 v79, v87, v81 clamp
	v_sub_nc_i16 v40, v40, v60 clamp
	v_and_b32_e32 v60, 0xffffff00, v88
	v_lshlrev_b16 v81, 8, v88
	v_perm_b32 v34, v34, v69, 0xc0c0105
	v_perm_b32 v38, v38, v77, 0xc0c0105
	v_sub_nc_i16 v55, v74, v57 clamp
	v_sub_nc_i16 v56, v80, v58 clamp
	v_perm_b32 v44, v47, v44, 0xc0c0105
	v_perm_b32 v43, v54, v43, 0xc0c0105
	v_lshl_or_b32 v33, v45, 16, v33
	v_lshl_or_b32 v37, v46, 16, v37
	v_sub_nc_i16 v59, v89, v59 clamp
	v_perm_b32 v35, v35, v66, 0xc0c0105
	v_perm_b32 v39, v39, v79, 0xc0c0105
	v_sub_nc_i16 v57, v60, v61 clamp
	v_sub_nc_i16 v41, v81, v41 clamp
	v_perm_b32 v47, v49, v48, 0xc0c0105
	v_perm_b32 v45, v56, v55, 0xc0c0105
	v_lshl_or_b32 v34, v44, 16, v34
	v_lshl_or_b32 v38, v43, 16, v38
	v_dot4_i32_iu8 v33, v33, v5, 0 neg_lo:[1,1,0]
	v_dot4_i32_iu8 v37, v37, v1, 0 neg_lo:[1,1,0]
	v_perm_b32 v36, v36, v68, 0xc0c0105
	v_perm_b32 v40, v40, v59, 0xc0c0105
	;; [unrolled: 1-line block ×4, first 2 shown]
	v_lshl_or_b32 v35, v47, 16, v35
	v_lshl_or_b32 v39, v45, 16, v39
	v_dot4_i32_iu8 v33, v34, v6, v33 neg_lo:[1,1,0]
	v_dot4_i32_iu8 v34, v38, v2, v37 neg_lo:[1,1,0]
	v_lshl_or_b32 v36, v48, 16, v36
	v_lshl_or_b32 v37, v41, 16, v40
	s_delay_alu instid0(VALU_DEP_4) | instskip(NEXT) | instid1(VALU_DEP_4)
	v_dot4_i32_iu8 v33, v35, v7, v33 neg_lo:[1,1,0]
	v_dot4_i32_iu8 v34, v39, v3, v34 neg_lo:[1,1,0]
	s_delay_alu instid0(VALU_DEP_2) | instskip(NEXT) | instid1(VALU_DEP_2)
	v_dot4_i32_iu8 v33, v36, v0, v33 neg_lo:[1,1,0]
	v_dot4_i32_iu8 v34, v37, v30, v34 neg_lo:[1,1,0]
	v_and_b32_e32 v37, 15, v32
	v_lshrrev_b32_e32 v32, 4, v32
	s_delay_alu instid0(VALU_DEP_3) | instskip(NEXT) | instid1(VALU_DEP_3)
	v_add_nc_u32_e32 v35, v34, v33
	v_mul_lo_u32 v33, v33, v37
	s_delay_alu instid0(VALU_DEP_3) | instskip(NEXT) | instid1(VALU_DEP_3)
	v_mul_lo_u32 v32, v34, v32
	v_lshrrev_b32_e32 v36, 31, v35
	s_delay_alu instid0(VALU_DEP_1) | instskip(NEXT) | instid1(VALU_DEP_1)
	v_add_nc_u32_e32 v35, v35, v36
	v_ashrrev_i32_e32 v34, 1, v35
	s_delay_alu instid0(VALU_DEP_1) | instskip(NEXT) | instid1(VALU_DEP_1)
	v_add3_u32 v32, v32, v33, v34
	v_ashrrev_i32_e32 v33, 31, v32
	s_delay_alu instid0(VALU_DEP_1) | instskip(NEXT) | instid1(VALU_DEP_1)
	v_lshrrev_b32_e32 v33, 30, v33
	v_add_nc_u32_e32 v32, v32, v33
	v_cvt_f32_f16_e32 v33, v42
	s_delay_alu instid0(VALU_DEP_2) | instskip(NEXT) | instid1(VALU_DEP_2)
	v_ashrrev_i32_e32 v32, 2, v32
	v_mul_f32_e32 v33, v4, v33
	s_delay_alu instid0(VALU_DEP_2) | instskip(NEXT) | instid1(VALU_DEP_1)
	v_cvt_f32_i32_e32 v32, v32
	v_fmac_f32_e32 v23, v33, v32
	s_branch .LBB181_11
.LBB181_14:
	s_or_b32 exec_lo, exec_lo, s13
.LBB181_15:
	s_delay_alu instid0(SALU_CYCLE_1)
	s_or_b32 exec_lo, exec_lo, s18
	s_load_b32 s4, s[0:1], 0x30
	s_wait_loadcnt 0x0
	; wave barrier
	global_inv scope:SCOPE_SE
	s_mov_b32 s5, exec_lo
	v_cmpx_eq_u32_e32 0, v21
	s_cbranch_execz .LBB181_43
; %bb.16:
	v_mbcnt_lo_u32_b32 v1, -1, 0
	s_delay_alu instid0(VALU_DEP_1) | instskip(SKIP_2) | instid1(VALU_DEP_3)
	v_xor_b32_e32 v0, 16, v1
	v_xor_b32_e32 v3, 8, v1
	;; [unrolled: 1-line block ×3, first 2 shown]
	v_cmp_gt_i32_e32 vcc_lo, 32, v0
	s_wait_alu 0xfffd
	v_cndmask_b32_e32 v0, v1, v0, vcc_lo
	v_cmp_gt_i32_e32 vcc_lo, 32, v3
	s_wait_alu 0xfffd
	v_cndmask_b32_e32 v3, v1, v3, vcc_lo
	v_cmp_gt_i32_e32 vcc_lo, 32, v4
	s_delay_alu instid0(VALU_DEP_2)
	v_lshlrev_b32_e32 v3, 2, v3
	v_lshlrev_b32_e32 v0, 2, v0
	s_wait_alu 0xfffd
	v_cndmask_b32_e32 v4, v1, v4, vcc_lo
	ds_bpermute_b32 v2, v0, v24
	s_wait_dscnt 0x0
	v_add_f32_e32 v2, v24, v2
	ds_bpermute_b32 v5, v3, v2
	s_wait_dscnt 0x0
	v_add_f32_e32 v2, v2, v5
	v_xor_b32_e32 v5, 2, v1
	s_delay_alu instid0(VALU_DEP_1) | instskip(SKIP_2) | instid1(VALU_DEP_1)
	v_cmp_gt_i32_e32 vcc_lo, 32, v5
	s_wait_alu 0xfffd
	v_cndmask_b32_e32 v5, v1, v5, vcc_lo
	v_lshlrev_b32_e32 v5, 2, v5
	v_lshlrev_b32_e32 v4, 2, v4
	ds_bpermute_b32 v6, v4, v2
	s_wait_dscnt 0x0
	v_add_f32_e32 v2, v2, v6
	v_xor_b32_e32 v6, 1, v1
	ds_bpermute_b32 v7, v5, v2
	v_cmp_gt_i32_e32 vcc_lo, 32, v6
	s_wait_alu 0xfffd
	v_cndmask_b32_e32 v1, v1, v6, vcc_lo
	v_cmp_ne_u32_e32 vcc_lo, 1, v22
	s_delay_alu instid0(VALU_DEP_2)
	v_lshlrev_b32_e32 v6, 2, v1
	s_wait_dscnt 0x0
	v_add_f32_e32 v1, v2, v7
	ds_bpermute_b32 v2, v6, v1
	s_cbranch_vccnz .LBB181_18
; %bb.17:
	ds_bpermute_b32 v0, v0, v23
	s_wait_dscnt 0x0
	v_add_f32_e32 v0, v23, v0
	ds_bpermute_b32 v3, v3, v0
	s_wait_dscnt 0x0
	v_add_f32_e32 v0, v0, v3
	ds_bpermute_b32 v3, v4, v0
	s_wait_dscnt 0x0
	v_add_f32_e32 v0, v0, v3
	ds_bpermute_b32 v3, v5, v0
	s_wait_dscnt 0x0
	v_add_f32_e32 v0, v0, v3
	ds_bpermute_b32 v3, v6, v0
	s_wait_dscnt 0x0
	v_add_f32_e32 v23, v0, v3
.LBB181_18:
	v_cmp_eq_u32_e32 vcc_lo, 0, v18
	s_and_b32 exec_lo, exec_lo, vcc_lo
	s_cbranch_execz .LBB181_43
; %bb.19:
	s_wait_dscnt 0x0
	v_add_f32_e32 v0, v1, v2
	v_cmp_ne_u32_e32 vcc_lo, 1, v22
	s_delay_alu instid0(VALU_DEP_2) | instskip(NEXT) | instid1(VALU_DEP_1)
	v_add_f32_e32 v1, v20, v0
	v_cndmask_b32_e64 v0, v0, v1, s2
	s_cbranch_vccnz .LBB181_42
; %bb.20:
	v_add_f32_e32 v1, v19, v23
	s_wait_kmcnt 0x0
	s_cmp_lt_i32 s4, 2
	s_mov_b32 s2, 0
	s_delay_alu instid0(VALU_DEP_1)
	v_cndmask_b32_e64 v1, v23, v1, s3
	s_cbranch_scc1 .LBB181_25
; %bb.21:
	s_cmp_gt_i32 s4, 2
	s_cbranch_scc0 .LBB181_26
; %bb.22:
	s_cmp_eq_u32 s4, 3
	s_cbranch_scc0 .LBB181_27
; %bb.23:
	v_max_num_f32_e32 v2, v1, v1
	s_mov_b32 s3, 0xc0e00000
	s_delay_alu instid0(VALU_DEP_1) | instskip(NEXT) | instid1(VALU_DEP_1)
	v_min_num_f32_e32 v2, 0x40e00000, v2
	v_mul_f32_e32 v3, 0xbfd9db23, v2
	s_delay_alu instid0(VALU_DEP_1) | instskip(NEXT) | instid1(VALU_DEP_1)
	v_mul_f32_e32 v4, 0x3fb8aa3b, v3
	v_fma_f32 v5, 0x3fb8aa3b, v3, -v4
	v_rndne_f32_e32 v6, v4
	s_delay_alu instid0(VALU_DEP_1) | instskip(NEXT) | instid1(VALU_DEP_1)
	v_dual_fmamk_f32 v5, v3, 0x32a5705f, v5 :: v_dual_sub_f32 v4, v4, v6
	v_add_f32_e32 v4, v4, v5
	v_cvt_i32_f32_e32 v5, v6
	v_cmp_ngt_f32_e32 vcc_lo, 0xc2ce8ed0, v3
	s_delay_alu instid0(VALU_DEP_3) | instskip(NEXT) | instid1(TRANS32_DEP_1)
	v_exp_f32_e32 v4, v4
	v_ldexp_f32 v4, v4, v5
	s_wait_alu 0xfffd
	s_delay_alu instid0(VALU_DEP_1) | instskip(SKIP_2) | instid1(VALU_DEP_2)
	v_cndmask_b32_e32 v4, 0, v4, vcc_lo
	v_cmp_nlt_f32_e32 vcc_lo, 0x42b17218, v3
	s_wait_alu 0xfffd
	v_cndmask_b32_e32 v3, 0x7f800000, v4, vcc_lo
	s_delay_alu instid0(VALU_DEP_1) | instskip(NEXT) | instid1(VALU_DEP_1)
	v_add_f32_e32 v3, 1.0, v3
	v_div_scale_f32 v4, null, v3, v3, v2
	v_div_scale_f32 v7, vcc_lo, v2, v3, v2
	s_delay_alu instid0(VALU_DEP_2) | instskip(NEXT) | instid1(TRANS32_DEP_1)
	v_rcp_f32_e32 v5, v4
	v_fma_f32 v6, -v4, v5, 1.0
	s_delay_alu instid0(VALU_DEP_1) | instskip(NEXT) | instid1(VALU_DEP_1)
	v_fmac_f32_e32 v5, v6, v5
	v_mul_f32_e32 v6, v7, v5
	s_delay_alu instid0(VALU_DEP_1) | instskip(NEXT) | instid1(VALU_DEP_1)
	v_fma_f32 v8, -v4, v6, v7
	v_fmac_f32_e32 v6, v8, v5
	s_delay_alu instid0(VALU_DEP_1) | instskip(SKIP_1) | instid1(VALU_DEP_1)
	v_fma_f32 v4, -v4, v6, v7
	s_wait_alu 0xfffd
	v_div_fmas_f32 v4, v4, v5, v6
	s_delay_alu instid0(VALU_DEP_1) | instskip(SKIP_2) | instid1(VALU_DEP_1)
	v_div_fixup_f32 v2, v4, v3, v2
	v_max_num_f32_e32 v7, v0, v0
	s_wait_alu 0xfffe
	v_minmax_num_f32 v5, v7, 0x40e00000, s3
	s_mov_b32 s3, 0
	s_delay_alu instid0(VALU_DEP_1) | instskip(NEXT) | instid1(VALU_DEP_1)
	v_add_f32_e32 v3, 1.0, v5
	v_mul_f32_e32 v2, v3, v2
	s_branch .LBB181_28
.LBB181_24:
                                        ; implicit-def: $sgpr28
	s_clause 0x1
	s_load_b32 s30, s[0:1], 0x50
	s_load_b32 s29, s[0:1], 0x78
	s_branch .LBB181_2
.LBB181_25:
	s_mov_b32 s3, 0
                                        ; implicit-def: $vgpr2
	s_cbranch_execnz .LBB181_32
	s_branch .LBB181_33
.LBB181_26:
	s_mov_b32 s5, -1
	s_mov_b32 s3, 0
                                        ; implicit-def: $vgpr2
	s_branch .LBB181_29
.LBB181_27:
	s_mov_b32 s3, -1
                                        ; implicit-def: $vgpr2
.LBB181_28:
	s_mov_b32 s5, 0
.LBB181_29:
	s_wait_alu 0xfffe
	s_and_b32 vcc_lo, exec_lo, s5
	s_wait_alu 0xfffe
	s_cbranch_vccz .LBB181_31
; %bb.30:
	v_mul_f32_e32 v2, 0xbfb8aa3b, v1
	v_cmp_nlt_f32_e32 vcc_lo, 0x42ce8ed0, v1
	s_delay_alu instid0(VALU_DEP_2) | instskip(SKIP_1) | instid1(VALU_DEP_2)
	v_rndne_f32_e32 v3, v2
	v_fma_f32 v4, 0xbfb8aa3b, v1, -v2
	v_sub_f32_e32 v2, v2, v3
	s_delay_alu instid0(VALU_DEP_2) | instskip(SKIP_1) | instid1(VALU_DEP_2)
	v_fmamk_f32 v4, v1, 0xb2a5705f, v4
	v_cvt_i32_f32_e32 v3, v3
	v_add_f32_e32 v2, v2, v4
	s_delay_alu instid0(VALU_DEP_1) | instskip(NEXT) | instid1(TRANS32_DEP_1)
	v_exp_f32_e32 v2, v2
	v_ldexp_f32 v2, v2, v3
	s_wait_alu 0xfffd
	s_delay_alu instid0(VALU_DEP_1) | instskip(SKIP_2) | instid1(VALU_DEP_2)
	v_cndmask_b32_e32 v2, 0, v2, vcc_lo
	v_cmp_ngt_f32_e32 vcc_lo, 0xc2b17218, v1
	s_wait_alu 0xfffd
	v_cndmask_b32_e32 v2, 0x7f800000, v2, vcc_lo
	s_delay_alu instid0(VALU_DEP_1) | instskip(NEXT) | instid1(VALU_DEP_1)
	v_add_f32_e32 v2, 1.0, v2
	v_div_scale_f32 v3, null, v2, v2, v1
	s_delay_alu instid0(VALU_DEP_1) | instskip(NEXT) | instid1(TRANS32_DEP_1)
	v_rcp_f32_e32 v4, v3
	v_fma_f32 v5, -v3, v4, 1.0
	s_delay_alu instid0(VALU_DEP_1) | instskip(SKIP_1) | instid1(VALU_DEP_1)
	v_fmac_f32_e32 v4, v5, v4
	v_div_scale_f32 v5, vcc_lo, v1, v2, v1
	v_mul_f32_e32 v6, v5, v4
	s_delay_alu instid0(VALU_DEP_1) | instskip(NEXT) | instid1(VALU_DEP_1)
	v_fma_f32 v7, -v3, v6, v5
	v_fmac_f32_e32 v6, v7, v4
	s_delay_alu instid0(VALU_DEP_1) | instskip(SKIP_1) | instid1(VALU_DEP_1)
	v_fma_f32 v3, -v3, v6, v5
	s_wait_alu 0xfffd
	v_div_fmas_f32 v3, v3, v4, v6
	s_delay_alu instid0(VALU_DEP_1) | instskip(NEXT) | instid1(VALU_DEP_1)
	v_div_fixup_f32 v2, v3, v2, v1
	v_mul_f32_e32 v2, v0, v2
.LBB181_31:
	s_branch .LBB181_33
.LBB181_32:
	s_cmp_lg_u32 s4, 1
	s_mov_b32 s2, -1
	s_cselect_b32 s3, -1, 0
.LBB181_33:
	s_wait_alu 0xfffe
	s_and_not1_b32 vcc_lo, exec_lo, s3
	s_wait_alu 0xfffe
	s_cbranch_vccz .LBB181_35
; %bb.34:
	s_and_not1_b32 vcc_lo, exec_lo, s2
	s_wait_alu 0xfffe
	s_cbranch_vccz .LBB181_36
	s_branch .LBB181_41
.LBB181_35:
	v_mul_f32_e32 v2, v1, v0
	s_cbranch_execnz .LBB181_41
.LBB181_36:
	v_mul_f32_e32 v2, 0x3d372713, v1
	v_mul_f32_e32 v3, 0x3f4c422a, v1
	s_delay_alu instid0(VALU_DEP_2) | instskip(NEXT) | instid1(VALU_DEP_1)
	v_fma_f32 v2, v1, v2, 1.0
	v_mul_f32_e32 v2, v3, v2
                                        ; implicit-def: $vgpr3
	s_delay_alu instid0(VALU_DEP_1)
	v_cmp_ngt_f32_e64 s2, 0x3f200000, |v2|
	s_and_saveexec_b32 s3, s2
	s_wait_alu 0xfffe
	s_xor_b32 s2, exec_lo, s3
	s_cbranch_execz .LBB181_38
; %bb.37:
	v_add_f32_e64 v3, |v2|, |v2|
	s_delay_alu instid0(VALU_DEP_1) | instskip(SKIP_1) | instid1(VALU_DEP_2)
	v_mul_f32_e32 v4, 0x3fb8aa3b, v3
	v_cmp_ngt_f32_e32 vcc_lo, 0xc2ce8ed0, v3
	v_rndne_f32_e32 v5, v4
	v_fma_f32 v6, 0x3fb8aa3b, v3, -v4
	s_delay_alu instid0(VALU_DEP_2) | instskip(NEXT) | instid1(VALU_DEP_2)
	v_sub_f32_e32 v4, v4, v5
	v_fmamk_f32 v6, v3, 0x32a5705f, v6
	v_cvt_i32_f32_e32 v5, v5
	s_delay_alu instid0(VALU_DEP_2) | instskip(NEXT) | instid1(VALU_DEP_1)
	v_add_f32_e32 v4, v4, v6
	v_exp_f32_e32 v4, v4
	s_delay_alu instid0(TRANS32_DEP_1) | instskip(SKIP_1) | instid1(VALU_DEP_1)
	v_ldexp_f32 v4, v4, v5
	s_wait_alu 0xfffd
	v_cndmask_b32_e32 v4, 0, v4, vcc_lo
	v_cmp_nlt_f32_e32 vcc_lo, 0x42b17218, v3
	s_wait_alu 0xfffd
	s_delay_alu instid0(VALU_DEP_2) | instskip(NEXT) | instid1(VALU_DEP_1)
	v_cndmask_b32_e32 v3, 0x7f800000, v4, vcc_lo
	v_add_f32_e32 v3, 1.0, v3
	s_delay_alu instid0(VALU_DEP_1) | instskip(NEXT) | instid1(TRANS32_DEP_1)
	v_rcp_f32_e32 v3, v3
	v_fma_f32 v3, v3, -2.0, 1.0
.LBB181_38:
	s_wait_alu 0xfffe
	s_and_not1_saveexec_b32 s2, s2
	s_cbranch_execz .LBB181_40
; %bb.39:
	v_mul_f32_e32 v3, v2, v2
	s_mov_b32 s3, 0xbbbac73d
	s_wait_alu 0xfffe
	s_delay_alu instid0(VALU_DEP_1) | instskip(NEXT) | instid1(VALU_DEP_1)
	v_fmaak_f32 v4, s3, v3, 0x3ca908c9
	v_fmaak_f32 v4, v3, v4, 0xbd5c1c4e
	s_delay_alu instid0(VALU_DEP_1) | instskip(NEXT) | instid1(VALU_DEP_1)
	v_fmaak_f32 v4, v3, v4, 0x3e088382
	v_fmaak_f32 v4, v3, v4, 0xbeaaaa99
	s_delay_alu instid0(VALU_DEP_1) | instskip(NEXT) | instid1(VALU_DEP_1)
	v_mul_f32_e64 v4, |v2|, v4
	v_fma_f32 v3, v3, v4, |v2|
.LBB181_40:
	s_wait_alu 0xfffe
	s_or_b32 exec_lo, exec_lo, s2
	s_delay_alu instid0(VALU_DEP_1) | instskip(NEXT) | instid1(VALU_DEP_1)
	v_bfi_b32 v2, 0x7fffffff, v3, v2
	v_dual_mul_f32 v1, 0.5, v1 :: v_dual_add_f32 v2, 1.0, v2
	s_delay_alu instid0(VALU_DEP_1) | instskip(NEXT) | instid1(VALU_DEP_1)
	v_mul_f32_e32 v1, v1, v2
	v_mul_f32_e32 v2, v0, v1
.LBB181_41:
	s_delay_alu instid0(VALU_DEP_1)
	v_mov_b32_e32 v0, v2
.LBB181_42:
	s_load_b64 s[0:1], s[0:1], 0x38
	s_mul_i32 s2, s6, s27
	s_wait_kmcnt 0x0
	s_mul_i32 s3, s26, s21
	s_wait_alu 0xfffe
	s_add_co_i32 s2, s2, ttmp9
	v_lshlrev_b32_e32 v1, 2, v18
	s_wait_alu 0xfffe
	s_add_co_i32 s2, s2, s3
	s_mov_b32 s3, 0
	s_wait_alu 0xfffe
	s_lshl_b64 s[2:3], s[2:3], 2
	s_wait_alu 0xfffe
	s_add_nc_u64 s[0:1], s[0:1], s[2:3]
	global_store_b32 v1, v0, s[0:1]
.LBB181_43:
	s_endpgm
	.section	.rodata,"a",@progbits
	.p2align	6, 0x0
	.amdhsa_kernel _ZL13mul_mat_vec_qIL9ggml_type22ELi1ELb1ELb1EEvPKvS2_PKi31ggml_cuda_mm_fusion_args_devicePfj15HIP_vector_typeIjLj3EEjjjS8_jjjS8_jjjj
		.amdhsa_group_segment_fixed_size 0
		.amdhsa_private_segment_fixed_size 0
		.amdhsa_kernarg_size 144
		.amdhsa_user_sgpr_count 2
		.amdhsa_user_sgpr_dispatch_ptr 0
		.amdhsa_user_sgpr_queue_ptr 0
		.amdhsa_user_sgpr_kernarg_segment_ptr 1
		.amdhsa_user_sgpr_dispatch_id 0
		.amdhsa_user_sgpr_private_segment_size 0
		.amdhsa_wavefront_size32 1
		.amdhsa_uses_dynamic_stack 0
		.amdhsa_enable_private_segment 0
		.amdhsa_system_sgpr_workgroup_id_x 1
		.amdhsa_system_sgpr_workgroup_id_y 1
		.amdhsa_system_sgpr_workgroup_id_z 1
		.amdhsa_system_sgpr_workgroup_info 0
		.amdhsa_system_vgpr_workitem_id 1
		.amdhsa_next_free_vgpr 90
		.amdhsa_next_free_sgpr 38
		.amdhsa_reserve_vcc 1
		.amdhsa_float_round_mode_32 0
		.amdhsa_float_round_mode_16_64 0
		.amdhsa_float_denorm_mode_32 3
		.amdhsa_float_denorm_mode_16_64 3
		.amdhsa_fp16_overflow 0
		.amdhsa_workgroup_processor_mode 1
		.amdhsa_memory_ordered 1
		.amdhsa_forward_progress 1
		.amdhsa_inst_pref_size 59
		.amdhsa_round_robin_scheduling 0
		.amdhsa_exception_fp_ieee_invalid_op 0
		.amdhsa_exception_fp_denorm_src 0
		.amdhsa_exception_fp_ieee_div_zero 0
		.amdhsa_exception_fp_ieee_overflow 0
		.amdhsa_exception_fp_ieee_underflow 0
		.amdhsa_exception_fp_ieee_inexact 0
		.amdhsa_exception_int_div_zero 0
	.end_amdhsa_kernel
	.section	.text._ZL13mul_mat_vec_qIL9ggml_type22ELi1ELb1ELb1EEvPKvS2_PKi31ggml_cuda_mm_fusion_args_devicePfj15HIP_vector_typeIjLj3EEjjjS8_jjjS8_jjjj,"axG",@progbits,_ZL13mul_mat_vec_qIL9ggml_type22ELi1ELb1ELb1EEvPKvS2_PKi31ggml_cuda_mm_fusion_args_devicePfj15HIP_vector_typeIjLj3EEjjjS8_jjjS8_jjjj,comdat
.Lfunc_end181:
	.size	_ZL13mul_mat_vec_qIL9ggml_type22ELi1ELb1ELb1EEvPKvS2_PKi31ggml_cuda_mm_fusion_args_devicePfj15HIP_vector_typeIjLj3EEjjjS8_jjjS8_jjjj, .Lfunc_end181-_ZL13mul_mat_vec_qIL9ggml_type22ELi1ELb1ELb1EEvPKvS2_PKi31ggml_cuda_mm_fusion_args_devicePfj15HIP_vector_typeIjLj3EEjjjS8_jjjS8_jjjj
                                        ; -- End function
	.set _ZL13mul_mat_vec_qIL9ggml_type22ELi1ELb1ELb1EEvPKvS2_PKi31ggml_cuda_mm_fusion_args_devicePfj15HIP_vector_typeIjLj3EEjjjS8_jjjS8_jjjj.num_vgpr, 90
	.set _ZL13mul_mat_vec_qIL9ggml_type22ELi1ELb1ELb1EEvPKvS2_PKi31ggml_cuda_mm_fusion_args_devicePfj15HIP_vector_typeIjLj3EEjjjS8_jjjS8_jjjj.num_agpr, 0
	.set _ZL13mul_mat_vec_qIL9ggml_type22ELi1ELb1ELb1EEvPKvS2_PKi31ggml_cuda_mm_fusion_args_devicePfj15HIP_vector_typeIjLj3EEjjjS8_jjjS8_jjjj.numbered_sgpr, 38
	.set _ZL13mul_mat_vec_qIL9ggml_type22ELi1ELb1ELb1EEvPKvS2_PKi31ggml_cuda_mm_fusion_args_devicePfj15HIP_vector_typeIjLj3EEjjjS8_jjjS8_jjjj.num_named_barrier, 0
	.set _ZL13mul_mat_vec_qIL9ggml_type22ELi1ELb1ELb1EEvPKvS2_PKi31ggml_cuda_mm_fusion_args_devicePfj15HIP_vector_typeIjLj3EEjjjS8_jjjS8_jjjj.private_seg_size, 0
	.set _ZL13mul_mat_vec_qIL9ggml_type22ELi1ELb1ELb1EEvPKvS2_PKi31ggml_cuda_mm_fusion_args_devicePfj15HIP_vector_typeIjLj3EEjjjS8_jjjS8_jjjj.uses_vcc, 1
	.set _ZL13mul_mat_vec_qIL9ggml_type22ELi1ELb1ELb1EEvPKvS2_PKi31ggml_cuda_mm_fusion_args_devicePfj15HIP_vector_typeIjLj3EEjjjS8_jjjS8_jjjj.uses_flat_scratch, 0
	.set _ZL13mul_mat_vec_qIL9ggml_type22ELi1ELb1ELb1EEvPKvS2_PKi31ggml_cuda_mm_fusion_args_devicePfj15HIP_vector_typeIjLj3EEjjjS8_jjjS8_jjjj.has_dyn_sized_stack, 0
	.set _ZL13mul_mat_vec_qIL9ggml_type22ELi1ELb1ELb1EEvPKvS2_PKi31ggml_cuda_mm_fusion_args_devicePfj15HIP_vector_typeIjLj3EEjjjS8_jjjS8_jjjj.has_recursion, 0
	.set _ZL13mul_mat_vec_qIL9ggml_type22ELi1ELb1ELb1EEvPKvS2_PKi31ggml_cuda_mm_fusion_args_devicePfj15HIP_vector_typeIjLj3EEjjjS8_jjjS8_jjjj.has_indirect_call, 0
	.section	.AMDGPU.csdata,"",@progbits
; Kernel info:
; codeLenInByte = 7532
; TotalNumSgprs: 40
; NumVgprs: 90
; ScratchSize: 0
; MemoryBound: 0
; FloatMode: 240
; IeeeMode: 1
; LDSByteSize: 0 bytes/workgroup (compile time only)
; SGPRBlocks: 0
; VGPRBlocks: 11
; NumSGPRsForWavesPerEU: 40
; NumVGPRsForWavesPerEU: 90
; Occupancy: 16
; WaveLimiterHint : 0
; COMPUTE_PGM_RSRC2:SCRATCH_EN: 0
; COMPUTE_PGM_RSRC2:USER_SGPR: 2
; COMPUTE_PGM_RSRC2:TRAP_HANDLER: 0
; COMPUTE_PGM_RSRC2:TGID_X_EN: 1
; COMPUTE_PGM_RSRC2:TGID_Y_EN: 1
; COMPUTE_PGM_RSRC2:TGID_Z_EN: 1
; COMPUTE_PGM_RSRC2:TIDIG_COMP_CNT: 1
	.section	.text._ZL13mul_mat_vec_qIL9ggml_type22ELi1ELb0ELb1EEvPKvS2_PKi31ggml_cuda_mm_fusion_args_devicePfj15HIP_vector_typeIjLj3EEjjjS8_jjjS8_jjjj,"axG",@progbits,_ZL13mul_mat_vec_qIL9ggml_type22ELi1ELb0ELb1EEvPKvS2_PKi31ggml_cuda_mm_fusion_args_devicePfj15HIP_vector_typeIjLj3EEjjjS8_jjjS8_jjjj,comdat
	.globl	_ZL13mul_mat_vec_qIL9ggml_type22ELi1ELb0ELb1EEvPKvS2_PKi31ggml_cuda_mm_fusion_args_devicePfj15HIP_vector_typeIjLj3EEjjjS8_jjjS8_jjjj ; -- Begin function _ZL13mul_mat_vec_qIL9ggml_type22ELi1ELb0ELb1EEvPKvS2_PKi31ggml_cuda_mm_fusion_args_devicePfj15HIP_vector_typeIjLj3EEjjjS8_jjjS8_jjjj
	.p2align	8
	.type	_ZL13mul_mat_vec_qIL9ggml_type22ELi1ELb0ELb1EEvPKvS2_PKi31ggml_cuda_mm_fusion_args_devicePfj15HIP_vector_typeIjLj3EEjjjS8_jjjS8_jjjj,@function
_ZL13mul_mat_vec_qIL9ggml_type22ELi1ELb0ELb1EEvPKvS2_PKi31ggml_cuda_mm_fusion_args_devicePfj15HIP_vector_typeIjLj3EEjjjS8_jjjS8_jjjj: ; @_ZL13mul_mat_vec_qIL9ggml_type22ELi1ELb0ELb1EEvPKvS2_PKi31ggml_cuda_mm_fusion_args_devicePfj15HIP_vector_typeIjLj3EEjjjS8_jjjS8_jjjj
; %bb.0:
	s_clause 0x1
	s_load_b64 s[2:3], s[0:1], 0x10
	s_load_b128 s[8:11], s[0:1], 0x40
	s_and_b32 s15, ttmp7, 0xffff
	s_wait_kmcnt 0x0
	s_cmp_lg_u64 s[2:3], 0
	s_cselect_b32 s12, -1, 0
	s_cmp_eq_u64 s[2:3], 0
	s_cbranch_scc1 .LBB182_13
; %bb.1:
	s_lshl_b32 s4, s15, 2
	s_load_b32 s19, s[2:3], s4 offset:0x0
	s_clause 0x1
	s_load_b128 s[4:7], s[0:1], 0x68
	s_load_b32 s20, s[0:1], 0x50
	s_cbranch_execnz .LBB182_3
.LBB182_2:
	s_load_b64 s[2:3], s[0:1], 0x5c
	s_wait_kmcnt 0x0
	s_mul_hi_u32 s2, s2, s15
	s_delay_alu instid0(SALU_CYCLE_1) | instskip(NEXT) | instid1(SALU_CYCLE_1)
	s_add_co_i32 s2, s15, s2
	s_lshr_b32 s19, s2, s3
.LBB182_3:
	s_load_b32 s21, s[0:1], 0x78
	s_and_not1_b32 vcc_lo, exec_lo, s12
	s_mov_b32 s2, s15
	s_cbranch_vccnz .LBB182_5
; %bb.4:
	s_mul_hi_u32 s2, s9, s15
	s_delay_alu instid0(SALU_CYCLE_1) | instskip(NEXT) | instid1(SALU_CYCLE_1)
	s_add_co_i32 s2, s15, s2
	s_lshr_b32 s2, s2, s10
	s_delay_alu instid0(SALU_CYCLE_1) | instskip(NEXT) | instid1(SALU_CYCLE_1)
	s_mul_i32 s2, s2, s11
	s_sub_co_i32 s2, s15, s2
.LBB182_5:
	s_load_b96 s[12:14], s[0:1], 0x80
	v_bfe_u32 v3, v0, 10, 10
	v_and_b32_e32 v2, 0x3ff, v0
	v_mov_b32_e32 v4, 0
	s_lshr_b32 s18, s8, 8
	s_lshr_b32 s16, ttmp7, 16
	s_mov_b32 s17, exec_lo
	v_lshl_or_b32 v0, v3, 5, v2
	s_delay_alu instid0(VALU_DEP_1) | instskip(NEXT) | instid1(VALU_DEP_1)
	v_lshrrev_b32_e32 v5, 3, v0
	v_cmpx_gt_u32_e64 s18, v5
	s_cbranch_execz .LBB182_9
; %bb.6:
	v_lshrrev_b32_e32 v0, 3, v0
	s_wait_kmcnt 0x0
	s_mul_i32 s2, s2, s5
	s_mov_b32 s3, 0
	v_and_b32_e32 v6, 7, v2
	s_mul_u64 s[8:9], s[2:3], 36
	s_mul_i32 s2, s13, s16
	v_mad_co_u64_u32 v[0:1], null, 0x120, v0, s[8:9]
	s_load_b128 s[8:11], s[0:1], 0x0
	v_dual_mov_b32 v4, 0 :: v_dual_lshlrev_b32 v7, 1, v6
	s_mul_i32 s20, s20, ttmp9
	v_mad_co_u64_u32 v[0:1], null, s2, 36, v[0:1]
	s_mul_hi_u32 s2, s7, s16
	v_lshlrev_b32_e32 v7, 1, v7
	s_wait_alu 0xfffe
	s_add_co_i32 s2, s16, s2
	s_mul_i32 s7, s19, s4
	s_wait_alu 0xfffe
	s_lshr_b32 s2, s2, s21
	v_mad_co_u64_u32 v[0:1], null, v6, 36, v[0:1]
	s_wait_alu 0xfffe
	s_mul_i32 s2, s2, s12
	s_wait_alu 0xfffe
	s_add_co_i32 s2, s2, s20
	s_wait_alu 0xfffe
	s_add_co_i32 s7, s7, s2
	s_wait_kmcnt 0x0
	v_add_co_u32 v0, vcc_lo, s10, v0
	s_delay_alu instid0(VALU_DEP_1) | instskip(NEXT) | instid1(VALU_DEP_2)
	v_add_co_ci_u32_e64 v1, null, s11, v1, vcc_lo
	v_add_co_u32 v0, vcc_lo, v0, 32
	s_wait_alu 0xfffd
	s_delay_alu instid0(VALU_DEP_2)
	v_add_co_ci_u32_e64 v1, null, 0, v1, vcc_lo
.LBB182_7:                              ; =>This Inner Loop Header: Depth=1
	v_add_nc_u32_e32 v8, s7, v5
	s_getpc_b64 s[4:5]
	s_sext_i32_i16 s5, s5
	s_add_co_u32 s4, s4, _ZL9iq2s_grid@rel32@lo+8
	s_add_co_ci_u32 s5, s5, _ZL9iq2s_grid@rel32@hi+16
	v_add_nc_u32_e32 v5, 4, v5
	v_mad_co_i64_i32 v[9:10], null, 0x52, v8, s[8:9]
	s_delay_alu instid0(VALU_DEP_2)
	v_cmp_le_u32_e64 s2, s18, v5
	s_or_b32 s3, s2, s3
	v_add_co_u32 v11, vcc_lo, v9, v7
	s_wait_alu 0xfffd
	v_add_co_ci_u32_e64 v12, null, 0, v10, vcc_lo
	v_add_co_u32 v13, vcc_lo, v9, v6
	s_wait_alu 0xfffd
	v_add_co_ci_u32_e64 v14, null, 0, v10, vcc_lo
	s_clause 0x4
	global_load_b32 v15, v[11:12], off offset:2
	global_load_u8 v16, v[13:14], off offset:66
	global_load_u8 v8, v[13:14], off offset:74
	global_load_b32 v25, v[11:12], off offset:34
	global_load_u16 v26, v[9:10], off
	s_wait_loadcnt 0x4
	v_and_b32_e32 v10, 0xff, v15
	s_wait_loadcnt 0x3
	v_lshlrev_b32_e32 v11, 8, v16
	v_bfe_u32 v12, v15, 8, 8
	v_lshlrev_b32_e32 v13, 6, v16
	v_lshrrev_b32_e32 v9, 24, v15
	v_bfe_u32 v14, v15, 16, 8
	v_lshlrev_b32_e32 v15, 4, v16
	v_lshlrev_b32_e32 v16, 2, v16
	v_and_or_b32 v10, 0x300, v11, v10
	v_and_or_b32 v11, 0x300, v13, v12
	s_wait_loadcnt 0x1
	v_and_b32_e32 v29, 0xff, v25
	v_and_or_b32 v12, 0x300, v15, v14
	v_and_or_b32 v9, 0x300, v16, v9
	v_lshlrev_b32_e32 v10, 3, v10
	v_lshlrev_b32_e32 v11, 3, v11
	;; [unrolled: 1-line block ×5, first 2 shown]
	s_clause 0x3
	global_load_b64 v[17:18], v10, s[4:5]
	global_load_b64 v[19:20], v11, s[4:5]
	;; [unrolled: 1-line block ×4, first 2 shown]
	s_clause 0x2
	global_load_b128 v[9:12], v[0:1], off offset:-32
	global_load_b128 v[13:16], v[0:1], off offset:-16
	global_load_b32 v27, v[0:1], off
	v_lshrrev_b32_e32 v28, 16, v25
	v_lshlrev_b32_e32 v32, 17, v25
	v_lshrrev_b32_e32 v33, 6, v25
	v_lshrrev_b32_e32 v34, 1, v25
	;; [unrolled: 1-line block ×13, first 2 shown]
	v_lshl_or_b32 v30, v29, 7, v30
	v_lshrrev_b32_e32 v41, 18, v25
	v_lshrrev_b32_e32 v43, 22, v25
	;; [unrolled: 1-line block ×3, first 2 shown]
	v_lshl_or_b32 v29, v29, 3, v32
	v_bfe_i32 v32, v33, 0, 1
	v_and_b32_e32 v33, 0x180, v34
	v_bfe_i32 v34, v35, 0, 1
	v_bfe_i32 v35, v36, 0, 1
	v_and_b32_e32 v36, 0x180, v37
	v_bfe_i32 v37, v38, 0, 1
	v_bfe_i32 v38, v39, 0, 1
	v_lshl_or_b32 v39, v28, 21, v40
	v_lshl_or_b32 v28, v28, 17, v42
	v_and_or_b32 v42, 0x1fe00000, v45, v44
	v_lshrrev_b16 v44, 8, v47
	v_lshrrev_b16 v45, 7, v47
	v_cmp_ne_u16_e32 vcc_lo, 0, v48
	v_and_b32_e32 v47, 0x1800180, v30
	v_bfe_u32 v30, v30, 24, 1
	v_bfe_i32 v40, v41, 0, 1
	v_bfe_i32 v41, v43, 0, 1
	;; [unrolled: 1-line block ×3, first 2 shown]
	s_wait_alu 0xfffd
	v_cndmask_b32_e64 v46, 0, -1, vcc_lo
	v_and_b32_e32 v49, 0x1800180, v29
	v_bfe_u32 v29, v29, 24, 1
	v_cmp_ne_u16_e32 vcc_lo, 0, v30
	v_lshrrev_b16 v51, 8, v33
	v_lshrrev_b16 v53, 8, v36
	v_and_b32_e32 v55, 0x1800180, v39
	v_bfe_u32 v39, v39, 24, 1
	s_wait_alu 0xfffd
	v_cndmask_b32_e64 v30, 0, -1, vcc_lo
	v_cmp_ne_u16_e32 vcc_lo, 0, v29
	v_and_b32_e32 v57, 0x1800180, v28
	v_bfe_u32 v28, v28, 24, 1
	v_and_b32_e32 v59, 0x1800180, v42
	v_bfe_u32 v42, v42, 24, 1
	s_wait_alu 0xfffd
	v_cndmask_b32_e64 v29, 0, -1, vcc_lo
	v_cmp_ne_u16_e32 vcc_lo, 0, v51
	v_lshrrev_b16 v62, 8, v47
	v_lshrrev_b16 v63, 8, v49
	;; [unrolled: 1-line block ×3, first 2 shown]
	v_lshrrev_b32_e32 v31, 2, v25
	s_wait_alu 0xfffd
	v_cndmask_b32_e64 v51, 0, -1, vcc_lo
	v_cmp_ne_u16_e32 vcc_lo, 0, v53
	v_lshrrev_b32_e32 v25, 30, v25
	v_lshrrev_b16 v33, 7, v33
	v_lshrrev_b16 v65, 8, v57
	;; [unrolled: 1-line block ×3, first 2 shown]
	s_wait_alu 0xfffd
	v_cndmask_b32_e64 v53, 0, -1, vcc_lo
	v_cmp_ne_u16_e32 vcc_lo, 0, v39
	v_bfe_i32 v25, v25, 0, 1
	v_bfe_i32 v44, v44, 0, 1
	;; [unrolled: 1-line block ×3, first 2 shown]
	v_lshrrev_b16 v47, 7, v47
	s_wait_alu 0xfffd
	v_cndmask_b32_e64 v39, 0, -1, vcc_lo
	v_cmp_ne_u16_e32 vcc_lo, 0, v28
	v_bfe_i32 v33, v33, 0, 1
	v_lshrrev_b16 v55, 7, v55
	v_lshrrev_b16 v66, 8, v59
	v_bfe_i32 v31, v31, 0, 1
	s_wait_alu 0xfffd
	v_cndmask_b32_e64 v28, 0, -1, vcc_lo
	v_cmp_ne_u16_e32 vcc_lo, 0, v42
	v_lshlrev_b16 v34, 8, v34
	v_and_b32_e32 v52, 0xff, v35
	v_and_b32_e32 v61, 0xff, v25
	v_lshlrev_b16 v46, 8, v46
	s_wait_alu 0xfffd
	v_cndmask_b32_e64 v42, 0, -1, vcc_lo
	v_cmp_ne_u16_e32 vcc_lo, 0, v62
	v_lshrrev_b16 v49, 7, v49
	v_bfe_i32 v36, v36, 0, 1
	v_lshrrev_b16 v57, 7, v57
	v_lshrrev_b16 v59, 7, v59
	s_wait_alu 0xfffd
	v_cndmask_b32_e64 v62, 0, -1, vcc_lo
	v_cmp_ne_u16_e32 vcc_lo, 0, v63
	v_lshlrev_b16 v44, 8, v44
	v_and_b32_e32 v67, 0xff, v45
	v_bfe_i32 v47, v47, 0, 1
	v_and_b32_e32 v68, 0xff, v33
	s_wait_alu 0xfffd
	v_cndmask_b32_e64 v63, 0, -1, vcc_lo
	v_cmp_ne_u16_e32 vcc_lo, 0, v64
	v_lshlrev_b16 v51, 8, v51
	v_bfe_i32 v55, v55, 0, 1
	v_and_b32_e32 v48, 0xff, v31
	v_lshlrev_b16 v37, 8, v37
	s_wait_alu 0xfffd
	v_cndmask_b32_e64 v64, 0, -1, vcc_lo
	v_cmp_ne_u16_e32 vcc_lo, 0, v65
	v_and_b32_e32 v54, 0xff, v38
	v_and_b32_e32 v56, 0xff, v40
	v_or_b32_e32 v52, v52, v34
	v_or_b32_e32 v61, v61, v46
	s_wait_alu 0xfffd
	v_cndmask_b32_e64 v65, 0, -1, vcc_lo
	v_cmp_ne_u16_e32 vcc_lo, 0, v66
	v_lshlrev_b16 v30, 8, v30
	v_bfe_i32 v49, v49, 0, 1
	v_and_b32_e32 v69, 0xff, v36
	v_lshlrev_b16 v53, 8, v53
	v_lshlrev_b16 v39, 8, v39
	v_bfe_i32 v57, v57, 0, 1
	v_bfe_i32 v59, v59, 0, 1
	s_wait_alu 0xfffd
	v_cndmask_b32_e64 v66, 0, -1, vcc_lo
	v_or_b32_e32 v67, v67, v44
	v_and_b32_e32 v70, 0xff, v47
	v_lshlrev_b16 v62, 8, v62
	v_or_b32_e32 v68, v68, v51
	v_and_b32_e32 v72, 0xff, v55
	v_lshlrev_b16 v64, 8, v64
	v_and_b32_e32 v50, 0xff, v32
	v_and_b32_e32 v58, 0xff, v41
	;; [unrolled: 1-line block ×3, first 2 shown]
	v_or_b32_e32 v54, v54, v37
	v_lshlrev_b16 v29, 8, v29
	v_lshlrev_b32_e32 v52, 16, v52
	v_lshlrev_b16 v28, 8, v28
	v_lshlrev_b16 v42, 8, v42
	v_lshlrev_b32_e32 v61, 16, v61
	v_or_b32_e32 v48, v48, v30
	v_and_b32_e32 v71, 0xff, v49
	v_lshlrev_b16 v63, 8, v63
	v_or_b32_e32 v69, v69, v53
	v_or_b32_e32 v56, v56, v39
	v_and_b32_e32 v73, 0xff, v57
	v_lshlrev_b16 v65, 8, v65
	v_and_b32_e32 v74, 0xff, v59
	v_lshlrev_b16 v66, 8, v66
	v_and_b32_e32 v67, 0xffff, v67
	v_or_b32_e32 v70, v70, v62
	v_and_b32_e32 v68, 0xffff, v68
	v_or_b32_e32 v72, v72, v64
	v_lshlrev_b32_e32 v54, 16, v54
	v_or_b32_e32 v50, v50, v29
	v_or_b32_e32 v58, v58, v28
	;; [unrolled: 1-line block ×3, first 2 shown]
	v_lshlrev_b32_e32 v48, 16, v48
	v_or_b32_e32 v71, v71, v63
	v_and_b32_e32 v69, 0xffff, v69
	v_lshlrev_b32_e32 v56, 16, v56
	v_or_b32_e32 v73, v73, v65
	v_or_b32_e32 v74, v74, v66
	;; [unrolled: 1-line block ×3, first 2 shown]
	v_and_b32_e32 v67, 0xffff, v70
	v_or_b32_e32 v52, v68, v52
	v_and_b32_e32 v68, 0xffff, v72
	v_lshlrev_b32_e32 v50, 16, v50
	v_lshlrev_b32_e32 v58, 16, v58
	;; [unrolled: 1-line block ×3, first 2 shown]
	v_and_b32_e32 v70, 0xffff, v71
	v_or_b32_e32 v54, v69, v54
	v_and_b32_e32 v69, 0xffff, v73
	v_and_b32_e32 v71, 0xffff, v74
	v_or_b32_e32 v48, v67, v48
	v_or_b32_e32 v56, v68, v56
	;; [unrolled: 1-line block ×5, first 2 shown]
	v_lshlrev_b16 v33, 8, v33
	v_lshlrev_b16 v36, 8, v36
	;; [unrolled: 1-line block ×16, first 2 shown]
	v_add_co_u32 v0, vcc_lo, 0x480, v0
	s_wait_alu 0xfffd
	v_add_co_ci_u32_e64 v1, null, 0, v1, vcc_lo
	s_wait_loadcnt 0x6
	v_xor_b32_e32 v17, v17, v48
	s_wait_loadcnt 0x5
	v_xor_b32_e32 v19, v19, v52
	v_xor_b32_e32 v20, v20, v54
	s_wait_loadcnt 0x4
	v_xor_b32_e32 v21, v21, v56
	v_xor_b32_e32 v18, v18, v50
	;; [unrolled: 1-line block ×3, first 2 shown]
	s_wait_loadcnt 0x3
	v_xor_b32_e32 v23, v23, v60
	v_xor_b32_e32 v24, v24, v61
	v_lshrrev_b32_e32 v48, 16, v17
	v_and_b32_e32 v50, 0xffffff00, v17
	v_lshlrev_b16 v17, 8, v17
	v_lshrrev_b32_e32 v56, 16, v19
	v_and_b32_e32 v58, 0xffffff00, v19
	v_lshlrev_b16 v19, 8, v19
	v_lshrrev_b32_e32 v60, 16, v20
	v_and_b32_e32 v61, 0xffffff00, v20
	v_lshlrev_b16 v20, 8, v20
	v_lshrrev_b32_e32 v67, 16, v21
	v_and_b32_e32 v68, 0xffffff00, v21
	v_lshlrev_b16 v21, 8, v21
	v_lshrrev_b32_e32 v52, 16, v18
	v_and_b32_e32 v54, 0xffffff00, v18
	v_lshlrev_b16 v18, 8, v18
	v_lshrrev_b32_e32 v69, 16, v22
	v_and_b32_e32 v70, 0xffffff00, v22
	v_lshlrev_b16 v22, 8, v22
	v_sub_nc_i16 v17, v17, v47 clamp
	v_and_b32_e32 v47, 0xffffff00, v48
	v_lshlrev_b16 v48, 8, v48
	v_sub_nc_i16 v51, v58, v51 clamp
	v_sub_nc_i16 v19, v19, v33 clamp
	v_and_b32_e32 v33, 0xffffff00, v56
	v_lshlrev_b16 v56, 8, v56
	v_sub_nc_i16 v53, v61, v53 clamp
	;; [unrolled: 4-line block ×3, first 2 shown]
	v_and_b32_e32 v55, 0xffffff00, v67
	v_lshlrev_b16 v61, 8, v67
	v_lshrrev_b32_e32 v71, 16, v23
	v_and_b32_e32 v72, 0xffffff00, v23
	v_lshlrev_b16 v23, 8, v23
	v_sub_nc_i16 v50, v50, v62 clamp
	v_sub_nc_i16 v54, v54, v63 clamp
	v_sub_nc_i16 v18, v18, v49 clamp
	v_and_b32_e32 v49, 0xffffff00, v52
	v_lshlrev_b16 v52, 8, v52
	v_sub_nc_i16 v60, v68, v64 clamp
	v_sub_nc_i16 v22, v22, v57 clamp
	v_and_b32_e32 v57, 0xffffff00, v69
	v_lshlrev_b16 v63, 8, v69
	v_sub_nc_i16 v30, v47, v30 clamp
	v_sub_nc_i16 v31, v48, v31 clamp
	;; [unrolled: 1-line block ×8, first 2 shown]
	v_lshrrev_b32_e32 v73, 16, v24
	v_and_b32_e32 v74, 0xffffff00, v24
	v_lshlrev_b16 v24, 8, v24
	v_sub_nc_i16 v62, v70, v65 clamp
	v_sub_nc_i16 v23, v23, v59 clamp
	v_and_b32_e32 v59, 0xffffff00, v71
	v_lshlrev_b16 v65, 8, v71
	v_perm_b32 v17, v17, v50, 0xc0c0105
	v_sub_nc_i16 v29, v49, v29 clamp
	v_sub_nc_i16 v32, v52, v32 clamp
	v_perm_b32 v21, v21, v60, 0xc0c0105
	v_sub_nc_i16 v28, v57, v28 clamp
	v_sub_nc_i16 v39, v63, v41 clamp
	v_perm_b32 v30, v31, v30, 0xc0c0105
	v_perm_b32 v31, v34, v33, 0xc0c0105
	;; [unrolled: 1-line block ×3, first 2 shown]
	v_sub_nc_i16 v64, v72, v66 clamp
	v_sub_nc_i16 v24, v24, v45 clamp
	v_and_b32_e32 v45, 0xffffff00, v73
	v_lshlrev_b16 v66, 8, v73
	v_perm_b32 v18, v18, v54, 0xc0c0105
	v_perm_b32 v22, v22, v62, 0xc0c0105
	v_sub_nc_i16 v40, v59, v42 clamp
	v_sub_nc_i16 v41, v65, v43 clamp
	v_perm_b32 v29, v32, v29, 0xc0c0105
	v_perm_b32 v28, v39, v28, 0xc0c0105
	v_lshl_or_b32 v17, v30, 16, v17
	v_lshl_or_b32 v21, v33, 16, v21
	v_sub_nc_i16 v44, v74, v44 clamp
	v_perm_b32 v19, v19, v51, 0xc0c0105
	v_perm_b32 v23, v23, v64, 0xc0c0105
	v_sub_nc_i16 v42, v45, v46 clamp
	v_sub_nc_i16 v25, v66, v25 clamp
	v_perm_b32 v34, v41, v40, 0xc0c0105
	v_lshl_or_b32 v18, v29, 16, v18
	v_lshl_or_b32 v22, v28, 16, v22
	s_wait_loadcnt 0x2
	v_dot4_i32_iu8 v10, v17, v10, 0 neg_lo:[1,1,0]
	s_wait_loadcnt 0x1
	v_dot4_i32_iu8 v14, v21, v14, 0 neg_lo:[1,1,0]
	v_perm_b32 v20, v20, v53, 0xc0c0105
	v_perm_b32 v24, v24, v44, 0xc0c0105
	v_perm_b32 v32, v36, v35, 0xc0c0105
	v_perm_b32 v25, v25, v42, 0xc0c0105
	v_lshl_or_b32 v17, v31, 16, v19
	v_lshl_or_b32 v19, v34, 16, v23
	v_dot4_i32_iu8 v10, v18, v11, v10 neg_lo:[1,1,0]
	v_dot4_i32_iu8 v11, v22, v15, v14 neg_lo:[1,1,0]
	v_lshl_or_b32 v14, v32, 16, v20
	v_lshl_or_b32 v15, v25, 16, v24
	v_cvt_f32_f16_e32 v9, v9
	v_dot4_i32_iu8 v10, v17, v12, v10 neg_lo:[1,1,0]
	v_dot4_i32_iu8 v11, v19, v16, v11 neg_lo:[1,1,0]
	s_delay_alu instid0(VALU_DEP_2) | instskip(SKIP_1) | instid1(VALU_DEP_2)
	v_dot4_i32_iu8 v10, v14, v13, v10 neg_lo:[1,1,0]
	s_wait_loadcnt 0x0
	v_dot4_i32_iu8 v11, v15, v27, v11 neg_lo:[1,1,0]
	v_and_b32_e32 v13, 15, v8
	v_lshrrev_b32_e32 v8, 4, v8
	s_delay_alu instid0(VALU_DEP_3) | instskip(NEXT) | instid1(VALU_DEP_3)
	v_add_nc_u32_e32 v12, v11, v10
	v_mul_lo_u32 v10, v10, v13
	s_delay_alu instid0(VALU_DEP_3) | instskip(NEXT) | instid1(VALU_DEP_3)
	v_mul_lo_u32 v8, v11, v8
	v_lshrrev_b32_e32 v14, 31, v12
	s_delay_alu instid0(VALU_DEP_1) | instskip(NEXT) | instid1(VALU_DEP_1)
	v_add_nc_u32_e32 v12, v12, v14
	v_ashrrev_i32_e32 v11, 1, v12
	s_delay_alu instid0(VALU_DEP_1) | instskip(NEXT) | instid1(VALU_DEP_1)
	v_add3_u32 v8, v8, v10, v11
	v_ashrrev_i32_e32 v10, 31, v8
	s_delay_alu instid0(VALU_DEP_1) | instskip(NEXT) | instid1(VALU_DEP_1)
	v_lshrrev_b32_e32 v10, 30, v10
	v_add_nc_u32_e32 v8, v8, v10
	v_cvt_f32_f16_e32 v10, v26
	s_delay_alu instid0(VALU_DEP_2) | instskip(NEXT) | instid1(VALU_DEP_2)
	v_ashrrev_i32_e32 v8, 2, v8
	v_mul_f32_e32 v9, v10, v9
	s_delay_alu instid0(VALU_DEP_2) | instskip(NEXT) | instid1(VALU_DEP_1)
	v_cvt_f32_i32_e32 v8, v8
	v_fmac_f32_e32 v4, v9, v8
	s_wait_alu 0xfffe
	s_and_not1_b32 exec_lo, exec_lo, s3
	s_cbranch_execnz .LBB182_7
; %bb.8:
	s_or_b32 exec_lo, exec_lo, s3
.LBB182_9:
	s_delay_alu instid0(SALU_CYCLE_1)
	s_or_b32 exec_lo, exec_lo, s17
	; wave barrier
	global_inv scope:SCOPE_SE
	s_mov_b32 s2, exec_lo
	v_cmpx_eq_u32_e32 0, v3
	s_cbranch_execz .LBB182_12
; %bb.10:
	v_mbcnt_lo_u32_b32 v0, -1, 0
	s_delay_alu instid0(VALU_DEP_1) | instskip(SKIP_1) | instid1(VALU_DEP_2)
	v_xor_b32_e32 v1, 16, v0
	v_xor_b32_e32 v3, 8, v0
	v_cmp_gt_i32_e32 vcc_lo, 32, v1
	s_wait_alu 0xfffd
	v_cndmask_b32_e32 v1, v0, v1, vcc_lo
	s_delay_alu instid0(VALU_DEP_3) | instskip(NEXT) | instid1(VALU_DEP_2)
	v_cmp_gt_i32_e32 vcc_lo, 32, v3
	v_lshlrev_b32_e32 v1, 2, v1
	s_wait_alu 0xfffd
	v_cndmask_b32_e32 v3, v0, v3, vcc_lo
	ds_bpermute_b32 v1, v1, v4
	v_lshlrev_b32_e32 v3, 2, v3
	s_wait_dscnt 0x0
	v_add_f32_e32 v1, v4, v1
	v_xor_b32_e32 v4, 4, v0
	ds_bpermute_b32 v3, v3, v1
	v_cmp_gt_i32_e32 vcc_lo, 32, v4
	s_wait_alu 0xfffd
	v_cndmask_b32_e32 v4, v0, v4, vcc_lo
	s_wait_dscnt 0x0
	s_delay_alu instid0(VALU_DEP_1) | instskip(SKIP_2) | instid1(VALU_DEP_1)
	v_dual_add_f32 v1, v1, v3 :: v_dual_lshlrev_b32 v4, 2, v4
	ds_bpermute_b32 v3, v4, v1
	v_xor_b32_e32 v4, 2, v0
	v_cmp_gt_i32_e32 vcc_lo, 32, v4
	s_wait_alu 0xfffd
	v_cndmask_b32_e32 v4, v0, v4, vcc_lo
	s_wait_dscnt 0x0
	s_delay_alu instid0(VALU_DEP_1) | instskip(SKIP_2) | instid1(VALU_DEP_1)
	v_dual_add_f32 v1, v1, v3 :: v_dual_lshlrev_b32 v4, 2, v4
	ds_bpermute_b32 v3, v4, v1
	v_xor_b32_e32 v4, 1, v0
	v_cmp_gt_i32_e32 vcc_lo, 32, v4
	s_wait_alu 0xfffd
	v_cndmask_b32_e32 v0, v0, v4, vcc_lo
	v_cmp_eq_u32_e32 vcc_lo, 0, v2
	s_delay_alu instid0(VALU_DEP_2)
	v_lshlrev_b32_e32 v4, 2, v0
	s_wait_dscnt 0x0
	v_add_f32_e32 v0, v1, v3
	ds_bpermute_b32 v1, v4, v0
	s_and_b32 exec_lo, exec_lo, vcc_lo
	s_cbranch_execz .LBB182_12
; %bb.11:
	s_load_b64 s[0:1], s[0:1], 0x38
	s_wait_kmcnt 0x0
	s_mul_i32 s2, s6, s15
	s_mul_i32 s3, s14, s16
	s_wait_alu 0xfffe
	s_add_co_i32 s2, s2, ttmp9
	s_wait_dscnt 0x0
	v_dual_add_f32 v0, v0, v1 :: v_dual_mov_b32 v1, 0
	s_wait_alu 0xfffe
	s_add_co_i32 s2, s2, s3
	s_mov_b32 s3, 0
	s_wait_alu 0xfffe
	s_lshl_b64 s[2:3], s[2:3], 2
	s_wait_alu 0xfffe
	s_add_nc_u64 s[0:1], s[0:1], s[2:3]
	global_store_b32 v1, v0, s[0:1]
.LBB182_12:
	s_endpgm
.LBB182_13:
                                        ; implicit-def: $sgpr19
	s_clause 0x1
	s_load_b128 s[4:7], s[0:1], 0x68
	s_load_b32 s20, s[0:1], 0x50
	s_branch .LBB182_2
	.section	.rodata,"a",@progbits
	.p2align	6, 0x0
	.amdhsa_kernel _ZL13mul_mat_vec_qIL9ggml_type22ELi1ELb0ELb1EEvPKvS2_PKi31ggml_cuda_mm_fusion_args_devicePfj15HIP_vector_typeIjLj3EEjjjS8_jjjS8_jjjj
		.amdhsa_group_segment_fixed_size 0
		.amdhsa_private_segment_fixed_size 0
		.amdhsa_kernarg_size 144
		.amdhsa_user_sgpr_count 2
		.amdhsa_user_sgpr_dispatch_ptr 0
		.amdhsa_user_sgpr_queue_ptr 0
		.amdhsa_user_sgpr_kernarg_segment_ptr 1
		.amdhsa_user_sgpr_dispatch_id 0
		.amdhsa_user_sgpr_private_segment_size 0
		.amdhsa_wavefront_size32 1
		.amdhsa_uses_dynamic_stack 0
		.amdhsa_enable_private_segment 0
		.amdhsa_system_sgpr_workgroup_id_x 1
		.amdhsa_system_sgpr_workgroup_id_y 1
		.amdhsa_system_sgpr_workgroup_id_z 1
		.amdhsa_system_sgpr_workgroup_info 0
		.amdhsa_system_vgpr_workitem_id 1
		.amdhsa_next_free_vgpr 75
		.amdhsa_next_free_sgpr 22
		.amdhsa_reserve_vcc 1
		.amdhsa_float_round_mode_32 0
		.amdhsa_float_round_mode_16_64 0
		.amdhsa_float_denorm_mode_32 3
		.amdhsa_float_denorm_mode_16_64 3
		.amdhsa_fp16_overflow 0
		.amdhsa_workgroup_processor_mode 1
		.amdhsa_memory_ordered 1
		.amdhsa_forward_progress 1
		.amdhsa_inst_pref_size 28
		.amdhsa_round_robin_scheduling 0
		.amdhsa_exception_fp_ieee_invalid_op 0
		.amdhsa_exception_fp_denorm_src 0
		.amdhsa_exception_fp_ieee_div_zero 0
		.amdhsa_exception_fp_ieee_overflow 0
		.amdhsa_exception_fp_ieee_underflow 0
		.amdhsa_exception_fp_ieee_inexact 0
		.amdhsa_exception_int_div_zero 0
	.end_amdhsa_kernel
	.section	.text._ZL13mul_mat_vec_qIL9ggml_type22ELi1ELb0ELb1EEvPKvS2_PKi31ggml_cuda_mm_fusion_args_devicePfj15HIP_vector_typeIjLj3EEjjjS8_jjjS8_jjjj,"axG",@progbits,_ZL13mul_mat_vec_qIL9ggml_type22ELi1ELb0ELb1EEvPKvS2_PKi31ggml_cuda_mm_fusion_args_devicePfj15HIP_vector_typeIjLj3EEjjjS8_jjjS8_jjjj,comdat
.Lfunc_end182:
	.size	_ZL13mul_mat_vec_qIL9ggml_type22ELi1ELb0ELb1EEvPKvS2_PKi31ggml_cuda_mm_fusion_args_devicePfj15HIP_vector_typeIjLj3EEjjjS8_jjjS8_jjjj, .Lfunc_end182-_ZL13mul_mat_vec_qIL9ggml_type22ELi1ELb0ELb1EEvPKvS2_PKi31ggml_cuda_mm_fusion_args_devicePfj15HIP_vector_typeIjLj3EEjjjS8_jjjS8_jjjj
                                        ; -- End function
	.set _ZL13mul_mat_vec_qIL9ggml_type22ELi1ELb0ELb1EEvPKvS2_PKi31ggml_cuda_mm_fusion_args_devicePfj15HIP_vector_typeIjLj3EEjjjS8_jjjS8_jjjj.num_vgpr, 75
	.set _ZL13mul_mat_vec_qIL9ggml_type22ELi1ELb0ELb1EEvPKvS2_PKi31ggml_cuda_mm_fusion_args_devicePfj15HIP_vector_typeIjLj3EEjjjS8_jjjS8_jjjj.num_agpr, 0
	.set _ZL13mul_mat_vec_qIL9ggml_type22ELi1ELb0ELb1EEvPKvS2_PKi31ggml_cuda_mm_fusion_args_devicePfj15HIP_vector_typeIjLj3EEjjjS8_jjjS8_jjjj.numbered_sgpr, 22
	.set _ZL13mul_mat_vec_qIL9ggml_type22ELi1ELb0ELb1EEvPKvS2_PKi31ggml_cuda_mm_fusion_args_devicePfj15HIP_vector_typeIjLj3EEjjjS8_jjjS8_jjjj.num_named_barrier, 0
	.set _ZL13mul_mat_vec_qIL9ggml_type22ELi1ELb0ELb1EEvPKvS2_PKi31ggml_cuda_mm_fusion_args_devicePfj15HIP_vector_typeIjLj3EEjjjS8_jjjS8_jjjj.private_seg_size, 0
	.set _ZL13mul_mat_vec_qIL9ggml_type22ELi1ELb0ELb1EEvPKvS2_PKi31ggml_cuda_mm_fusion_args_devicePfj15HIP_vector_typeIjLj3EEjjjS8_jjjS8_jjjj.uses_vcc, 1
	.set _ZL13mul_mat_vec_qIL9ggml_type22ELi1ELb0ELb1EEvPKvS2_PKi31ggml_cuda_mm_fusion_args_devicePfj15HIP_vector_typeIjLj3EEjjjS8_jjjS8_jjjj.uses_flat_scratch, 0
	.set _ZL13mul_mat_vec_qIL9ggml_type22ELi1ELb0ELb1EEvPKvS2_PKi31ggml_cuda_mm_fusion_args_devicePfj15HIP_vector_typeIjLj3EEjjjS8_jjjS8_jjjj.has_dyn_sized_stack, 0
	.set _ZL13mul_mat_vec_qIL9ggml_type22ELi1ELb0ELb1EEvPKvS2_PKi31ggml_cuda_mm_fusion_args_devicePfj15HIP_vector_typeIjLj3EEjjjS8_jjjS8_jjjj.has_recursion, 0
	.set _ZL13mul_mat_vec_qIL9ggml_type22ELi1ELb0ELb1EEvPKvS2_PKi31ggml_cuda_mm_fusion_args_devicePfj15HIP_vector_typeIjLj3EEjjjS8_jjjS8_jjjj.has_indirect_call, 0
	.section	.AMDGPU.csdata,"",@progbits
; Kernel info:
; codeLenInByte = 3508
; TotalNumSgprs: 24
; NumVgprs: 75
; ScratchSize: 0
; MemoryBound: 0
; FloatMode: 240
; IeeeMode: 1
; LDSByteSize: 0 bytes/workgroup (compile time only)
; SGPRBlocks: 0
; VGPRBlocks: 9
; NumSGPRsForWavesPerEU: 24
; NumVGPRsForWavesPerEU: 75
; Occupancy: 16
; WaveLimiterHint : 0
; COMPUTE_PGM_RSRC2:SCRATCH_EN: 0
; COMPUTE_PGM_RSRC2:USER_SGPR: 2
; COMPUTE_PGM_RSRC2:TRAP_HANDLER: 0
; COMPUTE_PGM_RSRC2:TGID_X_EN: 1
; COMPUTE_PGM_RSRC2:TGID_Y_EN: 1
; COMPUTE_PGM_RSRC2:TGID_Z_EN: 1
; COMPUTE_PGM_RSRC2:TIDIG_COMP_CNT: 1
	.section	.text._ZL13mul_mat_vec_qIL9ggml_type22ELi1ELb1ELb0EEvPKvS2_PKi31ggml_cuda_mm_fusion_args_devicePfj15HIP_vector_typeIjLj3EEjjjS8_jjjS8_jjjj,"axG",@progbits,_ZL13mul_mat_vec_qIL9ggml_type22ELi1ELb1ELb0EEvPKvS2_PKi31ggml_cuda_mm_fusion_args_devicePfj15HIP_vector_typeIjLj3EEjjjS8_jjjS8_jjjj,comdat
	.globl	_ZL13mul_mat_vec_qIL9ggml_type22ELi1ELb1ELb0EEvPKvS2_PKi31ggml_cuda_mm_fusion_args_devicePfj15HIP_vector_typeIjLj3EEjjjS8_jjjS8_jjjj ; -- Begin function _ZL13mul_mat_vec_qIL9ggml_type22ELi1ELb1ELb0EEvPKvS2_PKi31ggml_cuda_mm_fusion_args_devicePfj15HIP_vector_typeIjLj3EEjjjS8_jjjS8_jjjj
	.p2align	8
	.type	_ZL13mul_mat_vec_qIL9ggml_type22ELi1ELb1ELb0EEvPKvS2_PKi31ggml_cuda_mm_fusion_args_devicePfj15HIP_vector_typeIjLj3EEjjjS8_jjjS8_jjjj,@function
_ZL13mul_mat_vec_qIL9ggml_type22ELi1ELb1ELb0EEvPKvS2_PKi31ggml_cuda_mm_fusion_args_devicePfj15HIP_vector_typeIjLj3EEjjjS8_jjjS8_jjjj: ; @_ZL13mul_mat_vec_qIL9ggml_type22ELi1ELb1ELb0EEvPKvS2_PKi31ggml_cuda_mm_fusion_args_devicePfj15HIP_vector_typeIjLj3EEjjjS8_jjjS8_jjjj
; %bb.0:
	s_clause 0x3
	s_load_b256 s[8:15], s[0:1], 0x0
	s_load_b128 s[16:19], s[0:1], 0x20
	s_load_b128 s[20:23], s[0:1], 0x40
	;; [unrolled: 1-line block ×3, first 2 shown]
	s_and_b32 s27, ttmp7, 0xffff
	s_wait_kmcnt 0x0
	s_cmp_lg_u64 s[12:13], 0
	s_cselect_b32 s2, -1, 0
	s_cmp_eq_u64 s[12:13], 0
	s_cbranch_scc1 .LBB183_24
; %bb.1:
	s_lshl_b32 s3, s27, 2
	s_load_b32 s28, s[12:13], s3 offset:0x0
	s_clause 0x1
	s_load_b32 s30, s[0:1], 0x50
	s_load_b32 s29, s[0:1], 0x78
	s_cbranch_execnz .LBB183_3
.LBB183_2:
	s_load_b64 s[12:13], s[0:1], 0x5c
	s_wait_kmcnt 0x0
	s_mul_hi_u32 s3, s12, s27
	s_delay_alu instid0(SALU_CYCLE_1) | instskip(NEXT) | instid1(SALU_CYCLE_1)
	s_add_co_i32 s3, s27, s3
	s_lshr_b32 s28, s3, s13
.LBB183_3:
	s_and_not1_b32 vcc_lo, exec_lo, s2
	s_mov_b32 s3, s27
	s_mov_b32 s31, s27
	s_cbranch_vccnz .LBB183_5
; %bb.4:
	s_mul_hi_u32 s2, s21, s27
	s_wait_kmcnt 0x0
	s_mov_b32 s3, s28
	s_add_co_i32 s2, s27, s2
	s_delay_alu instid0(SALU_CYCLE_1) | instskip(NEXT) | instid1(SALU_CYCLE_1)
	s_lshr_b32 s2, s2, s22
	s_mul_i32 s2, s2, s23
	s_delay_alu instid0(SALU_CYCLE_1)
	s_sub_co_i32 s31, s27, s2
.LBB183_5:
	s_load_b96 s[24:26], s[0:1], 0x80
	v_bfe_u32 v21, v0, 10, 10
	v_dual_mov_b32 v19, 0 :: v_dual_and_b32 v18, 0x3ff, v0
	s_lshr_b32 s21, ttmp7, 16
	s_cmp_lg_u64 s[14:15], 0
	v_mov_b32_e32 v20, 0
	s_delay_alu instid0(VALU_DEP_2) | instskip(SKIP_3) | instid1(VALU_DEP_1)
	v_or_b32_e32 v0, v18, v21
	s_cselect_b32 s2, -1, 0
	s_mov_b32 s23, 0
	s_mul_i32 s12, s3, s6
	v_cmp_eq_u32_e32 vcc_lo, 0, v0
	s_and_b32 s13, s2, vcc_lo
	s_delay_alu instid0(SALU_CYCLE_1)
	s_and_saveexec_b32 s3, s13
	s_cbranch_execz .LBB183_7
; %bb.6:
	s_wait_kmcnt 0x0
	s_mul_i32 s22, s26, s21
	s_mov_b32 s13, s23
	s_lshl_b64 s[22:23], s[22:23], 2
	s_mov_b32 s34, ttmp9
	s_lshl_b64 s[36:37], s[12:13], 2
	s_add_nc_u64 s[14:15], s[14:15], s[22:23]
	s_ashr_i32 s35, ttmp9, 31
	v_lshlrev_b32_e32 v0, 2, v18
	s_add_nc_u64 s[14:15], s[14:15], s[36:37]
	s_lshl_b64 s[22:23], s[34:35], 2
	s_delay_alu instid0(SALU_CYCLE_1)
	s_add_nc_u64 s[14:15], s[14:15], s[22:23]
	global_load_b32 v20, v0, s[14:15]
.LBB183_7:
	s_or_b32 exec_lo, exec_lo, s3
	s_cmp_lg_u64 s[16:17], 0
	s_cselect_b32 s14, -1, 0
	s_cmp_lg_u64 s[18:19], 0
	s_cselect_b32 s3, -1, 0
	s_delay_alu instid0(SALU_CYCLE_1) | instskip(NEXT) | instid1(SALU_CYCLE_1)
	s_and_b32 s13, s3, s14
	s_and_b32 s13, s13, vcc_lo
	s_delay_alu instid0(SALU_CYCLE_1)
	s_and_saveexec_b32 s15, s13
	s_cbranch_execz .LBB183_9
; %bb.8:
	s_wait_kmcnt 0x0
	s_mul_i32 s34, s26, s21
	s_mov_b32 s35, 0
	s_mov_b32 s22, ttmp9
	s_lshl_b64 s[36:37], s[34:35], 2
	s_mov_b32 s13, s35
	s_add_nc_u64 s[18:19], s[18:19], s[36:37]
	s_lshl_b64 s[12:13], s[12:13], 2
	s_ashr_i32 s23, ttmp9, 31
	v_lshlrev_b32_e32 v0, 2, v18
	s_add_nc_u64 s[12:13], s[18:19], s[12:13]
	s_lshl_b64 s[18:19], s[22:23], 2
	s_delay_alu instid0(SALU_CYCLE_1)
	s_add_nc_u64 s[12:13], s[12:13], s[18:19]
	global_load_b32 v19, v0, s[12:13]
.LBB183_9:
	s_or_b32 exec_lo, exec_lo, s15
	v_lshl_add_u32 v0, v21, 5, v18
	v_dual_mov_b32 v24, 0 :: v_dual_mov_b32 v23, 0
	v_cndmask_b32_e64 v22, 0, 1, s14
	s_lshr_b32 s15, s20, 8
	s_delay_alu instid0(VALU_DEP_3) | instskip(SKIP_2) | instid1(VALU_DEP_1)
	v_lshrrev_b32_e32 v25, 3, v0
	s_mov_b32 s18, exec_lo
	s_wait_alu 0xfffe
	v_cmpx_gt_u32_e64 s15, v25
	s_cbranch_execz .LBB183_15
; %bb.10:
	v_lshrrev_b32_e32 v0, 3, v0
	s_mul_i32 s12, s31, s5
	s_mov_b32 s13, 0
	s_wait_kmcnt 0x0
	s_mul_i32 s5, s25, s21
	s_mul_u64 s[22:23], s[12:13], 36
	v_dual_mov_b32 v23, 0 :: v_dual_and_b32 v26, 7, v18
	v_mad_co_u64_u32 v[0:1], null, 0x120, v0, s[22:23]
	s_mul_i32 s30, s30, ttmp9
	v_lshlrev_b32_e32 v2, 1, v26
	s_delay_alu instid0(VALU_DEP_1)
	v_dual_mov_b32 v24, 0 :: v_dual_lshlrev_b32 v27, 1, v2
	v_mad_co_u64_u32 v[0:1], null, s5, 36, v[0:1]
	s_mul_hi_u32 s5, s7, s21
	s_mul_i32 s7, s28, s4
	s_wait_alu 0xfffe
	s_add_co_i32 s4, s21, s5
	s_wait_alu 0xfffe
	s_lshr_b32 s4, s4, s29
	v_mad_co_u64_u32 v[0:1], null, v26, 36, v[0:1]
	s_wait_alu 0xfffe
	s_mul_i32 s4, s4, s24
	s_wait_alu 0xfffe
	s_add_co_i32 s4, s4, s30
	s_wait_alu 0xfffe
	s_add_co_i32 s7, s7, s4
	s_delay_alu instid0(VALU_DEP_1) | instskip(NEXT) | instid1(VALU_DEP_1)
	v_add_co_u32 v0, vcc_lo, s10, v0
	v_add_co_ci_u32_e64 v1, null, s11, v1, vcc_lo
	s_delay_alu instid0(VALU_DEP_2) | instskip(SKIP_1) | instid1(VALU_DEP_2)
	v_add_co_u32 v8, vcc_lo, v0, 32
	s_wait_alu 0xfffd
	v_add_co_ci_u32_e64 v9, null, 0, v1, vcc_lo
	s_branch .LBB183_12
.LBB183_11:                             ;   in Loop: Header=BB183_12 Depth=1
	v_and_b32_e32 v32, 0xff, v31
	v_lshlrev_b32_e32 v33, 21, v31
	v_lshlrev_b32_e32 v35, 17, v31
	v_lshrrev_b32_e32 v34, 2, v31
	v_lshrrev_b32_e32 v36, 6, v31
	;; [unrolled: 1-line block ×3, first 2 shown]
	v_lshl_or_b32 v33, v32, 7, v33
	v_lshl_or_b32 v32, v32, 3, v35
	v_bfe_i32 v34, v34, 0, 1
	v_bfe_i32 v36, v36, 0, 1
	;; [unrolled: 1-line block ×3, first 2 shown]
	v_and_b32_e32 v35, 0x1800180, v33
	v_bfe_u32 v33, v33, 24, 1
	v_and_b32_e32 v38, 0x1800180, v32
	v_bfe_u32 v32, v32, 24, 1
	v_and_b32_e32 v37, 0xff, v34
	v_lshrrev_b16 v39, 7, v35
	v_lshrrev_b16 v35, 8, v35
	v_cmp_ne_u16_e32 vcc_lo, 0, v33
	v_lshrrev_b16 v40, 8, v38
	v_lshrrev_b16 v38, 7, v38
	v_bfe_i32 v39, v39, 0, 1
	v_and_b32_e32 v43, 0xff, v36
	s_wait_alu 0xfffd
	v_cndmask_b32_e64 v33, 0, -1, vcc_lo
	v_cmp_ne_u16_e32 vcc_lo, 0, v35
	v_bfe_i32 v38, v38, 0, 1
	v_and_b32_e32 v41, 0xff, v39
	v_lshlrev_b16 v34, 8, v34
	v_lshlrev_b16 v33, 8, v33
	s_wait_alu 0xfffd
	v_cndmask_b32_e64 v35, 0, -1, vcc_lo
	v_cmp_ne_u16_e32 vcc_lo, 0, v32
	v_and_b32_e32 v42, 0xff, v38
	v_lshlrev_b16 v39, 8, v39
	v_or_b32_e32 v37, v37, v33
	v_lshlrev_b16 v35, 8, v35
	s_wait_alu 0xfffd
	v_cndmask_b32_e64 v32, 0, -1, vcc_lo
	v_cmp_ne_u16_e32 vcc_lo, 0, v40
	v_lshlrev_b16 v36, 8, v36
	v_lshlrev_b32_e32 v37, 16, v37
	v_or_b32_e32 v41, v41, v35
	v_lshlrev_b16 v32, 8, v32
	s_wait_alu 0xfffd
	v_cndmask_b32_e64 v40, 0, -1, vcc_lo
	v_and_b32_e32 v48, 0xff, v46
	v_lshrrev_b32_e32 v44, 16, v31
	v_and_b32_e32 v41, 0xffff, v41
	v_add_nc_u32_e32 v25, 4, v25
	v_lshlrev_b16 v40, 8, v40
	v_add_co_u32 v8, s4, 0x480, v8
	s_delay_alu instid0(VALU_DEP_4) | instskip(SKIP_1) | instid1(VALU_DEP_4)
	v_or_b32_e32 v37, v41, v37
	v_or_b32_e32 v41, v43, v32
	;; [unrolled: 1-line block ×3, first 2 shown]
	v_lshrrev_b32_e32 v43, 1, v31
	s_wait_alu 0xf1ff
	v_add_co_ci_u32_e64 v9, null, 0, v9, s4
	s_wait_loadcnt 0x3
	v_xor_b32_e32 v16, v16, v37
	v_lshlrev_b32_e32 v37, 16, v41
	v_and_b32_e32 v41, 0xffff, v42
	v_and_b32_e32 v42, 0x180, v43
	s_delay_alu instid0(VALU_DEP_4) | instskip(NEXT) | instid1(VALU_DEP_3)
	v_lshrrev_b32_e32 v43, 16, v16
	v_or_b32_e32 v37, v41, v37
	v_and_b32_e32 v41, 0xffffff00, v16
	v_lshlrev_b16 v16, 8, v16
	s_delay_alu instid0(VALU_DEP_4)
	v_and_b32_e32 v45, 0xffffff00, v43
	v_lshlrev_b16 v43, 8, v43
	v_xor_b32_e32 v17, v17, v37
	v_sub_nc_i16 v35, v41, v35 clamp
	v_sub_nc_i16 v16, v16, v39 clamp
	;; [unrolled: 1-line block ×4, first 2 shown]
	v_lshrrev_b32_e32 v37, 16, v17
	v_lshrrev_b16 v41, 8, v42
	v_and_b32_e32 v39, 0xffffff00, v17
	v_lshlrev_b16 v17, 8, v17
	v_perm_b32 v16, v16, v35, 0xc0c0105
	v_perm_b32 v33, v34, v33, 0xc0c0105
	v_lshlrev_b16 v34, 8, v38
	v_and_b32_e32 v35, 0xffffff00, v37
	v_lshrrev_b16 v38, 7, v42
	v_cmp_ne_u16_e32 vcc_lo, 0, v41
	v_sub_nc_i16 v39, v39, v40 clamp
	v_sub_nc_i16 v17, v17, v34 clamp
	;; [unrolled: 1-line block ×3, first 2 shown]
	v_bfe_i32 v34, v38, 0, 1
	s_wait_alu 0xfffd
	v_cndmask_b32_e64 v35, 0, -1, vcc_lo
	v_lshrrev_b32_e32 v38, 11, v31
	v_lshrrev_b32_e32 v40, 10, v31
	;; [unrolled: 1-line block ×3, first 2 shown]
	v_and_b32_e32 v41, 0xff, v34
	v_lshlrev_b16 v35, 8, v35
	v_bfe_i32 v38, v38, 0, 1
	v_bfe_i32 v40, v40, 0, 1
	v_lshlrev_b16 v37, 8, v37
	v_and_b32_e32 v42, 0x180, v42
	v_or_b32_e32 v41, v41, v35
	v_lshlrev_b16 v38, 8, v38
	v_and_b32_e32 v43, 0xff, v40
	v_lshrrev_b32_e32 v45, 15, v31
	v_sub_nc_i16 v36, v37, v36 clamp
	v_and_b32_e32 v37, 0xffff, v41
	v_lshrrev_b16 v41, 7, v42
	v_lshrrev_b16 v42, 8, v42
	v_or_b32_e32 v43, v43, v38
	v_bfe_i32 v45, v45, 0, 1
	v_perm_b32 v17, v17, v39, 0xc0c0105
	v_bfe_i32 v41, v41, 0, 1
	v_cmp_ne_u16_e32 vcc_lo, 0, v42
	v_lshlrev_b32_e32 v43, 16, v43
	v_lshlrev_b16 v45, 8, v45
	v_lshl_or_b32 v16, v33, 16, v16
	v_and_b32_e32 v47, 0xff, v41
	s_wait_alu 0xfffd
	v_cndmask_b32_e64 v42, 0, -1, vcc_lo
	v_or_b32_e32 v37, v37, v43
	v_or_b32_e32 v39, v48, v45
	v_perm_b32 v32, v36, v32, 0xc0c0105
	v_lshlrev_b16 v34, 8, v34
	v_lshlrev_b16 v42, 8, v42
	s_wait_loadcnt 0x2
	v_xor_b32_e32 v14, v14, v37
	v_lshlrev_b32_e32 v33, 16, v39
	v_lshrrev_b32_e32 v39, 9, v31
	v_lshl_or_b32 v17, v32, 16, v17
	v_or_b32_e32 v36, v47, v42
	v_and_b32_e32 v37, 0xffffff00, v14
	v_lshlrev_b16 v40, 8, v40
	v_lshl_or_b32 v39, v44, 21, v39
	v_dot4_i32_iu8 v5, v16, v5, 0 neg_lo:[1,1,0]
	v_and_b32_e32 v32, 0xffff, v36
	v_lshrrev_b32_e32 v36, 16, v14
	v_sub_nc_i16 v35, v37, v35 clamp
	v_and_b32_e32 v37, 0x1800180, v39
	v_lshlrev_b16 v14, 8, v14
	v_or_b32_e32 v16, v32, v33
	v_and_b32_e32 v43, 0xffffff00, v36
	v_lshlrev_b16 v36, 8, v36
	v_lshrrev_b16 v33, 7, v37
	v_sub_nc_i16 v14, v14, v34 clamp
	v_dot4_i32_iu8 v5, v17, v6, v5 neg_lo:[1,1,0]
	v_sub_nc_i16 v34, v43, v38 clamp
	v_sub_nc_i16 v36, v36, v40 clamp
	v_xor_b32_e32 v6, v15, v16
	v_bfe_i32 v15, v33, 0, 1
	v_lshrrev_b32_e32 v33, 13, v31
	v_perm_b32 v14, v14, v35, 0xc0c0105
	v_perm_b32 v32, v36, v34, 0xc0c0105
	v_lshrrev_b16 v34, 8, v37
	v_bfe_u32 v35, v39, 24, 1
	v_lshl_or_b32 v33, v44, 17, v33
	v_lshrrev_b32_e32 v36, 18, v31
	v_lshlrev_b16 v38, 8, v41
	v_cmp_ne_u16_e32 vcc_lo, 0, v34
	v_and_b32_e32 v34, 0xff, v15
	v_and_b32_e32 v37, 0x1800180, v33
	v_bfe_i32 v36, v36, 0, 1
	v_bfe_u32 v33, v33, 24, 1
	s_wait_alu 0xfffd
	v_cndmask_b32_e64 v16, 0, -1, vcc_lo
	v_cmp_ne_u16_e32 vcc_lo, 0, v35
	v_lshrrev_b16 v39, 7, v37
	v_lshrrev_b16 v37, 8, v37
	v_and_b32_e32 v40, 0xff, v36
	v_lshlrev_b16 v16, 8, v16
	s_wait_alu 0xfffd
	v_cndmask_b32_e64 v35, 0, -1, vcc_lo
	v_lshrrev_b32_e32 v41, 22, v31
	v_cmp_ne_u16_e32 vcc_lo, 0, v37
	v_bfe_i32 v39, v39, 0, 1
	v_or_b32_e32 v34, v34, v16
	v_lshlrev_b16 v35, 8, v35
	v_bfe_i32 v41, v41, 0, 1
	s_wait_alu 0xfffd
	v_cndmask_b32_e64 v37, 0, -1, vcc_lo
	v_cmp_ne_u16_e32 vcc_lo, 0, v33
	v_lshl_or_b32 v14, v32, 16, v14
	v_or_b32_e32 v40, v40, v35
	v_lshrrev_b32_e32 v17, 16, v6
	v_and_b32_e32 v32, 0xffffff00, v6
	s_wait_alu 0xfffd
	v_cndmask_b32_e64 v33, 0, -1, vcc_lo
	v_lshlrev_b16 v6, 8, v6
	v_and_b32_e32 v34, 0xffff, v34
	v_and_b32_e32 v43, 0xff, v39
	v_lshlrev_b16 v37, 8, v37
	v_lshlrev_b16 v33, 8, v33
	v_and_b32_e32 v44, 0xff, v41
	v_lshlrev_b32_e32 v40, 16, v40
	v_sub_nc_i16 v32, v32, v42 clamp
	v_sub_nc_i16 v6, v6, v38 clamp
	v_or_b32_e32 v38, v43, v37
	v_or_b32_e32 v42, v44, v33
	;; [unrolled: 1-line block ×3, first 2 shown]
	v_and_b32_e32 v40, 0xffffff00, v17
	v_perm_b32 v6, v6, v32, 0xc0c0105
	v_and_b32_e32 v32, 0xffff, v38
	v_lshlrev_b32_e32 v38, 16, v42
	s_wait_loadcnt 0x1
	v_xor_b32_e32 v12, v12, v34
	v_lshrrev_b32_e32 v43, 17, v31
	v_lshrrev_b32_e32 v44, 3, v31
	v_sub_nc_i16 v34, v40, v45 clamp
	v_or_b32_e32 v32, v32, v38
	v_lshrrev_b32_e32 v38, 16, v12
	v_and_b32_e32 v42, 0xffffff00, v12
	v_lshlrev_b16 v12, 8, v12
	v_lshlrev_b16 v15, 8, v15
	v_lshlrev_b16 v36, 8, v36
	v_and_b32_e32 v45, 0xffffff00, v38
	v_lshlrev_b16 v38, 8, v38
	v_and_or_b32 v43, 0x1fe00000, v44, v43
	v_sub_nc_i16 v12, v12, v15 clamp
	v_sub_nc_i16 v16, v42, v16 clamp
	;; [unrolled: 1-line block ×4, first 2 shown]
	v_and_b32_e32 v36, 0x1800180, v43
	v_xor_b32_e32 v13, v13, v32
	v_perm_b32 v12, v12, v16, 0xc0c0105
	v_lshlrev_b16 v38, 8, v39
	v_perm_b32 v15, v35, v15, 0xc0c0105
	v_lshrrev_b16 v32, 8, v36
	v_lshrrev_b16 v16, 7, v36
	v_and_b32_e32 v35, 0xffffff00, v13
	v_lshlrev_b16 v36, 8, v13
	v_lshl_or_b32 v12, v15, 16, v12
	v_cmp_ne_u16_e32 vcc_lo, 0, v32
	v_bfe_i32 v16, v16, 0, 1
	v_sub_nc_i16 v15, v35, v37 clamp
	v_bfe_u32 v37, v43, 24, 1
	v_sub_nc_i16 v35, v36, v38 clamp
	s_wait_alu 0xfffd
	v_cndmask_b32_e64 v32, 0, -1, vcc_lo
	v_and_b32_e32 v36, 0xff, v16
	v_lshrrev_b32_e32 v38, 26, v31
	v_cmp_ne_u16_e32 vcc_lo, 0, v37
	v_lshlrev_b16 v17, 8, v17
	v_lshlrev_b16 v32, 8, v32
	;; [unrolled: 1-line block ×3, first 2 shown]
	v_perm_b32 v15, v35, v15, 0xc0c0105
	v_bfe_i32 v37, v38, 0, 1
	v_lshrrev_b32_e32 v38, 21, v31
	v_or_b32_e32 v35, v36, v32
	s_wait_alu 0xfffd
	v_cndmask_b32_e64 v36, 0, -1, vcc_lo
	v_lshrrev_b32_e32 v43, 30, v31
	v_lshrrev_b32_e32 v31, 31, v31
	v_sub_nc_i16 v17, v17, v40 clamp
	v_and_b32_e32 v40, 0xff, v37
	v_lshlrev_b16 v36, 8, v36
	v_lshrrev_b16 v42, 8, v38
	v_lshrrev_b16 v38, 7, v38
	v_cmp_ne_u16_e32 vcc_lo, 0, v31
	v_bfe_i32 v43, v43, 0, 1
	v_or_b32_e32 v40, v40, v36
	v_bfe_i32 v42, v42, 0, 1
	v_bfe_i32 v38, v38, 0, 1
	s_wait_alu 0xfffd
	v_cndmask_b32_e64 v31, 0, -1, vcc_lo
	v_lshrrev_b32_e32 v13, 16, v13
	v_and_b32_e32 v35, 0xffff, v35
	v_lshlrev_b32_e32 v40, 16, v40
	v_lshlrev_b16 v42, 8, v42
	v_and_b32_e32 v44, 0xff, v38
	v_and_b32_e32 v45, 0xff, v43
	v_lshlrev_b16 v31, 8, v31
	v_and_b32_e32 v39, 0xffffff00, v13
	v_or_b32_e32 v35, v35, v40
	v_lshlrev_b16 v13, 8, v13
	v_lshlrev_b16 v40, 8, v41
	v_or_b32_e32 v41, v44, v42
	v_or_b32_e32 v44, v45, v31
	s_wait_loadcnt 0x0
	v_xor_b32_e32 v10, v10, v35
	v_sub_nc_i16 v33, v39, v33 clamp
	v_sub_nc_i16 v13, v13, v40 clamp
	v_and_b32_e32 v35, 0xffff, v41
	v_lshlrev_b32_e32 v39, 16, v44
	v_and_b32_e32 v40, 0xffffff00, v10
	v_lshlrev_b16 v41, 8, v10
	v_lshlrev_b16 v16, 8, v16
	v_perm_b32 v13, v13, v33, 0xc0c0105
	v_or_b32_e32 v33, v35, v39
	v_lshrrev_b32_e32 v10, 16, v10
	v_sub_nc_i16 v32, v40, v32 clamp
	v_sub_nc_i16 v16, v41, v16 clamp
	v_dot4_i32_iu8 v1, v12, v1, 0 neg_lo:[1,1,0]
	v_xor_b32_e32 v11, v11, v33
	v_and_b32_e32 v35, 0xffffff00, v10
	v_lshlrev_b16 v10, 8, v10
	v_perm_b32 v12, v16, v32, 0xc0c0105
	v_lshlrev_b16 v32, 8, v37
	v_lshrrev_b32_e32 v16, 16, v11
	v_lshl_or_b32 v13, v13, 16, v15
	v_sub_nc_i16 v15, v35, v36 clamp
	v_and_b32_e32 v33, 0xffffff00, v11
	v_lshlrev_b16 v11, 8, v11
	v_lshlrev_b16 v35, 8, v38
	v_and_b32_e32 v36, 0xffffff00, v16
	v_lshlrev_b16 v16, 8, v16
	v_lshlrev_b16 v37, 8, v43
	v_sub_nc_i16 v10, v10, v32 clamp
	v_sub_nc_i16 v32, v33, v42 clamp
	;; [unrolled: 1-line block ×5, first 2 shown]
	v_perm_b32 v10, v10, v15, 0xc0c0105
	v_perm_b32 v15, v17, v34, 0xc0c0105
	v_dot4_i32_iu8 v1, v13, v2, v1 neg_lo:[1,1,0]
	v_perm_b32 v2, v11, v32, 0xc0c0105
	v_perm_b32 v11, v16, v31, 0xc0c0105
	v_lshl_or_b32 v10, v10, 16, v12
	v_lshl_or_b32 v6, v15, 16, v6
	v_dot4_i32_iu8 v5, v14, v7, v5 neg_lo:[1,1,0]
	v_cmp_le_u32_e32 vcc_lo, s15, v25
	v_lshl_or_b32 v2, v11, 16, v2
	v_dot4_i32_iu8 v1, v10, v3, v1 neg_lo:[1,1,0]
	s_delay_alu instid0(VALU_DEP_4) | instskip(SKIP_2) | instid1(VALU_DEP_4)
	v_dot4_i32_iu8 v0, v6, v0, v5 neg_lo:[1,1,0]
	v_and_b32_e32 v5, 15, v28
	v_bfe_u32 v6, v28, 4, 4
	v_dot4_i32_iu8 v1, v2, v30, v1 neg_lo:[1,1,0]
	s_or_b32 s13, vcc_lo, s13
	s_delay_alu instid0(VALU_DEP_1) | instskip(SKIP_2) | instid1(VALU_DEP_3)
	v_add_nc_u32_e32 v2, v1, v0
	v_mul_lo_u32 v0, v0, v5
	v_mul_lo_u32 v1, v1, v6
	v_lshrrev_b32_e32 v3, 31, v2
	s_delay_alu instid0(VALU_DEP_1) | instskip(NEXT) | instid1(VALU_DEP_1)
	v_add_nc_u32_e32 v2, v2, v3
	v_ashrrev_i32_e32 v2, 1, v2
	s_delay_alu instid0(VALU_DEP_1) | instskip(NEXT) | instid1(VALU_DEP_1)
	v_add3_u32 v0, v1, v0, v2
	v_ashrrev_i32_e32 v1, 31, v0
	s_delay_alu instid0(VALU_DEP_1) | instskip(NEXT) | instid1(VALU_DEP_1)
	v_lshrrev_b32_e32 v1, 30, v1
	v_add_nc_u32_e32 v0, v0, v1
	v_cvt_f32_f16_e32 v1, v29
	s_delay_alu instid0(VALU_DEP_2) | instskip(NEXT) | instid1(VALU_DEP_2)
	v_ashrrev_i32_e32 v0, 2, v0
	v_mul_f32_e32 v1, v1, v4
	s_delay_alu instid0(VALU_DEP_2) | instskip(NEXT) | instid1(VALU_DEP_1)
	v_cvt_f32_i32_e32 v0, v0
	v_fmac_f32_e32 v24, v1, v0
	s_and_not1_b32 exec_lo, exec_lo, s13
	s_cbranch_execz .LBB183_14
.LBB183_12:                             ; =>This Inner Loop Header: Depth=1
	v_add_nc_u32_e32 v32, s7, v25
	s_getpc_b64 s[4:5]
	s_wait_alu 0xfffe
	s_sext_i32_i16 s5, s5
	s_add_co_u32 s4, s4, _ZL9iq2s_grid@rel32@lo+12
	s_wait_alu 0xfffe
	s_add_co_ci_u32 s5, s5, _ZL9iq2s_grid@rel32@hi+24
	v_mad_co_i64_i32 v[0:1], null, 0x52, v32, s[8:9]
	s_delay_alu instid0(VALU_DEP_1) | instskip(SKIP_1) | instid1(VALU_DEP_2)
	v_add_co_u32 v2, vcc_lo, v0, v27
	s_wait_alu 0xfffd
	v_add_co_ci_u32_e64 v3, null, 0, v1, vcc_lo
	v_add_co_u32 v4, vcc_lo, v0, v26
	s_wait_alu 0xfffd
	v_add_co_ci_u32_e64 v5, null, 0, v1, vcc_lo
	s_clause 0x4
	global_load_b32 v6, v[2:3], off offset:2
	global_load_u8 v7, v[4:5], off offset:66
	global_load_u8 v28, v[4:5], off offset:74
	global_load_b32 v31, v[2:3], off offset:34
	global_load_u16 v29, v[0:1], off
	s_and_not1_b32 vcc_lo, exec_lo, s14
	s_wait_loadcnt 0x4
	v_and_b32_e32 v1, 0xff, v6
	s_wait_loadcnt 0x3
	v_lshlrev_b32_e32 v2, 8, v7
	v_bfe_u32 v3, v6, 8, 8
	v_lshlrev_b32_e32 v4, 6, v7
	v_lshrrev_b32_e32 v0, 24, v6
	v_bfe_u32 v5, v6, 16, 8
	v_lshlrev_b32_e32 v6, 4, v7
	v_lshlrev_b32_e32 v7, 2, v7
	v_and_or_b32 v10, 0x300, v2, v1
	v_and_or_b32 v11, 0x300, v4, v3
	s_delay_alu instid0(VALU_DEP_4) | instskip(NEXT) | instid1(VALU_DEP_4)
	v_and_or_b32 v12, 0x300, v6, v5
	v_and_or_b32 v13, 0x300, v7, v0
	s_delay_alu instid0(VALU_DEP_4) | instskip(NEXT) | instid1(VALU_DEP_4)
	v_lshlrev_b32_e32 v10, 3, v10
	v_lshlrev_b32_e32 v11, 3, v11
	s_clause 0x1
	global_load_b128 v[4:7], v[8:9], off offset:-32
	global_load_b128 v[0:3], v[8:9], off offset:-16
	v_lshlrev_b32_e32 v12, 3, v12
	v_lshlrev_b32_e32 v33, 3, v13
	global_load_b32 v30, v[8:9], off
	s_clause 0x3
	global_load_b64 v[16:17], v10, s[4:5]
	global_load_b64 v[14:15], v11, s[4:5]
	;; [unrolled: 1-line block ×4, first 2 shown]
	s_wait_loadcnt 0x6
	v_cvt_f32_f16_e32 v4, v4
	s_wait_alu 0xfffe
	s_cbranch_vccnz .LBB183_11
; %bb.13:                               ;   in Loop: Header=BB183_12 Depth=1
	v_mad_co_i64_i32 v[33:34], null, 0x52, v32, s[16:17]
	s_delay_alu instid0(VALU_DEP_1) | instskip(SKIP_1) | instid1(VALU_DEP_2)
	v_add_co_u32 v35, vcc_lo, v33, v27
	s_wait_alu 0xfffd
	v_add_co_ci_u32_e64 v36, null, 0, v34, vcc_lo
	v_add_co_u32 v37, vcc_lo, v33, v26
	s_wait_alu 0xfffd
	v_add_co_ci_u32_e64 v38, null, 0, v34, vcc_lo
	s_clause 0x4
	global_load_b32 v39, v[35:36], off offset:2
	global_load_u8 v40, v[37:38], off offset:66
	global_load_b32 v41, v[35:36], off offset:34
	global_load_u8 v32, v[37:38], off offset:74
	global_load_u16 v42, v[33:34], off
	s_wait_loadcnt 0x4
	v_and_b32_e32 v34, 0xff, v39
	s_wait_loadcnt 0x3
	v_lshlrev_b32_e32 v35, 8, v40
	v_bfe_u32 v36, v39, 8, 8
	v_lshlrev_b32_e32 v37, 6, v40
	v_lshrrev_b32_e32 v33, 24, v39
	v_bfe_u32 v38, v39, 16, 8
	v_lshlrev_b32_e32 v39, 4, v40
	v_and_or_b32 v34, 0x300, v35, v34
	v_lshlrev_b32_e32 v35, 2, v40
	v_and_or_b32 v36, 0x300, v37, v36
	s_wait_loadcnt 0x2
	v_and_b32_e32 v44, 0xff, v41
	v_and_or_b32 v37, 0x300, v39, v38
	v_lshlrev_b32_e32 v34, 3, v34
	v_and_or_b32 v35, 0x300, v35, v33
	v_lshlrev_b32_e32 v36, 3, v36
	v_lshlrev_b32_e32 v45, 21, v41
	;; [unrolled: 1-line block ×3, first 2 shown]
	global_load_b64 v[33:34], v34, s[4:5]
	v_lshlrev_b32_e32 v39, 3, v35
	s_clause 0x2
	global_load_b64 v[35:36], v36, s[4:5]
	global_load_b64 v[37:38], v37, s[4:5]
	;; [unrolled: 1-line block ×3, first 2 shown]
	v_lshrrev_b32_e32 v43, 16, v41
	v_lshlrev_b32_e32 v47, 17, v41
	v_lshrrev_b32_e32 v48, 6, v41
	v_lshrrev_b32_e32 v49, 1, v41
	;; [unrolled: 1-line block ×13, first 2 shown]
	v_lshl_or_b32 v45, v44, 7, v45
	v_lshrrev_b32_e32 v56, 18, v41
	v_lshrrev_b32_e32 v58, 22, v41
	;; [unrolled: 1-line block ×3, first 2 shown]
	v_lshl_or_b32 v44, v44, 3, v47
	v_bfe_i32 v47, v48, 0, 1
	v_and_b32_e32 v48, 0x180, v49
	v_bfe_i32 v49, v50, 0, 1
	v_bfe_i32 v50, v51, 0, 1
	v_and_b32_e32 v51, 0x180, v52
	v_bfe_i32 v52, v53, 0, 1
	v_bfe_i32 v53, v54, 0, 1
	v_lshl_or_b32 v54, v43, 21, v55
	v_lshl_or_b32 v43, v43, 17, v57
	v_and_or_b32 v57, 0x1fe00000, v60, v59
	v_lshrrev_b16 v59, 8, v62
	v_lshrrev_b16 v60, 7, v62
	v_cmp_ne_u16_e32 vcc_lo, 0, v63
	v_and_b32_e32 v62, 0x1800180, v45
	v_bfe_u32 v45, v45, 24, 1
	v_bfe_i32 v55, v56, 0, 1
	v_bfe_i32 v56, v58, 0, 1
	v_bfe_i32 v58, v61, 0, 1
	s_wait_alu 0xfffd
	v_cndmask_b32_e64 v61, 0, -1, vcc_lo
	v_and_b32_e32 v64, 0x1800180, v44
	v_bfe_u32 v44, v44, 24, 1
	v_cmp_ne_u16_e32 vcc_lo, 0, v45
	v_lshrrev_b16 v66, 8, v48
	v_lshrrev_b16 v68, 8, v51
	v_and_b32_e32 v70, 0x1800180, v54
	v_bfe_u32 v54, v54, 24, 1
	s_wait_alu 0xfffd
	v_cndmask_b32_e64 v45, 0, -1, vcc_lo
	v_cmp_ne_u16_e32 vcc_lo, 0, v44
	v_and_b32_e32 v72, 0x1800180, v43
	v_bfe_u32 v43, v43, 24, 1
	v_and_b32_e32 v74, 0x1800180, v57
	v_bfe_u32 v57, v57, 24, 1
	s_wait_alu 0xfffd
	v_cndmask_b32_e64 v44, 0, -1, vcc_lo
	v_cmp_ne_u16_e32 vcc_lo, 0, v66
	v_lshrrev_b16 v77, 8, v62
	v_lshrrev_b16 v78, 8, v64
	;; [unrolled: 1-line block ×3, first 2 shown]
	v_lshrrev_b32_e32 v46, 2, v41
	s_wait_alu 0xfffd
	v_cndmask_b32_e64 v66, 0, -1, vcc_lo
	v_cmp_ne_u16_e32 vcc_lo, 0, v68
	v_lshrrev_b32_e32 v41, 30, v41
	v_lshrrev_b16 v48, 7, v48
	v_lshrrev_b16 v80, 8, v72
	;; [unrolled: 1-line block ×3, first 2 shown]
	s_wait_alu 0xfffd
	v_cndmask_b32_e64 v68, 0, -1, vcc_lo
	v_cmp_ne_u16_e32 vcc_lo, 0, v54
	v_bfe_i32 v41, v41, 0, 1
	v_bfe_i32 v59, v59, 0, 1
	;; [unrolled: 1-line block ×3, first 2 shown]
	v_lshrrev_b16 v62, 7, v62
	s_wait_alu 0xfffd
	v_cndmask_b32_e64 v54, 0, -1, vcc_lo
	v_cmp_ne_u16_e32 vcc_lo, 0, v43
	v_bfe_i32 v48, v48, 0, 1
	v_lshrrev_b16 v70, 7, v70
	v_lshrrev_b16 v81, 8, v74
	v_bfe_i32 v46, v46, 0, 1
	s_wait_alu 0xfffd
	v_cndmask_b32_e64 v43, 0, -1, vcc_lo
	v_cmp_ne_u16_e32 vcc_lo, 0, v57
	v_lshlrev_b16 v49, 8, v49
	v_and_b32_e32 v67, 0xff, v50
	v_and_b32_e32 v76, 0xff, v41
	v_lshlrev_b16 v61, 8, v61
	s_wait_alu 0xfffd
	v_cndmask_b32_e64 v57, 0, -1, vcc_lo
	v_cmp_ne_u16_e32 vcc_lo, 0, v77
	v_lshrrev_b16 v64, 7, v64
	v_bfe_i32 v51, v51, 0, 1
	v_lshrrev_b16 v72, 7, v72
	v_lshrrev_b16 v74, 7, v74
	s_wait_alu 0xfffd
	v_cndmask_b32_e64 v77, 0, -1, vcc_lo
	v_cmp_ne_u16_e32 vcc_lo, 0, v78
	v_lshlrev_b16 v59, 8, v59
	v_and_b32_e32 v82, 0xff, v60
	v_bfe_i32 v62, v62, 0, 1
	v_and_b32_e32 v83, 0xff, v48
	s_wait_alu 0xfffd
	v_cndmask_b32_e64 v78, 0, -1, vcc_lo
	v_cmp_ne_u16_e32 vcc_lo, 0, v79
	v_lshlrev_b16 v66, 8, v66
	v_bfe_i32 v70, v70, 0, 1
	v_and_b32_e32 v63, 0xff, v46
	v_lshlrev_b16 v52, 8, v52
	s_wait_alu 0xfffd
	v_cndmask_b32_e64 v79, 0, -1, vcc_lo
	v_cmp_ne_u16_e32 vcc_lo, 0, v80
	v_and_b32_e32 v69, 0xff, v53
	v_and_b32_e32 v71, 0xff, v55
	v_or_b32_e32 v67, v67, v49
	v_or_b32_e32 v76, v76, v61
	s_wait_alu 0xfffd
	v_cndmask_b32_e64 v80, 0, -1, vcc_lo
	v_cmp_ne_u16_e32 vcc_lo, 0, v81
	v_lshlrev_b16 v45, 8, v45
	v_bfe_i32 v64, v64, 0, 1
	v_and_b32_e32 v84, 0xff, v51
	v_lshlrev_b16 v68, 8, v68
	v_lshlrev_b16 v54, 8, v54
	v_bfe_i32 v72, v72, 0, 1
	v_bfe_i32 v74, v74, 0, 1
	s_wait_alu 0xfffd
	v_cndmask_b32_e64 v81, 0, -1, vcc_lo
	v_or_b32_e32 v82, v82, v59
	v_and_b32_e32 v85, 0xff, v62
	v_lshlrev_b16 v77, 8, v77
	v_or_b32_e32 v83, v83, v66
	v_and_b32_e32 v87, 0xff, v70
	v_lshlrev_b16 v79, 8, v79
	v_and_b32_e32 v65, 0xff, v47
	v_and_b32_e32 v73, 0xff, v56
	v_and_b32_e32 v75, 0xff, v58
	v_or_b32_e32 v69, v69, v52
	v_lshlrev_b16 v44, 8, v44
	v_lshlrev_b32_e32 v67, 16, v67
	v_lshlrev_b16 v43, 8, v43
	v_lshlrev_b16 v57, 8, v57
	v_lshlrev_b32_e32 v76, 16, v76
	v_or_b32_e32 v63, v63, v45
	v_and_b32_e32 v86, 0xff, v64
	v_lshlrev_b16 v78, 8, v78
	v_or_b32_e32 v84, v84, v68
	v_or_b32_e32 v71, v71, v54
	v_and_b32_e32 v88, 0xff, v72
	v_lshlrev_b16 v80, 8, v80
	v_and_b32_e32 v89, 0xff, v74
	v_lshlrev_b16 v81, 8, v81
	v_and_b32_e32 v82, 0xffff, v82
	v_or_b32_e32 v85, v85, v77
	v_and_b32_e32 v83, 0xffff, v83
	v_or_b32_e32 v87, v87, v79
	v_lshlrev_b32_e32 v69, 16, v69
	v_or_b32_e32 v65, v65, v44
	v_or_b32_e32 v73, v73, v43
	;; [unrolled: 1-line block ×3, first 2 shown]
	v_lshlrev_b32_e32 v63, 16, v63
	v_or_b32_e32 v86, v86, v78
	v_and_b32_e32 v84, 0xffff, v84
	v_lshlrev_b32_e32 v71, 16, v71
	v_or_b32_e32 v88, v88, v80
	v_or_b32_e32 v89, v89, v81
	;; [unrolled: 1-line block ×3, first 2 shown]
	v_and_b32_e32 v82, 0xffff, v85
	v_or_b32_e32 v67, v83, v67
	v_and_b32_e32 v83, 0xffff, v87
	v_lshlrev_b32_e32 v65, 16, v65
	v_lshlrev_b32_e32 v73, 16, v73
	;; [unrolled: 1-line block ×3, first 2 shown]
	v_and_b32_e32 v85, 0xffff, v86
	v_or_b32_e32 v69, v84, v69
	v_and_b32_e32 v84, 0xffff, v88
	v_and_b32_e32 v86, 0xffff, v89
	v_or_b32_e32 v63, v82, v63
	v_or_b32_e32 v71, v83, v71
	;; [unrolled: 1-line block ×5, first 2 shown]
	v_lshlrev_b16 v48, 8, v48
	v_lshlrev_b16 v51, 8, v51
	v_lshlrev_b16 v62, 8, v62
	v_lshlrev_b16 v70, 8, v70
	v_lshlrev_b16 v46, 8, v46
	v_lshlrev_b16 v50, 8, v50
	v_lshlrev_b16 v53, 8, v53
	v_lshlrev_b16 v55, 8, v55
	v_lshlrev_b16 v64, 8, v64
	v_lshlrev_b16 v72, 8, v72
	v_lshlrev_b16 v47, 8, v47
	v_lshlrev_b16 v56, 8, v56
	v_lshlrev_b16 v74, 8, v74
	v_lshlrev_b16 v58, 8, v58
	v_lshlrev_b16 v60, 8, v60
	v_lshlrev_b16 v41, 8, v41
	s_wait_loadcnt 0x3
	v_xor_b32_e32 v33, v33, v63
	v_xor_b32_e32 v34, v34, v65
	s_wait_loadcnt 0x2
	v_xor_b32_e32 v35, v35, v67
	v_xor_b32_e32 v36, v36, v69
	;; [unrolled: 3-line block ×4, first 2 shown]
	v_lshrrev_b32_e32 v63, 16, v33
	v_and_b32_e32 v65, 0xffffff00, v33
	v_lshlrev_b16 v33, 8, v33
	v_lshrrev_b32_e32 v71, 16, v35
	v_and_b32_e32 v73, 0xffffff00, v35
	v_lshlrev_b16 v35, 8, v35
	;; [unrolled: 3-line block ×6, first 2 shown]
	v_sub_nc_i16 v33, v33, v62 clamp
	v_and_b32_e32 v62, 0xffffff00, v63
	v_lshlrev_b16 v63, 8, v63
	v_sub_nc_i16 v66, v73, v66 clamp
	v_sub_nc_i16 v35, v35, v48 clamp
	v_and_b32_e32 v48, 0xffffff00, v71
	v_lshlrev_b16 v71, 8, v71
	v_sub_nc_i16 v68, v76, v68 clamp
	;; [unrolled: 4-line block ×3, first 2 shown]
	v_and_b32_e32 v70, 0xffffff00, v82
	v_lshlrev_b16 v76, 8, v82
	v_lshrrev_b32_e32 v86, 16, v39
	v_and_b32_e32 v87, 0xffffff00, v39
	v_lshlrev_b16 v39, 8, v39
	v_sub_nc_i16 v65, v65, v77 clamp
	v_sub_nc_i16 v69, v69, v78 clamp
	;; [unrolled: 1-line block ×3, first 2 shown]
	v_and_b32_e32 v64, 0xffffff00, v67
	v_lshlrev_b16 v67, 8, v67
	v_sub_nc_i16 v75, v83, v79 clamp
	v_sub_nc_i16 v38, v38, v72 clamp
	v_and_b32_e32 v72, 0xffffff00, v84
	v_lshlrev_b16 v78, 8, v84
	v_sub_nc_i16 v45, v62, v45 clamp
	v_sub_nc_i16 v46, v63, v46 clamp
	;; [unrolled: 1-line block ×8, first 2 shown]
	v_lshrrev_b32_e32 v88, 16, v40
	v_and_b32_e32 v89, 0xffffff00, v40
	v_lshlrev_b16 v40, 8, v40
	v_sub_nc_i16 v77, v85, v80 clamp
	v_sub_nc_i16 v39, v39, v74 clamp
	v_and_b32_e32 v74, 0xffffff00, v86
	v_lshlrev_b16 v80, 8, v86
	v_perm_b32 v33, v33, v65, 0xc0c0105
	v_sub_nc_i16 v44, v64, v44 clamp
	v_sub_nc_i16 v47, v67, v47 clamp
	v_perm_b32 v37, v37, v75, 0xc0c0105
	v_sub_nc_i16 v43, v72, v43 clamp
	v_sub_nc_i16 v54, v78, v56 clamp
	v_perm_b32 v45, v46, v45, 0xc0c0105
	v_perm_b32 v46, v53, v52, 0xc0c0105
	v_sub_nc_i16 v79, v87, v81 clamp
	v_sub_nc_i16 v40, v40, v60 clamp
	v_and_b32_e32 v60, 0xffffff00, v88
	v_lshlrev_b16 v81, 8, v88
	v_perm_b32 v34, v34, v69, 0xc0c0105
	v_perm_b32 v38, v38, v77, 0xc0c0105
	v_sub_nc_i16 v55, v74, v57 clamp
	v_sub_nc_i16 v56, v80, v58 clamp
	v_perm_b32 v44, v47, v44, 0xc0c0105
	v_perm_b32 v43, v54, v43, 0xc0c0105
	v_lshl_or_b32 v33, v45, 16, v33
	v_lshl_or_b32 v37, v46, 16, v37
	v_sub_nc_i16 v59, v89, v59 clamp
	v_perm_b32 v35, v35, v66, 0xc0c0105
	v_perm_b32 v39, v39, v79, 0xc0c0105
	v_sub_nc_i16 v57, v60, v61 clamp
	v_sub_nc_i16 v41, v81, v41 clamp
	v_perm_b32 v47, v49, v48, 0xc0c0105
	v_perm_b32 v45, v56, v55, 0xc0c0105
	v_lshl_or_b32 v34, v44, 16, v34
	v_lshl_or_b32 v38, v43, 16, v38
	v_dot4_i32_iu8 v33, v33, v5, 0 neg_lo:[1,1,0]
	v_dot4_i32_iu8 v37, v37, v1, 0 neg_lo:[1,1,0]
	v_perm_b32 v36, v36, v68, 0xc0c0105
	v_perm_b32 v40, v40, v59, 0xc0c0105
	;; [unrolled: 1-line block ×4, first 2 shown]
	v_lshl_or_b32 v35, v47, 16, v35
	v_lshl_or_b32 v39, v45, 16, v39
	v_dot4_i32_iu8 v33, v34, v6, v33 neg_lo:[1,1,0]
	v_dot4_i32_iu8 v34, v38, v2, v37 neg_lo:[1,1,0]
	v_lshl_or_b32 v36, v48, 16, v36
	v_lshl_or_b32 v37, v41, 16, v40
	s_delay_alu instid0(VALU_DEP_4) | instskip(NEXT) | instid1(VALU_DEP_4)
	v_dot4_i32_iu8 v33, v35, v7, v33 neg_lo:[1,1,0]
	v_dot4_i32_iu8 v34, v39, v3, v34 neg_lo:[1,1,0]
	s_delay_alu instid0(VALU_DEP_2) | instskip(NEXT) | instid1(VALU_DEP_2)
	v_dot4_i32_iu8 v33, v36, v0, v33 neg_lo:[1,1,0]
	v_dot4_i32_iu8 v34, v37, v30, v34 neg_lo:[1,1,0]
	v_and_b32_e32 v37, 15, v32
	v_lshrrev_b32_e32 v32, 4, v32
	s_delay_alu instid0(VALU_DEP_3) | instskip(NEXT) | instid1(VALU_DEP_3)
	v_add_nc_u32_e32 v35, v34, v33
	v_mul_lo_u32 v33, v33, v37
	s_delay_alu instid0(VALU_DEP_3) | instskip(NEXT) | instid1(VALU_DEP_3)
	v_mul_lo_u32 v32, v34, v32
	v_lshrrev_b32_e32 v36, 31, v35
	s_delay_alu instid0(VALU_DEP_1) | instskip(NEXT) | instid1(VALU_DEP_1)
	v_add_nc_u32_e32 v35, v35, v36
	v_ashrrev_i32_e32 v34, 1, v35
	s_delay_alu instid0(VALU_DEP_1) | instskip(NEXT) | instid1(VALU_DEP_1)
	v_add3_u32 v32, v32, v33, v34
	v_ashrrev_i32_e32 v33, 31, v32
	s_delay_alu instid0(VALU_DEP_1) | instskip(NEXT) | instid1(VALU_DEP_1)
	v_lshrrev_b32_e32 v33, 30, v33
	v_add_nc_u32_e32 v32, v32, v33
	v_cvt_f32_f16_e32 v33, v42
	s_delay_alu instid0(VALU_DEP_2) | instskip(NEXT) | instid1(VALU_DEP_2)
	v_ashrrev_i32_e32 v32, 2, v32
	v_mul_f32_e32 v33, v4, v33
	s_delay_alu instid0(VALU_DEP_2) | instskip(NEXT) | instid1(VALU_DEP_1)
	v_cvt_f32_i32_e32 v32, v32
	v_fmac_f32_e32 v23, v33, v32
	s_branch .LBB183_11
.LBB183_14:
	s_or_b32 exec_lo, exec_lo, s13
.LBB183_15:
	s_delay_alu instid0(SALU_CYCLE_1)
	s_or_b32 exec_lo, exec_lo, s18
	s_load_b32 s4, s[0:1], 0x30
	s_wait_loadcnt 0x0
	; wave barrier
	global_inv scope:SCOPE_SE
	s_mov_b32 s5, exec_lo
	v_cmpx_eq_u32_e32 0, v21
	s_cbranch_execz .LBB183_43
; %bb.16:
	v_mbcnt_lo_u32_b32 v1, -1, 0
	s_delay_alu instid0(VALU_DEP_1) | instskip(SKIP_2) | instid1(VALU_DEP_3)
	v_xor_b32_e32 v0, 16, v1
	v_xor_b32_e32 v3, 8, v1
	;; [unrolled: 1-line block ×3, first 2 shown]
	v_cmp_gt_i32_e32 vcc_lo, 32, v0
	s_wait_alu 0xfffd
	v_cndmask_b32_e32 v0, v1, v0, vcc_lo
	v_cmp_gt_i32_e32 vcc_lo, 32, v3
	s_wait_alu 0xfffd
	v_cndmask_b32_e32 v3, v1, v3, vcc_lo
	v_cmp_gt_i32_e32 vcc_lo, 32, v4
	s_delay_alu instid0(VALU_DEP_2)
	v_lshlrev_b32_e32 v3, 2, v3
	v_lshlrev_b32_e32 v0, 2, v0
	s_wait_alu 0xfffd
	v_cndmask_b32_e32 v4, v1, v4, vcc_lo
	ds_bpermute_b32 v2, v0, v24
	s_wait_dscnt 0x0
	v_add_f32_e32 v2, v24, v2
	ds_bpermute_b32 v5, v3, v2
	s_wait_dscnt 0x0
	v_add_f32_e32 v2, v2, v5
	v_xor_b32_e32 v5, 2, v1
	s_delay_alu instid0(VALU_DEP_1) | instskip(SKIP_2) | instid1(VALU_DEP_1)
	v_cmp_gt_i32_e32 vcc_lo, 32, v5
	s_wait_alu 0xfffd
	v_cndmask_b32_e32 v5, v1, v5, vcc_lo
	v_lshlrev_b32_e32 v5, 2, v5
	v_lshlrev_b32_e32 v4, 2, v4
	ds_bpermute_b32 v6, v4, v2
	s_wait_dscnt 0x0
	v_add_f32_e32 v2, v2, v6
	v_xor_b32_e32 v6, 1, v1
	ds_bpermute_b32 v7, v5, v2
	v_cmp_gt_i32_e32 vcc_lo, 32, v6
	s_wait_alu 0xfffd
	v_cndmask_b32_e32 v1, v1, v6, vcc_lo
	v_cmp_ne_u32_e32 vcc_lo, 1, v22
	s_delay_alu instid0(VALU_DEP_2)
	v_lshlrev_b32_e32 v6, 2, v1
	s_wait_dscnt 0x0
	v_add_f32_e32 v1, v2, v7
	ds_bpermute_b32 v2, v6, v1
	s_cbranch_vccnz .LBB183_18
; %bb.17:
	ds_bpermute_b32 v0, v0, v23
	s_wait_dscnt 0x0
	v_add_f32_e32 v0, v23, v0
	ds_bpermute_b32 v3, v3, v0
	s_wait_dscnt 0x0
	v_add_f32_e32 v0, v0, v3
	;; [unrolled: 3-line block ×5, first 2 shown]
.LBB183_18:
	v_cmp_eq_u32_e32 vcc_lo, 0, v18
	s_and_b32 exec_lo, exec_lo, vcc_lo
	s_cbranch_execz .LBB183_43
; %bb.19:
	s_wait_dscnt 0x0
	v_add_f32_e32 v0, v1, v2
	v_cmp_ne_u32_e32 vcc_lo, 1, v22
	s_delay_alu instid0(VALU_DEP_2) | instskip(NEXT) | instid1(VALU_DEP_1)
	v_add_f32_e32 v1, v20, v0
	v_cndmask_b32_e64 v0, v0, v1, s2
	s_cbranch_vccnz .LBB183_42
; %bb.20:
	v_add_f32_e32 v1, v19, v23
	s_wait_kmcnt 0x0
	s_cmp_lt_i32 s4, 2
	s_mov_b32 s2, 0
	s_delay_alu instid0(VALU_DEP_1)
	v_cndmask_b32_e64 v1, v23, v1, s3
	s_cbranch_scc1 .LBB183_25
; %bb.21:
	s_cmp_gt_i32 s4, 2
	s_cbranch_scc0 .LBB183_26
; %bb.22:
	s_cmp_eq_u32 s4, 3
	s_cbranch_scc0 .LBB183_27
; %bb.23:
	v_max_num_f32_e32 v2, v1, v1
	s_mov_b32 s3, 0xc0e00000
	s_delay_alu instid0(VALU_DEP_1) | instskip(NEXT) | instid1(VALU_DEP_1)
	v_min_num_f32_e32 v2, 0x40e00000, v2
	v_mul_f32_e32 v3, 0xbfd9db23, v2
	s_delay_alu instid0(VALU_DEP_1) | instskip(NEXT) | instid1(VALU_DEP_1)
	v_mul_f32_e32 v4, 0x3fb8aa3b, v3
	v_fma_f32 v5, 0x3fb8aa3b, v3, -v4
	v_rndne_f32_e32 v6, v4
	s_delay_alu instid0(VALU_DEP_1) | instskip(NEXT) | instid1(VALU_DEP_1)
	v_dual_fmamk_f32 v5, v3, 0x32a5705f, v5 :: v_dual_sub_f32 v4, v4, v6
	v_add_f32_e32 v4, v4, v5
	v_cvt_i32_f32_e32 v5, v6
	v_cmp_ngt_f32_e32 vcc_lo, 0xc2ce8ed0, v3
	s_delay_alu instid0(VALU_DEP_3) | instskip(NEXT) | instid1(TRANS32_DEP_1)
	v_exp_f32_e32 v4, v4
	v_ldexp_f32 v4, v4, v5
	s_wait_alu 0xfffd
	s_delay_alu instid0(VALU_DEP_1) | instskip(SKIP_2) | instid1(VALU_DEP_2)
	v_cndmask_b32_e32 v4, 0, v4, vcc_lo
	v_cmp_nlt_f32_e32 vcc_lo, 0x42b17218, v3
	s_wait_alu 0xfffd
	v_cndmask_b32_e32 v3, 0x7f800000, v4, vcc_lo
	s_delay_alu instid0(VALU_DEP_1) | instskip(NEXT) | instid1(VALU_DEP_1)
	v_add_f32_e32 v3, 1.0, v3
	v_div_scale_f32 v4, null, v3, v3, v2
	v_div_scale_f32 v7, vcc_lo, v2, v3, v2
	s_delay_alu instid0(VALU_DEP_2) | instskip(NEXT) | instid1(TRANS32_DEP_1)
	v_rcp_f32_e32 v5, v4
	v_fma_f32 v6, -v4, v5, 1.0
	s_delay_alu instid0(VALU_DEP_1) | instskip(NEXT) | instid1(VALU_DEP_1)
	v_fmac_f32_e32 v5, v6, v5
	v_mul_f32_e32 v6, v7, v5
	s_delay_alu instid0(VALU_DEP_1) | instskip(NEXT) | instid1(VALU_DEP_1)
	v_fma_f32 v8, -v4, v6, v7
	v_fmac_f32_e32 v6, v8, v5
	s_delay_alu instid0(VALU_DEP_1) | instskip(SKIP_1) | instid1(VALU_DEP_1)
	v_fma_f32 v4, -v4, v6, v7
	s_wait_alu 0xfffd
	v_div_fmas_f32 v4, v4, v5, v6
	s_delay_alu instid0(VALU_DEP_1) | instskip(SKIP_2) | instid1(VALU_DEP_1)
	v_div_fixup_f32 v2, v4, v3, v2
	v_max_num_f32_e32 v7, v0, v0
	s_wait_alu 0xfffe
	v_minmax_num_f32 v5, v7, 0x40e00000, s3
	s_mov_b32 s3, 0
	s_delay_alu instid0(VALU_DEP_1) | instskip(NEXT) | instid1(VALU_DEP_1)
	v_add_f32_e32 v3, 1.0, v5
	v_mul_f32_e32 v2, v3, v2
	s_branch .LBB183_28
.LBB183_24:
                                        ; implicit-def: $sgpr28
	s_clause 0x1
	s_load_b32 s30, s[0:1], 0x50
	s_load_b32 s29, s[0:1], 0x78
	s_branch .LBB183_2
.LBB183_25:
	s_mov_b32 s3, 0
                                        ; implicit-def: $vgpr2
	s_cbranch_execnz .LBB183_32
	s_branch .LBB183_33
.LBB183_26:
	s_mov_b32 s5, -1
	s_mov_b32 s3, 0
                                        ; implicit-def: $vgpr2
	s_branch .LBB183_29
.LBB183_27:
	s_mov_b32 s3, -1
                                        ; implicit-def: $vgpr2
.LBB183_28:
	s_mov_b32 s5, 0
.LBB183_29:
	s_wait_alu 0xfffe
	s_and_b32 vcc_lo, exec_lo, s5
	s_wait_alu 0xfffe
	s_cbranch_vccz .LBB183_31
; %bb.30:
	v_mul_f32_e32 v2, 0xbfb8aa3b, v1
	v_cmp_nlt_f32_e32 vcc_lo, 0x42ce8ed0, v1
	s_delay_alu instid0(VALU_DEP_2) | instskip(SKIP_1) | instid1(VALU_DEP_2)
	v_rndne_f32_e32 v3, v2
	v_fma_f32 v4, 0xbfb8aa3b, v1, -v2
	v_sub_f32_e32 v2, v2, v3
	s_delay_alu instid0(VALU_DEP_2) | instskip(SKIP_1) | instid1(VALU_DEP_2)
	v_fmamk_f32 v4, v1, 0xb2a5705f, v4
	v_cvt_i32_f32_e32 v3, v3
	v_add_f32_e32 v2, v2, v4
	s_delay_alu instid0(VALU_DEP_1) | instskip(NEXT) | instid1(TRANS32_DEP_1)
	v_exp_f32_e32 v2, v2
	v_ldexp_f32 v2, v2, v3
	s_wait_alu 0xfffd
	s_delay_alu instid0(VALU_DEP_1) | instskip(SKIP_2) | instid1(VALU_DEP_2)
	v_cndmask_b32_e32 v2, 0, v2, vcc_lo
	v_cmp_ngt_f32_e32 vcc_lo, 0xc2b17218, v1
	s_wait_alu 0xfffd
	v_cndmask_b32_e32 v2, 0x7f800000, v2, vcc_lo
	s_delay_alu instid0(VALU_DEP_1) | instskip(NEXT) | instid1(VALU_DEP_1)
	v_add_f32_e32 v2, 1.0, v2
	v_div_scale_f32 v3, null, v2, v2, v1
	s_delay_alu instid0(VALU_DEP_1) | instskip(NEXT) | instid1(TRANS32_DEP_1)
	v_rcp_f32_e32 v4, v3
	v_fma_f32 v5, -v3, v4, 1.0
	s_delay_alu instid0(VALU_DEP_1) | instskip(SKIP_1) | instid1(VALU_DEP_1)
	v_fmac_f32_e32 v4, v5, v4
	v_div_scale_f32 v5, vcc_lo, v1, v2, v1
	v_mul_f32_e32 v6, v5, v4
	s_delay_alu instid0(VALU_DEP_1) | instskip(NEXT) | instid1(VALU_DEP_1)
	v_fma_f32 v7, -v3, v6, v5
	v_fmac_f32_e32 v6, v7, v4
	s_delay_alu instid0(VALU_DEP_1) | instskip(SKIP_1) | instid1(VALU_DEP_1)
	v_fma_f32 v3, -v3, v6, v5
	s_wait_alu 0xfffd
	v_div_fmas_f32 v3, v3, v4, v6
	s_delay_alu instid0(VALU_DEP_1) | instskip(NEXT) | instid1(VALU_DEP_1)
	v_div_fixup_f32 v2, v3, v2, v1
	v_mul_f32_e32 v2, v0, v2
.LBB183_31:
	s_branch .LBB183_33
.LBB183_32:
	s_cmp_lg_u32 s4, 1
	s_mov_b32 s2, -1
	s_cselect_b32 s3, -1, 0
.LBB183_33:
	s_wait_alu 0xfffe
	s_and_not1_b32 vcc_lo, exec_lo, s3
	s_wait_alu 0xfffe
	s_cbranch_vccz .LBB183_35
; %bb.34:
	s_and_not1_b32 vcc_lo, exec_lo, s2
	s_wait_alu 0xfffe
	s_cbranch_vccz .LBB183_36
	s_branch .LBB183_41
.LBB183_35:
	v_mul_f32_e32 v2, v1, v0
	s_cbranch_execnz .LBB183_41
.LBB183_36:
	v_mul_f32_e32 v2, 0x3d372713, v1
	v_mul_f32_e32 v3, 0x3f4c422a, v1
	s_delay_alu instid0(VALU_DEP_2) | instskip(NEXT) | instid1(VALU_DEP_1)
	v_fma_f32 v2, v1, v2, 1.0
	v_mul_f32_e32 v2, v3, v2
                                        ; implicit-def: $vgpr3
	s_delay_alu instid0(VALU_DEP_1)
	v_cmp_ngt_f32_e64 s2, 0x3f200000, |v2|
	s_and_saveexec_b32 s3, s2
	s_wait_alu 0xfffe
	s_xor_b32 s2, exec_lo, s3
	s_cbranch_execz .LBB183_38
; %bb.37:
	v_add_f32_e64 v3, |v2|, |v2|
	s_delay_alu instid0(VALU_DEP_1) | instskip(SKIP_1) | instid1(VALU_DEP_2)
	v_mul_f32_e32 v4, 0x3fb8aa3b, v3
	v_cmp_ngt_f32_e32 vcc_lo, 0xc2ce8ed0, v3
	v_rndne_f32_e32 v5, v4
	v_fma_f32 v6, 0x3fb8aa3b, v3, -v4
	s_delay_alu instid0(VALU_DEP_2) | instskip(NEXT) | instid1(VALU_DEP_2)
	v_sub_f32_e32 v4, v4, v5
	v_fmamk_f32 v6, v3, 0x32a5705f, v6
	v_cvt_i32_f32_e32 v5, v5
	s_delay_alu instid0(VALU_DEP_2) | instskip(NEXT) | instid1(VALU_DEP_1)
	v_add_f32_e32 v4, v4, v6
	v_exp_f32_e32 v4, v4
	s_delay_alu instid0(TRANS32_DEP_1) | instskip(SKIP_1) | instid1(VALU_DEP_1)
	v_ldexp_f32 v4, v4, v5
	s_wait_alu 0xfffd
	v_cndmask_b32_e32 v4, 0, v4, vcc_lo
	v_cmp_nlt_f32_e32 vcc_lo, 0x42b17218, v3
	s_wait_alu 0xfffd
	s_delay_alu instid0(VALU_DEP_2) | instskip(NEXT) | instid1(VALU_DEP_1)
	v_cndmask_b32_e32 v3, 0x7f800000, v4, vcc_lo
	v_add_f32_e32 v3, 1.0, v3
	s_delay_alu instid0(VALU_DEP_1) | instskip(NEXT) | instid1(TRANS32_DEP_1)
	v_rcp_f32_e32 v3, v3
	v_fma_f32 v3, v3, -2.0, 1.0
.LBB183_38:
	s_wait_alu 0xfffe
	s_and_not1_saveexec_b32 s2, s2
	s_cbranch_execz .LBB183_40
; %bb.39:
	v_mul_f32_e32 v3, v2, v2
	s_mov_b32 s3, 0xbbbac73d
	s_wait_alu 0xfffe
	s_delay_alu instid0(VALU_DEP_1) | instskip(NEXT) | instid1(VALU_DEP_1)
	v_fmaak_f32 v4, s3, v3, 0x3ca908c9
	v_fmaak_f32 v4, v3, v4, 0xbd5c1c4e
	s_delay_alu instid0(VALU_DEP_1) | instskip(NEXT) | instid1(VALU_DEP_1)
	v_fmaak_f32 v4, v3, v4, 0x3e088382
	v_fmaak_f32 v4, v3, v4, 0xbeaaaa99
	s_delay_alu instid0(VALU_DEP_1) | instskip(NEXT) | instid1(VALU_DEP_1)
	v_mul_f32_e64 v4, |v2|, v4
	v_fma_f32 v3, v3, v4, |v2|
.LBB183_40:
	s_wait_alu 0xfffe
	s_or_b32 exec_lo, exec_lo, s2
	s_delay_alu instid0(VALU_DEP_1) | instskip(NEXT) | instid1(VALU_DEP_1)
	v_bfi_b32 v2, 0x7fffffff, v3, v2
	v_dual_mul_f32 v1, 0.5, v1 :: v_dual_add_f32 v2, 1.0, v2
	s_delay_alu instid0(VALU_DEP_1) | instskip(NEXT) | instid1(VALU_DEP_1)
	v_mul_f32_e32 v1, v1, v2
	v_mul_f32_e32 v2, v0, v1
.LBB183_41:
	s_delay_alu instid0(VALU_DEP_1)
	v_mov_b32_e32 v0, v2
.LBB183_42:
	s_load_b64 s[0:1], s[0:1], 0x38
	s_mul_i32 s2, s6, s27
	s_wait_kmcnt 0x0
	s_mul_i32 s3, s26, s21
	s_wait_alu 0xfffe
	s_add_co_i32 s2, s2, ttmp9
	v_lshlrev_b32_e32 v1, 2, v18
	s_wait_alu 0xfffe
	s_add_co_i32 s2, s2, s3
	s_mov_b32 s3, 0
	s_wait_alu 0xfffe
	s_lshl_b64 s[2:3], s[2:3], 2
	s_wait_alu 0xfffe
	s_add_nc_u64 s[0:1], s[0:1], s[2:3]
	global_store_b32 v1, v0, s[0:1]
.LBB183_43:
	s_endpgm
	.section	.rodata,"a",@progbits
	.p2align	6, 0x0
	.amdhsa_kernel _ZL13mul_mat_vec_qIL9ggml_type22ELi1ELb1ELb0EEvPKvS2_PKi31ggml_cuda_mm_fusion_args_devicePfj15HIP_vector_typeIjLj3EEjjjS8_jjjS8_jjjj
		.amdhsa_group_segment_fixed_size 0
		.amdhsa_private_segment_fixed_size 0
		.amdhsa_kernarg_size 144
		.amdhsa_user_sgpr_count 2
		.amdhsa_user_sgpr_dispatch_ptr 0
		.amdhsa_user_sgpr_queue_ptr 0
		.amdhsa_user_sgpr_kernarg_segment_ptr 1
		.amdhsa_user_sgpr_dispatch_id 0
		.amdhsa_user_sgpr_private_segment_size 0
		.amdhsa_wavefront_size32 1
		.amdhsa_uses_dynamic_stack 0
		.amdhsa_enable_private_segment 0
		.amdhsa_system_sgpr_workgroup_id_x 1
		.amdhsa_system_sgpr_workgroup_id_y 1
		.amdhsa_system_sgpr_workgroup_id_z 1
		.amdhsa_system_sgpr_workgroup_info 0
		.amdhsa_system_vgpr_workitem_id 1
		.amdhsa_next_free_vgpr 90
		.amdhsa_next_free_sgpr 38
		.amdhsa_reserve_vcc 1
		.amdhsa_float_round_mode_32 0
		.amdhsa_float_round_mode_16_64 0
		.amdhsa_float_denorm_mode_32 3
		.amdhsa_float_denorm_mode_16_64 3
		.amdhsa_fp16_overflow 0
		.amdhsa_workgroup_processor_mode 1
		.amdhsa_memory_ordered 1
		.amdhsa_forward_progress 1
		.amdhsa_inst_pref_size 59
		.amdhsa_round_robin_scheduling 0
		.amdhsa_exception_fp_ieee_invalid_op 0
		.amdhsa_exception_fp_denorm_src 0
		.amdhsa_exception_fp_ieee_div_zero 0
		.amdhsa_exception_fp_ieee_overflow 0
		.amdhsa_exception_fp_ieee_underflow 0
		.amdhsa_exception_fp_ieee_inexact 0
		.amdhsa_exception_int_div_zero 0
	.end_amdhsa_kernel
	.section	.text._ZL13mul_mat_vec_qIL9ggml_type22ELi1ELb1ELb0EEvPKvS2_PKi31ggml_cuda_mm_fusion_args_devicePfj15HIP_vector_typeIjLj3EEjjjS8_jjjS8_jjjj,"axG",@progbits,_ZL13mul_mat_vec_qIL9ggml_type22ELi1ELb1ELb0EEvPKvS2_PKi31ggml_cuda_mm_fusion_args_devicePfj15HIP_vector_typeIjLj3EEjjjS8_jjjS8_jjjj,comdat
.Lfunc_end183:
	.size	_ZL13mul_mat_vec_qIL9ggml_type22ELi1ELb1ELb0EEvPKvS2_PKi31ggml_cuda_mm_fusion_args_devicePfj15HIP_vector_typeIjLj3EEjjjS8_jjjS8_jjjj, .Lfunc_end183-_ZL13mul_mat_vec_qIL9ggml_type22ELi1ELb1ELb0EEvPKvS2_PKi31ggml_cuda_mm_fusion_args_devicePfj15HIP_vector_typeIjLj3EEjjjS8_jjjS8_jjjj
                                        ; -- End function
	.set _ZL13mul_mat_vec_qIL9ggml_type22ELi1ELb1ELb0EEvPKvS2_PKi31ggml_cuda_mm_fusion_args_devicePfj15HIP_vector_typeIjLj3EEjjjS8_jjjS8_jjjj.num_vgpr, 90
	.set _ZL13mul_mat_vec_qIL9ggml_type22ELi1ELb1ELb0EEvPKvS2_PKi31ggml_cuda_mm_fusion_args_devicePfj15HIP_vector_typeIjLj3EEjjjS8_jjjS8_jjjj.num_agpr, 0
	.set _ZL13mul_mat_vec_qIL9ggml_type22ELi1ELb1ELb0EEvPKvS2_PKi31ggml_cuda_mm_fusion_args_devicePfj15HIP_vector_typeIjLj3EEjjjS8_jjjS8_jjjj.numbered_sgpr, 38
	.set _ZL13mul_mat_vec_qIL9ggml_type22ELi1ELb1ELb0EEvPKvS2_PKi31ggml_cuda_mm_fusion_args_devicePfj15HIP_vector_typeIjLj3EEjjjS8_jjjS8_jjjj.num_named_barrier, 0
	.set _ZL13mul_mat_vec_qIL9ggml_type22ELi1ELb1ELb0EEvPKvS2_PKi31ggml_cuda_mm_fusion_args_devicePfj15HIP_vector_typeIjLj3EEjjjS8_jjjS8_jjjj.private_seg_size, 0
	.set _ZL13mul_mat_vec_qIL9ggml_type22ELi1ELb1ELb0EEvPKvS2_PKi31ggml_cuda_mm_fusion_args_devicePfj15HIP_vector_typeIjLj3EEjjjS8_jjjS8_jjjj.uses_vcc, 1
	.set _ZL13mul_mat_vec_qIL9ggml_type22ELi1ELb1ELb0EEvPKvS2_PKi31ggml_cuda_mm_fusion_args_devicePfj15HIP_vector_typeIjLj3EEjjjS8_jjjS8_jjjj.uses_flat_scratch, 0
	.set _ZL13mul_mat_vec_qIL9ggml_type22ELi1ELb1ELb0EEvPKvS2_PKi31ggml_cuda_mm_fusion_args_devicePfj15HIP_vector_typeIjLj3EEjjjS8_jjjS8_jjjj.has_dyn_sized_stack, 0
	.set _ZL13mul_mat_vec_qIL9ggml_type22ELi1ELb1ELb0EEvPKvS2_PKi31ggml_cuda_mm_fusion_args_devicePfj15HIP_vector_typeIjLj3EEjjjS8_jjjS8_jjjj.has_recursion, 0
	.set _ZL13mul_mat_vec_qIL9ggml_type22ELi1ELb1ELb0EEvPKvS2_PKi31ggml_cuda_mm_fusion_args_devicePfj15HIP_vector_typeIjLj3EEjjjS8_jjjS8_jjjj.has_indirect_call, 0
	.section	.AMDGPU.csdata,"",@progbits
; Kernel info:
; codeLenInByte = 7532
; TotalNumSgprs: 40
; NumVgprs: 90
; ScratchSize: 0
; MemoryBound: 0
; FloatMode: 240
; IeeeMode: 1
; LDSByteSize: 0 bytes/workgroup (compile time only)
; SGPRBlocks: 0
; VGPRBlocks: 11
; NumSGPRsForWavesPerEU: 40
; NumVGPRsForWavesPerEU: 90
; Occupancy: 16
; WaveLimiterHint : 0
; COMPUTE_PGM_RSRC2:SCRATCH_EN: 0
; COMPUTE_PGM_RSRC2:USER_SGPR: 2
; COMPUTE_PGM_RSRC2:TRAP_HANDLER: 0
; COMPUTE_PGM_RSRC2:TGID_X_EN: 1
; COMPUTE_PGM_RSRC2:TGID_Y_EN: 1
; COMPUTE_PGM_RSRC2:TGID_Z_EN: 1
; COMPUTE_PGM_RSRC2:TIDIG_COMP_CNT: 1
	.section	.text._ZL13mul_mat_vec_qIL9ggml_type22ELi1ELb0ELb0EEvPKvS2_PKi31ggml_cuda_mm_fusion_args_devicePfj15HIP_vector_typeIjLj3EEjjjS8_jjjS8_jjjj,"axG",@progbits,_ZL13mul_mat_vec_qIL9ggml_type22ELi1ELb0ELb0EEvPKvS2_PKi31ggml_cuda_mm_fusion_args_devicePfj15HIP_vector_typeIjLj3EEjjjS8_jjjS8_jjjj,comdat
	.globl	_ZL13mul_mat_vec_qIL9ggml_type22ELi1ELb0ELb0EEvPKvS2_PKi31ggml_cuda_mm_fusion_args_devicePfj15HIP_vector_typeIjLj3EEjjjS8_jjjS8_jjjj ; -- Begin function _ZL13mul_mat_vec_qIL9ggml_type22ELi1ELb0ELb0EEvPKvS2_PKi31ggml_cuda_mm_fusion_args_devicePfj15HIP_vector_typeIjLj3EEjjjS8_jjjS8_jjjj
	.p2align	8
	.type	_ZL13mul_mat_vec_qIL9ggml_type22ELi1ELb0ELb0EEvPKvS2_PKi31ggml_cuda_mm_fusion_args_devicePfj15HIP_vector_typeIjLj3EEjjjS8_jjjS8_jjjj,@function
_ZL13mul_mat_vec_qIL9ggml_type22ELi1ELb0ELb0EEvPKvS2_PKi31ggml_cuda_mm_fusion_args_devicePfj15HIP_vector_typeIjLj3EEjjjS8_jjjS8_jjjj: ; @_ZL13mul_mat_vec_qIL9ggml_type22ELi1ELb0ELb0EEvPKvS2_PKi31ggml_cuda_mm_fusion_args_devicePfj15HIP_vector_typeIjLj3EEjjjS8_jjjS8_jjjj
; %bb.0:
	s_clause 0x1
	s_load_b64 s[2:3], s[0:1], 0x10
	s_load_b128 s[8:11], s[0:1], 0x40
	s_and_b32 s15, ttmp7, 0xffff
	s_wait_kmcnt 0x0
	s_cmp_lg_u64 s[2:3], 0
	s_cselect_b32 s12, -1, 0
	s_cmp_eq_u64 s[2:3], 0
	s_cbranch_scc1 .LBB184_13
; %bb.1:
	s_lshl_b32 s4, s15, 2
	s_load_b32 s19, s[2:3], s4 offset:0x0
	s_clause 0x1
	s_load_b128 s[4:7], s[0:1], 0x68
	s_load_b32 s20, s[0:1], 0x50
	s_cbranch_execnz .LBB184_3
.LBB184_2:
	s_load_b64 s[2:3], s[0:1], 0x5c
	s_wait_kmcnt 0x0
	s_mul_hi_u32 s2, s2, s15
	s_delay_alu instid0(SALU_CYCLE_1) | instskip(NEXT) | instid1(SALU_CYCLE_1)
	s_add_co_i32 s2, s15, s2
	s_lshr_b32 s19, s2, s3
.LBB184_3:
	s_load_b32 s21, s[0:1], 0x78
	s_and_not1_b32 vcc_lo, exec_lo, s12
	s_mov_b32 s2, s15
	s_cbranch_vccnz .LBB184_5
; %bb.4:
	s_mul_hi_u32 s2, s9, s15
	s_delay_alu instid0(SALU_CYCLE_1) | instskip(NEXT) | instid1(SALU_CYCLE_1)
	s_add_co_i32 s2, s15, s2
	s_lshr_b32 s2, s2, s10
	s_delay_alu instid0(SALU_CYCLE_1) | instskip(NEXT) | instid1(SALU_CYCLE_1)
	s_mul_i32 s2, s2, s11
	s_sub_co_i32 s2, s15, s2
.LBB184_5:
	s_load_b96 s[12:14], s[0:1], 0x80
	v_bfe_u32 v3, v0, 10, 10
	v_and_b32_e32 v2, 0x3ff, v0
	v_mov_b32_e32 v4, 0
	s_lshr_b32 s18, s8, 8
	s_lshr_b32 s16, ttmp7, 16
	s_mov_b32 s17, exec_lo
	v_lshl_or_b32 v0, v3, 5, v2
	s_delay_alu instid0(VALU_DEP_1) | instskip(NEXT) | instid1(VALU_DEP_1)
	v_lshrrev_b32_e32 v5, 3, v0
	v_cmpx_gt_u32_e64 s18, v5
	s_cbranch_execz .LBB184_9
; %bb.6:
	v_lshrrev_b32_e32 v0, 3, v0
	s_wait_kmcnt 0x0
	s_mul_i32 s2, s2, s5
	s_mov_b32 s3, 0
	v_and_b32_e32 v6, 7, v2
	s_mul_u64 s[8:9], s[2:3], 36
	s_mul_i32 s2, s13, s16
	v_mad_co_u64_u32 v[0:1], null, 0x120, v0, s[8:9]
	s_load_b128 s[8:11], s[0:1], 0x0
	v_dual_mov_b32 v4, 0 :: v_dual_lshlrev_b32 v7, 1, v6
	s_mul_i32 s20, s20, ttmp9
	v_mad_co_u64_u32 v[0:1], null, s2, 36, v[0:1]
	s_mul_hi_u32 s2, s7, s16
	v_lshlrev_b32_e32 v7, 1, v7
	s_wait_alu 0xfffe
	s_add_co_i32 s2, s16, s2
	s_mul_i32 s7, s19, s4
	s_wait_alu 0xfffe
	s_lshr_b32 s2, s2, s21
	v_mad_co_u64_u32 v[0:1], null, v6, 36, v[0:1]
	s_wait_alu 0xfffe
	s_mul_i32 s2, s2, s12
	s_wait_alu 0xfffe
	s_add_co_i32 s2, s2, s20
	s_wait_alu 0xfffe
	s_add_co_i32 s7, s7, s2
	s_wait_kmcnt 0x0
	v_add_co_u32 v0, vcc_lo, s10, v0
	s_delay_alu instid0(VALU_DEP_1) | instskip(NEXT) | instid1(VALU_DEP_2)
	v_add_co_ci_u32_e64 v1, null, s11, v1, vcc_lo
	v_add_co_u32 v0, vcc_lo, v0, 32
	s_wait_alu 0xfffd
	s_delay_alu instid0(VALU_DEP_2)
	v_add_co_ci_u32_e64 v1, null, 0, v1, vcc_lo
.LBB184_7:                              ; =>This Inner Loop Header: Depth=1
	v_add_nc_u32_e32 v8, s7, v5
	s_getpc_b64 s[4:5]
	s_sext_i32_i16 s5, s5
	s_add_co_u32 s4, s4, _ZL9iq2s_grid@rel32@lo+8
	s_add_co_ci_u32 s5, s5, _ZL9iq2s_grid@rel32@hi+16
	v_add_nc_u32_e32 v5, 4, v5
	v_mad_co_i64_i32 v[9:10], null, 0x52, v8, s[8:9]
	s_delay_alu instid0(VALU_DEP_2)
	v_cmp_le_u32_e64 s2, s18, v5
	s_or_b32 s3, s2, s3
	v_add_co_u32 v11, vcc_lo, v9, v7
	s_wait_alu 0xfffd
	v_add_co_ci_u32_e64 v12, null, 0, v10, vcc_lo
	v_add_co_u32 v13, vcc_lo, v9, v6
	s_wait_alu 0xfffd
	v_add_co_ci_u32_e64 v14, null, 0, v10, vcc_lo
	s_clause 0x4
	global_load_b32 v15, v[11:12], off offset:2
	global_load_u8 v16, v[13:14], off offset:66
	global_load_u8 v8, v[13:14], off offset:74
	global_load_b32 v25, v[11:12], off offset:34
	global_load_u16 v26, v[9:10], off
	s_wait_loadcnt 0x4
	v_and_b32_e32 v10, 0xff, v15
	s_wait_loadcnt 0x3
	v_lshlrev_b32_e32 v11, 8, v16
	v_bfe_u32 v12, v15, 8, 8
	v_lshlrev_b32_e32 v13, 6, v16
	v_lshrrev_b32_e32 v9, 24, v15
	v_bfe_u32 v14, v15, 16, 8
	v_lshlrev_b32_e32 v15, 4, v16
	v_lshlrev_b32_e32 v16, 2, v16
	v_and_or_b32 v10, 0x300, v11, v10
	v_and_or_b32 v11, 0x300, v13, v12
	s_wait_loadcnt 0x1
	v_and_b32_e32 v29, 0xff, v25
	v_and_or_b32 v12, 0x300, v15, v14
	v_and_or_b32 v9, 0x300, v16, v9
	v_lshlrev_b32_e32 v10, 3, v10
	v_lshlrev_b32_e32 v11, 3, v11
	;; [unrolled: 1-line block ×5, first 2 shown]
	s_clause 0x3
	global_load_b64 v[17:18], v10, s[4:5]
	global_load_b64 v[19:20], v11, s[4:5]
	;; [unrolled: 1-line block ×4, first 2 shown]
	s_clause 0x2
	global_load_b128 v[9:12], v[0:1], off offset:-32
	global_load_b128 v[13:16], v[0:1], off offset:-16
	global_load_b32 v27, v[0:1], off
	v_lshrrev_b32_e32 v28, 16, v25
	v_lshlrev_b32_e32 v32, 17, v25
	v_lshrrev_b32_e32 v33, 6, v25
	v_lshrrev_b32_e32 v34, 1, v25
	;; [unrolled: 1-line block ×13, first 2 shown]
	v_lshl_or_b32 v30, v29, 7, v30
	v_lshrrev_b32_e32 v41, 18, v25
	v_lshrrev_b32_e32 v43, 22, v25
	;; [unrolled: 1-line block ×3, first 2 shown]
	v_lshl_or_b32 v29, v29, 3, v32
	v_bfe_i32 v32, v33, 0, 1
	v_and_b32_e32 v33, 0x180, v34
	v_bfe_i32 v34, v35, 0, 1
	v_bfe_i32 v35, v36, 0, 1
	v_and_b32_e32 v36, 0x180, v37
	v_bfe_i32 v37, v38, 0, 1
	v_bfe_i32 v38, v39, 0, 1
	v_lshl_or_b32 v39, v28, 21, v40
	v_lshl_or_b32 v28, v28, 17, v42
	v_and_or_b32 v42, 0x1fe00000, v45, v44
	v_lshrrev_b16 v44, 8, v47
	v_lshrrev_b16 v45, 7, v47
	v_cmp_ne_u16_e32 vcc_lo, 0, v48
	v_and_b32_e32 v47, 0x1800180, v30
	v_bfe_u32 v30, v30, 24, 1
	v_bfe_i32 v40, v41, 0, 1
	v_bfe_i32 v41, v43, 0, 1
	v_bfe_i32 v43, v46, 0, 1
	s_wait_alu 0xfffd
	v_cndmask_b32_e64 v46, 0, -1, vcc_lo
	v_and_b32_e32 v49, 0x1800180, v29
	v_bfe_u32 v29, v29, 24, 1
	v_cmp_ne_u16_e32 vcc_lo, 0, v30
	v_lshrrev_b16 v51, 8, v33
	v_lshrrev_b16 v53, 8, v36
	v_and_b32_e32 v55, 0x1800180, v39
	v_bfe_u32 v39, v39, 24, 1
	s_wait_alu 0xfffd
	v_cndmask_b32_e64 v30, 0, -1, vcc_lo
	v_cmp_ne_u16_e32 vcc_lo, 0, v29
	v_and_b32_e32 v57, 0x1800180, v28
	v_bfe_u32 v28, v28, 24, 1
	v_and_b32_e32 v59, 0x1800180, v42
	v_bfe_u32 v42, v42, 24, 1
	s_wait_alu 0xfffd
	v_cndmask_b32_e64 v29, 0, -1, vcc_lo
	v_cmp_ne_u16_e32 vcc_lo, 0, v51
	v_lshrrev_b16 v62, 8, v47
	v_lshrrev_b16 v63, 8, v49
	v_lshrrev_b16 v64, 8, v55
	v_lshrrev_b32_e32 v31, 2, v25
	s_wait_alu 0xfffd
	v_cndmask_b32_e64 v51, 0, -1, vcc_lo
	v_cmp_ne_u16_e32 vcc_lo, 0, v53
	v_lshrrev_b32_e32 v25, 30, v25
	v_lshrrev_b16 v33, 7, v33
	v_lshrrev_b16 v65, 8, v57
	;; [unrolled: 1-line block ×3, first 2 shown]
	s_wait_alu 0xfffd
	v_cndmask_b32_e64 v53, 0, -1, vcc_lo
	v_cmp_ne_u16_e32 vcc_lo, 0, v39
	v_bfe_i32 v25, v25, 0, 1
	v_bfe_i32 v44, v44, 0, 1
	;; [unrolled: 1-line block ×3, first 2 shown]
	v_lshrrev_b16 v47, 7, v47
	s_wait_alu 0xfffd
	v_cndmask_b32_e64 v39, 0, -1, vcc_lo
	v_cmp_ne_u16_e32 vcc_lo, 0, v28
	v_bfe_i32 v33, v33, 0, 1
	v_lshrrev_b16 v55, 7, v55
	v_lshrrev_b16 v66, 8, v59
	v_bfe_i32 v31, v31, 0, 1
	s_wait_alu 0xfffd
	v_cndmask_b32_e64 v28, 0, -1, vcc_lo
	v_cmp_ne_u16_e32 vcc_lo, 0, v42
	v_lshlrev_b16 v34, 8, v34
	v_and_b32_e32 v52, 0xff, v35
	v_and_b32_e32 v61, 0xff, v25
	v_lshlrev_b16 v46, 8, v46
	s_wait_alu 0xfffd
	v_cndmask_b32_e64 v42, 0, -1, vcc_lo
	v_cmp_ne_u16_e32 vcc_lo, 0, v62
	v_lshrrev_b16 v49, 7, v49
	v_bfe_i32 v36, v36, 0, 1
	v_lshrrev_b16 v57, 7, v57
	v_lshrrev_b16 v59, 7, v59
	s_wait_alu 0xfffd
	v_cndmask_b32_e64 v62, 0, -1, vcc_lo
	v_cmp_ne_u16_e32 vcc_lo, 0, v63
	v_lshlrev_b16 v44, 8, v44
	v_and_b32_e32 v67, 0xff, v45
	v_bfe_i32 v47, v47, 0, 1
	v_and_b32_e32 v68, 0xff, v33
	s_wait_alu 0xfffd
	v_cndmask_b32_e64 v63, 0, -1, vcc_lo
	v_cmp_ne_u16_e32 vcc_lo, 0, v64
	v_lshlrev_b16 v51, 8, v51
	v_bfe_i32 v55, v55, 0, 1
	v_and_b32_e32 v48, 0xff, v31
	v_lshlrev_b16 v37, 8, v37
	s_wait_alu 0xfffd
	v_cndmask_b32_e64 v64, 0, -1, vcc_lo
	v_cmp_ne_u16_e32 vcc_lo, 0, v65
	v_and_b32_e32 v54, 0xff, v38
	v_and_b32_e32 v56, 0xff, v40
	v_or_b32_e32 v52, v52, v34
	v_or_b32_e32 v61, v61, v46
	s_wait_alu 0xfffd
	v_cndmask_b32_e64 v65, 0, -1, vcc_lo
	v_cmp_ne_u16_e32 vcc_lo, 0, v66
	v_lshlrev_b16 v30, 8, v30
	v_bfe_i32 v49, v49, 0, 1
	v_and_b32_e32 v69, 0xff, v36
	v_lshlrev_b16 v53, 8, v53
	v_lshlrev_b16 v39, 8, v39
	v_bfe_i32 v57, v57, 0, 1
	v_bfe_i32 v59, v59, 0, 1
	s_wait_alu 0xfffd
	v_cndmask_b32_e64 v66, 0, -1, vcc_lo
	v_or_b32_e32 v67, v67, v44
	v_and_b32_e32 v70, 0xff, v47
	v_lshlrev_b16 v62, 8, v62
	v_or_b32_e32 v68, v68, v51
	v_and_b32_e32 v72, 0xff, v55
	v_lshlrev_b16 v64, 8, v64
	v_and_b32_e32 v50, 0xff, v32
	v_and_b32_e32 v58, 0xff, v41
	;; [unrolled: 1-line block ×3, first 2 shown]
	v_or_b32_e32 v54, v54, v37
	v_lshlrev_b16 v29, 8, v29
	v_lshlrev_b32_e32 v52, 16, v52
	v_lshlrev_b16 v28, 8, v28
	v_lshlrev_b16 v42, 8, v42
	v_lshlrev_b32_e32 v61, 16, v61
	v_or_b32_e32 v48, v48, v30
	v_and_b32_e32 v71, 0xff, v49
	v_lshlrev_b16 v63, 8, v63
	v_or_b32_e32 v69, v69, v53
	v_or_b32_e32 v56, v56, v39
	v_and_b32_e32 v73, 0xff, v57
	v_lshlrev_b16 v65, 8, v65
	v_and_b32_e32 v74, 0xff, v59
	v_lshlrev_b16 v66, 8, v66
	v_and_b32_e32 v67, 0xffff, v67
	v_or_b32_e32 v70, v70, v62
	v_and_b32_e32 v68, 0xffff, v68
	v_or_b32_e32 v72, v72, v64
	v_lshlrev_b32_e32 v54, 16, v54
	v_or_b32_e32 v50, v50, v29
	v_or_b32_e32 v58, v58, v28
	;; [unrolled: 1-line block ×3, first 2 shown]
	v_lshlrev_b32_e32 v48, 16, v48
	v_or_b32_e32 v71, v71, v63
	v_and_b32_e32 v69, 0xffff, v69
	v_lshlrev_b32_e32 v56, 16, v56
	v_or_b32_e32 v73, v73, v65
	v_or_b32_e32 v74, v74, v66
	;; [unrolled: 1-line block ×3, first 2 shown]
	v_and_b32_e32 v67, 0xffff, v70
	v_or_b32_e32 v52, v68, v52
	v_and_b32_e32 v68, 0xffff, v72
	v_lshlrev_b32_e32 v50, 16, v50
	v_lshlrev_b32_e32 v58, 16, v58
	;; [unrolled: 1-line block ×3, first 2 shown]
	v_and_b32_e32 v70, 0xffff, v71
	v_or_b32_e32 v54, v69, v54
	v_and_b32_e32 v69, 0xffff, v73
	v_and_b32_e32 v71, 0xffff, v74
	v_or_b32_e32 v48, v67, v48
	v_or_b32_e32 v56, v68, v56
	v_or_b32_e32 v50, v70, v50
	v_or_b32_e32 v58, v69, v58
	v_or_b32_e32 v60, v71, v60
	v_lshlrev_b16 v33, 8, v33
	v_lshlrev_b16 v36, 8, v36
	;; [unrolled: 1-line block ×16, first 2 shown]
	v_add_co_u32 v0, vcc_lo, 0x480, v0
	s_wait_alu 0xfffd
	v_add_co_ci_u32_e64 v1, null, 0, v1, vcc_lo
	s_wait_loadcnt 0x6
	v_xor_b32_e32 v17, v17, v48
	s_wait_loadcnt 0x5
	v_xor_b32_e32 v19, v19, v52
	v_xor_b32_e32 v20, v20, v54
	s_wait_loadcnt 0x4
	v_xor_b32_e32 v21, v21, v56
	v_xor_b32_e32 v18, v18, v50
	;; [unrolled: 1-line block ×3, first 2 shown]
	s_wait_loadcnt 0x3
	v_xor_b32_e32 v23, v23, v60
	v_xor_b32_e32 v24, v24, v61
	v_lshrrev_b32_e32 v48, 16, v17
	v_and_b32_e32 v50, 0xffffff00, v17
	v_lshlrev_b16 v17, 8, v17
	v_lshrrev_b32_e32 v56, 16, v19
	v_and_b32_e32 v58, 0xffffff00, v19
	v_lshlrev_b16 v19, 8, v19
	;; [unrolled: 3-line block ×6, first 2 shown]
	v_sub_nc_i16 v17, v17, v47 clamp
	v_and_b32_e32 v47, 0xffffff00, v48
	v_lshlrev_b16 v48, 8, v48
	v_sub_nc_i16 v51, v58, v51 clamp
	v_sub_nc_i16 v19, v19, v33 clamp
	v_and_b32_e32 v33, 0xffffff00, v56
	v_lshlrev_b16 v56, 8, v56
	v_sub_nc_i16 v53, v61, v53 clamp
	v_sub_nc_i16 v20, v20, v36 clamp
	v_and_b32_e32 v36, 0xffffff00, v60
	v_lshlrev_b16 v58, 8, v60
	v_sub_nc_i16 v21, v21, v55 clamp
	v_and_b32_e32 v55, 0xffffff00, v67
	v_lshlrev_b16 v61, 8, v67
	v_lshrrev_b32_e32 v71, 16, v23
	v_and_b32_e32 v72, 0xffffff00, v23
	v_lshlrev_b16 v23, 8, v23
	v_sub_nc_i16 v50, v50, v62 clamp
	v_sub_nc_i16 v54, v54, v63 clamp
	v_sub_nc_i16 v18, v18, v49 clamp
	v_and_b32_e32 v49, 0xffffff00, v52
	v_lshlrev_b16 v52, 8, v52
	v_sub_nc_i16 v60, v68, v64 clamp
	v_sub_nc_i16 v22, v22, v57 clamp
	v_and_b32_e32 v57, 0xffffff00, v69
	v_lshlrev_b16 v63, 8, v69
	v_sub_nc_i16 v30, v47, v30 clamp
	v_sub_nc_i16 v31, v48, v31 clamp
	;; [unrolled: 1-line block ×8, first 2 shown]
	v_lshrrev_b32_e32 v73, 16, v24
	v_and_b32_e32 v74, 0xffffff00, v24
	v_lshlrev_b16 v24, 8, v24
	v_sub_nc_i16 v62, v70, v65 clamp
	v_sub_nc_i16 v23, v23, v59 clamp
	v_and_b32_e32 v59, 0xffffff00, v71
	v_lshlrev_b16 v65, 8, v71
	v_perm_b32 v17, v17, v50, 0xc0c0105
	v_sub_nc_i16 v29, v49, v29 clamp
	v_sub_nc_i16 v32, v52, v32 clamp
	v_perm_b32 v21, v21, v60, 0xc0c0105
	v_sub_nc_i16 v28, v57, v28 clamp
	v_sub_nc_i16 v39, v63, v41 clamp
	v_perm_b32 v30, v31, v30, 0xc0c0105
	v_perm_b32 v31, v34, v33, 0xc0c0105
	;; [unrolled: 1-line block ×3, first 2 shown]
	v_sub_nc_i16 v64, v72, v66 clamp
	v_sub_nc_i16 v24, v24, v45 clamp
	v_and_b32_e32 v45, 0xffffff00, v73
	v_lshlrev_b16 v66, 8, v73
	v_perm_b32 v18, v18, v54, 0xc0c0105
	v_perm_b32 v22, v22, v62, 0xc0c0105
	v_sub_nc_i16 v40, v59, v42 clamp
	v_sub_nc_i16 v41, v65, v43 clamp
	v_perm_b32 v29, v32, v29, 0xc0c0105
	v_perm_b32 v28, v39, v28, 0xc0c0105
	v_lshl_or_b32 v17, v30, 16, v17
	v_lshl_or_b32 v21, v33, 16, v21
	v_sub_nc_i16 v44, v74, v44 clamp
	v_perm_b32 v19, v19, v51, 0xc0c0105
	v_perm_b32 v23, v23, v64, 0xc0c0105
	v_sub_nc_i16 v42, v45, v46 clamp
	v_sub_nc_i16 v25, v66, v25 clamp
	v_perm_b32 v34, v41, v40, 0xc0c0105
	v_lshl_or_b32 v18, v29, 16, v18
	v_lshl_or_b32 v22, v28, 16, v22
	s_wait_loadcnt 0x2
	v_dot4_i32_iu8 v10, v17, v10, 0 neg_lo:[1,1,0]
	s_wait_loadcnt 0x1
	v_dot4_i32_iu8 v14, v21, v14, 0 neg_lo:[1,1,0]
	v_perm_b32 v20, v20, v53, 0xc0c0105
	v_perm_b32 v24, v24, v44, 0xc0c0105
	v_perm_b32 v32, v36, v35, 0xc0c0105
	v_perm_b32 v25, v25, v42, 0xc0c0105
	v_lshl_or_b32 v17, v31, 16, v19
	v_lshl_or_b32 v19, v34, 16, v23
	v_dot4_i32_iu8 v10, v18, v11, v10 neg_lo:[1,1,0]
	v_dot4_i32_iu8 v11, v22, v15, v14 neg_lo:[1,1,0]
	v_lshl_or_b32 v14, v32, 16, v20
	v_lshl_or_b32 v15, v25, 16, v24
	v_cvt_f32_f16_e32 v9, v9
	v_dot4_i32_iu8 v10, v17, v12, v10 neg_lo:[1,1,0]
	v_dot4_i32_iu8 v11, v19, v16, v11 neg_lo:[1,1,0]
	s_delay_alu instid0(VALU_DEP_2) | instskip(SKIP_1) | instid1(VALU_DEP_2)
	v_dot4_i32_iu8 v10, v14, v13, v10 neg_lo:[1,1,0]
	s_wait_loadcnt 0x0
	v_dot4_i32_iu8 v11, v15, v27, v11 neg_lo:[1,1,0]
	v_and_b32_e32 v13, 15, v8
	v_lshrrev_b32_e32 v8, 4, v8
	s_delay_alu instid0(VALU_DEP_3) | instskip(NEXT) | instid1(VALU_DEP_3)
	v_add_nc_u32_e32 v12, v11, v10
	v_mul_lo_u32 v10, v10, v13
	s_delay_alu instid0(VALU_DEP_3) | instskip(NEXT) | instid1(VALU_DEP_3)
	v_mul_lo_u32 v8, v11, v8
	v_lshrrev_b32_e32 v14, 31, v12
	s_delay_alu instid0(VALU_DEP_1) | instskip(NEXT) | instid1(VALU_DEP_1)
	v_add_nc_u32_e32 v12, v12, v14
	v_ashrrev_i32_e32 v11, 1, v12
	s_delay_alu instid0(VALU_DEP_1) | instskip(NEXT) | instid1(VALU_DEP_1)
	v_add3_u32 v8, v8, v10, v11
	v_ashrrev_i32_e32 v10, 31, v8
	s_delay_alu instid0(VALU_DEP_1) | instskip(NEXT) | instid1(VALU_DEP_1)
	v_lshrrev_b32_e32 v10, 30, v10
	v_add_nc_u32_e32 v8, v8, v10
	v_cvt_f32_f16_e32 v10, v26
	s_delay_alu instid0(VALU_DEP_2) | instskip(NEXT) | instid1(VALU_DEP_2)
	v_ashrrev_i32_e32 v8, 2, v8
	v_mul_f32_e32 v9, v10, v9
	s_delay_alu instid0(VALU_DEP_2) | instskip(NEXT) | instid1(VALU_DEP_1)
	v_cvt_f32_i32_e32 v8, v8
	v_fmac_f32_e32 v4, v9, v8
	s_wait_alu 0xfffe
	s_and_not1_b32 exec_lo, exec_lo, s3
	s_cbranch_execnz .LBB184_7
; %bb.8:
	s_or_b32 exec_lo, exec_lo, s3
.LBB184_9:
	s_delay_alu instid0(SALU_CYCLE_1)
	s_or_b32 exec_lo, exec_lo, s17
	; wave barrier
	global_inv scope:SCOPE_SE
	s_mov_b32 s2, exec_lo
	v_cmpx_eq_u32_e32 0, v3
	s_cbranch_execz .LBB184_12
; %bb.10:
	v_mbcnt_lo_u32_b32 v0, -1, 0
	s_delay_alu instid0(VALU_DEP_1) | instskip(SKIP_1) | instid1(VALU_DEP_2)
	v_xor_b32_e32 v1, 16, v0
	v_xor_b32_e32 v3, 8, v0
	v_cmp_gt_i32_e32 vcc_lo, 32, v1
	s_wait_alu 0xfffd
	v_cndmask_b32_e32 v1, v0, v1, vcc_lo
	s_delay_alu instid0(VALU_DEP_3) | instskip(NEXT) | instid1(VALU_DEP_2)
	v_cmp_gt_i32_e32 vcc_lo, 32, v3
	v_lshlrev_b32_e32 v1, 2, v1
	s_wait_alu 0xfffd
	v_cndmask_b32_e32 v3, v0, v3, vcc_lo
	ds_bpermute_b32 v1, v1, v4
	v_lshlrev_b32_e32 v3, 2, v3
	s_wait_dscnt 0x0
	v_add_f32_e32 v1, v4, v1
	v_xor_b32_e32 v4, 4, v0
	ds_bpermute_b32 v3, v3, v1
	v_cmp_gt_i32_e32 vcc_lo, 32, v4
	s_wait_alu 0xfffd
	v_cndmask_b32_e32 v4, v0, v4, vcc_lo
	s_wait_dscnt 0x0
	s_delay_alu instid0(VALU_DEP_1) | instskip(SKIP_2) | instid1(VALU_DEP_1)
	v_dual_add_f32 v1, v1, v3 :: v_dual_lshlrev_b32 v4, 2, v4
	ds_bpermute_b32 v3, v4, v1
	v_xor_b32_e32 v4, 2, v0
	v_cmp_gt_i32_e32 vcc_lo, 32, v4
	s_wait_alu 0xfffd
	v_cndmask_b32_e32 v4, v0, v4, vcc_lo
	s_wait_dscnt 0x0
	s_delay_alu instid0(VALU_DEP_1) | instskip(SKIP_2) | instid1(VALU_DEP_1)
	v_dual_add_f32 v1, v1, v3 :: v_dual_lshlrev_b32 v4, 2, v4
	ds_bpermute_b32 v3, v4, v1
	v_xor_b32_e32 v4, 1, v0
	v_cmp_gt_i32_e32 vcc_lo, 32, v4
	s_wait_alu 0xfffd
	v_cndmask_b32_e32 v0, v0, v4, vcc_lo
	v_cmp_eq_u32_e32 vcc_lo, 0, v2
	s_delay_alu instid0(VALU_DEP_2)
	v_lshlrev_b32_e32 v4, 2, v0
	s_wait_dscnt 0x0
	v_add_f32_e32 v0, v1, v3
	ds_bpermute_b32 v1, v4, v0
	s_and_b32 exec_lo, exec_lo, vcc_lo
	s_cbranch_execz .LBB184_12
; %bb.11:
	s_load_b64 s[0:1], s[0:1], 0x38
	s_wait_kmcnt 0x0
	s_mul_i32 s2, s6, s15
	s_mul_i32 s3, s14, s16
	s_wait_alu 0xfffe
	s_add_co_i32 s2, s2, ttmp9
	s_wait_dscnt 0x0
	v_dual_add_f32 v0, v0, v1 :: v_dual_mov_b32 v1, 0
	s_wait_alu 0xfffe
	s_add_co_i32 s2, s2, s3
	s_mov_b32 s3, 0
	s_wait_alu 0xfffe
	s_lshl_b64 s[2:3], s[2:3], 2
	s_wait_alu 0xfffe
	s_add_nc_u64 s[0:1], s[0:1], s[2:3]
	global_store_b32 v1, v0, s[0:1]
.LBB184_12:
	s_endpgm
.LBB184_13:
                                        ; implicit-def: $sgpr19
	s_clause 0x1
	s_load_b128 s[4:7], s[0:1], 0x68
	s_load_b32 s20, s[0:1], 0x50
	s_branch .LBB184_2
	.section	.rodata,"a",@progbits
	.p2align	6, 0x0
	.amdhsa_kernel _ZL13mul_mat_vec_qIL9ggml_type22ELi1ELb0ELb0EEvPKvS2_PKi31ggml_cuda_mm_fusion_args_devicePfj15HIP_vector_typeIjLj3EEjjjS8_jjjS8_jjjj
		.amdhsa_group_segment_fixed_size 0
		.amdhsa_private_segment_fixed_size 0
		.amdhsa_kernarg_size 144
		.amdhsa_user_sgpr_count 2
		.amdhsa_user_sgpr_dispatch_ptr 0
		.amdhsa_user_sgpr_queue_ptr 0
		.amdhsa_user_sgpr_kernarg_segment_ptr 1
		.amdhsa_user_sgpr_dispatch_id 0
		.amdhsa_user_sgpr_private_segment_size 0
		.amdhsa_wavefront_size32 1
		.amdhsa_uses_dynamic_stack 0
		.amdhsa_enable_private_segment 0
		.amdhsa_system_sgpr_workgroup_id_x 1
		.amdhsa_system_sgpr_workgroup_id_y 1
		.amdhsa_system_sgpr_workgroup_id_z 1
		.amdhsa_system_sgpr_workgroup_info 0
		.amdhsa_system_vgpr_workitem_id 1
		.amdhsa_next_free_vgpr 75
		.amdhsa_next_free_sgpr 22
		.amdhsa_reserve_vcc 1
		.amdhsa_float_round_mode_32 0
		.amdhsa_float_round_mode_16_64 0
		.amdhsa_float_denorm_mode_32 3
		.amdhsa_float_denorm_mode_16_64 3
		.amdhsa_fp16_overflow 0
		.amdhsa_workgroup_processor_mode 1
		.amdhsa_memory_ordered 1
		.amdhsa_forward_progress 1
		.amdhsa_inst_pref_size 28
		.amdhsa_round_robin_scheduling 0
		.amdhsa_exception_fp_ieee_invalid_op 0
		.amdhsa_exception_fp_denorm_src 0
		.amdhsa_exception_fp_ieee_div_zero 0
		.amdhsa_exception_fp_ieee_overflow 0
		.amdhsa_exception_fp_ieee_underflow 0
		.amdhsa_exception_fp_ieee_inexact 0
		.amdhsa_exception_int_div_zero 0
	.end_amdhsa_kernel
	.section	.text._ZL13mul_mat_vec_qIL9ggml_type22ELi1ELb0ELb0EEvPKvS2_PKi31ggml_cuda_mm_fusion_args_devicePfj15HIP_vector_typeIjLj3EEjjjS8_jjjS8_jjjj,"axG",@progbits,_ZL13mul_mat_vec_qIL9ggml_type22ELi1ELb0ELb0EEvPKvS2_PKi31ggml_cuda_mm_fusion_args_devicePfj15HIP_vector_typeIjLj3EEjjjS8_jjjS8_jjjj,comdat
.Lfunc_end184:
	.size	_ZL13mul_mat_vec_qIL9ggml_type22ELi1ELb0ELb0EEvPKvS2_PKi31ggml_cuda_mm_fusion_args_devicePfj15HIP_vector_typeIjLj3EEjjjS8_jjjS8_jjjj, .Lfunc_end184-_ZL13mul_mat_vec_qIL9ggml_type22ELi1ELb0ELb0EEvPKvS2_PKi31ggml_cuda_mm_fusion_args_devicePfj15HIP_vector_typeIjLj3EEjjjS8_jjjS8_jjjj
                                        ; -- End function
	.set _ZL13mul_mat_vec_qIL9ggml_type22ELi1ELb0ELb0EEvPKvS2_PKi31ggml_cuda_mm_fusion_args_devicePfj15HIP_vector_typeIjLj3EEjjjS8_jjjS8_jjjj.num_vgpr, 75
	.set _ZL13mul_mat_vec_qIL9ggml_type22ELi1ELb0ELb0EEvPKvS2_PKi31ggml_cuda_mm_fusion_args_devicePfj15HIP_vector_typeIjLj3EEjjjS8_jjjS8_jjjj.num_agpr, 0
	.set _ZL13mul_mat_vec_qIL9ggml_type22ELi1ELb0ELb0EEvPKvS2_PKi31ggml_cuda_mm_fusion_args_devicePfj15HIP_vector_typeIjLj3EEjjjS8_jjjS8_jjjj.numbered_sgpr, 22
	.set _ZL13mul_mat_vec_qIL9ggml_type22ELi1ELb0ELb0EEvPKvS2_PKi31ggml_cuda_mm_fusion_args_devicePfj15HIP_vector_typeIjLj3EEjjjS8_jjjS8_jjjj.num_named_barrier, 0
	.set _ZL13mul_mat_vec_qIL9ggml_type22ELi1ELb0ELb0EEvPKvS2_PKi31ggml_cuda_mm_fusion_args_devicePfj15HIP_vector_typeIjLj3EEjjjS8_jjjS8_jjjj.private_seg_size, 0
	.set _ZL13mul_mat_vec_qIL9ggml_type22ELi1ELb0ELb0EEvPKvS2_PKi31ggml_cuda_mm_fusion_args_devicePfj15HIP_vector_typeIjLj3EEjjjS8_jjjS8_jjjj.uses_vcc, 1
	.set _ZL13mul_mat_vec_qIL9ggml_type22ELi1ELb0ELb0EEvPKvS2_PKi31ggml_cuda_mm_fusion_args_devicePfj15HIP_vector_typeIjLj3EEjjjS8_jjjS8_jjjj.uses_flat_scratch, 0
	.set _ZL13mul_mat_vec_qIL9ggml_type22ELi1ELb0ELb0EEvPKvS2_PKi31ggml_cuda_mm_fusion_args_devicePfj15HIP_vector_typeIjLj3EEjjjS8_jjjS8_jjjj.has_dyn_sized_stack, 0
	.set _ZL13mul_mat_vec_qIL9ggml_type22ELi1ELb0ELb0EEvPKvS2_PKi31ggml_cuda_mm_fusion_args_devicePfj15HIP_vector_typeIjLj3EEjjjS8_jjjS8_jjjj.has_recursion, 0
	.set _ZL13mul_mat_vec_qIL9ggml_type22ELi1ELb0ELb0EEvPKvS2_PKi31ggml_cuda_mm_fusion_args_devicePfj15HIP_vector_typeIjLj3EEjjjS8_jjjS8_jjjj.has_indirect_call, 0
	.section	.AMDGPU.csdata,"",@progbits
; Kernel info:
; codeLenInByte = 3508
; TotalNumSgprs: 24
; NumVgprs: 75
; ScratchSize: 0
; MemoryBound: 0
; FloatMode: 240
; IeeeMode: 1
; LDSByteSize: 0 bytes/workgroup (compile time only)
; SGPRBlocks: 0
; VGPRBlocks: 9
; NumSGPRsForWavesPerEU: 24
; NumVGPRsForWavesPerEU: 75
; Occupancy: 16
; WaveLimiterHint : 0
; COMPUTE_PGM_RSRC2:SCRATCH_EN: 0
; COMPUTE_PGM_RSRC2:USER_SGPR: 2
; COMPUTE_PGM_RSRC2:TRAP_HANDLER: 0
; COMPUTE_PGM_RSRC2:TGID_X_EN: 1
; COMPUTE_PGM_RSRC2:TGID_Y_EN: 1
; COMPUTE_PGM_RSRC2:TGID_Z_EN: 1
; COMPUTE_PGM_RSRC2:TIDIG_COMP_CNT: 1
	.section	.text._ZL13mul_mat_vec_qIL9ggml_type22ELi2ELb0ELb0EEvPKvS2_PKi31ggml_cuda_mm_fusion_args_devicePfj15HIP_vector_typeIjLj3EEjjjS8_jjjS8_jjjj,"axG",@progbits,_ZL13mul_mat_vec_qIL9ggml_type22ELi2ELb0ELb0EEvPKvS2_PKi31ggml_cuda_mm_fusion_args_devicePfj15HIP_vector_typeIjLj3EEjjjS8_jjjS8_jjjj,comdat
	.globl	_ZL13mul_mat_vec_qIL9ggml_type22ELi2ELb0ELb0EEvPKvS2_PKi31ggml_cuda_mm_fusion_args_devicePfj15HIP_vector_typeIjLj3EEjjjS8_jjjS8_jjjj ; -- Begin function _ZL13mul_mat_vec_qIL9ggml_type22ELi2ELb0ELb0EEvPKvS2_PKi31ggml_cuda_mm_fusion_args_devicePfj15HIP_vector_typeIjLj3EEjjjS8_jjjS8_jjjj
	.p2align	8
	.type	_ZL13mul_mat_vec_qIL9ggml_type22ELi2ELb0ELb0EEvPKvS2_PKi31ggml_cuda_mm_fusion_args_devicePfj15HIP_vector_typeIjLj3EEjjjS8_jjjS8_jjjj,@function
_ZL13mul_mat_vec_qIL9ggml_type22ELi2ELb0ELb0EEvPKvS2_PKi31ggml_cuda_mm_fusion_args_devicePfj15HIP_vector_typeIjLj3EEjjjS8_jjjS8_jjjj: ; @_ZL13mul_mat_vec_qIL9ggml_type22ELi2ELb0ELb0EEvPKvS2_PKi31ggml_cuda_mm_fusion_args_devicePfj15HIP_vector_typeIjLj3EEjjjS8_jjjS8_jjjj
; %bb.0:
	s_clause 0x5
	s_load_b96 s[16:18], s[0:1], 0x80
	s_load_b32 s2, s[0:1], 0x40
	s_load_b128 s[4:7], s[0:1], 0x50
	s_load_b32 s23, s[0:1], 0x60
	s_load_b128 s[8:11], s[0:1], 0x68
	s_load_b32 s24, s[0:1], 0x78
	v_bfe_u32 v6, v0, 10, 10
	v_dual_mov_b32 v5, 0 :: v_dual_and_b32 v4, 0x3ff, v0
	v_mov_b32_e32 v8, 0
	s_and_b32 s19, ttmp7, 0xffff
	s_lshr_b32 s20, ttmp7, 16
	s_delay_alu instid0(VALU_DEP_2) | instskip(SKIP_1) | instid1(VALU_DEP_1)
	v_lshl_or_b32 v0, v6, 5, v4
	s_mov_b32 s22, exec_lo
	v_lshrrev_b32_e32 v7, 3, v0
	s_wait_kmcnt 0x0
	s_lshr_b32 s21, s2, 8
	s_delay_alu instid0(VALU_DEP_1) | instid1(SALU_CYCLE_1)
	v_cmpx_gt_u32_e64 s21, v7
	s_cbranch_execz .LBB185_4
; %bb.1:
	v_lshl_add_u32 v0, v6, 5, v4
	s_mov_b32 s3, 0
	s_mul_i32 s12, s9, s19
	s_mov_b32 s13, s3
	s_mul_i32 s2, s17, s20
	v_lshrrev_b32_e32 v0, 3, v0
	s_mul_u64 s[26:27], s[12:13], 36
	s_load_b128 s[12:15], s[0:1], 0x0
	v_and_b32_e32 v9, 7, v4
	v_mov_b32_e32 v5, 0
	v_mad_co_u64_u32 v[0:1], null, 0x120, v0, s[26:27]
	s_mul_i32 s9, s4, ttmp9
	v_lshlrev_b32_e32 v8, 1, v9
	s_mul_hi_u32 s4, s7, s19
	s_mul_hi_u32 s7, s11, s20
	v_lshl_add_u32 v10, v7, 3, s5
	s_add_co_i32 s11, s19, s4
	v_mad_co_u64_u32 v[0:1], null, s2, 36, v[0:1]
	v_dual_mov_b32 v8, 0 :: v_dual_lshlrev_b32 v11, 1, v8
	s_mul_u64 s[4:5], s[2:3], 36
	s_add_co_i32 s7, s20, s7
	s_lshr_b32 s2, s11, s23
	s_lshr_b32 s7, s7, s24
	s_delay_alu instid0(VALU_DEP_2)
	v_mad_co_u64_u32 v[0:1], null, v9, 36, v[0:1]
	s_wait_kmcnt 0x0
	s_wait_alu 0xfffe
	s_add_nc_u64 s[4:5], s[14:15], s[4:5]
	s_mul_i32 s2, s2, s8
	s_wait_alu 0xfffe
	s_add_nc_u64 s[4:5], s[4:5], s[26:27]
	s_mul_i32 s7, s7, s16
	s_add_co_i32 s2, s2, s9
	s_wait_alu 0xfffe
	s_add_co_i32 s7, s7, s2
	v_add_co_u32 v2, vcc_lo, s14, v0
	s_delay_alu instid0(VALU_DEP_1) | instskip(SKIP_1) | instid1(VALU_DEP_3)
	v_add_co_ci_u32_e64 v3, null, s15, v1, vcc_lo
	v_mad_co_u64_u32 v[0:1], null, v9, 36, s[4:5]
	v_add_co_u32 v2, vcc_lo, v2, 32
	s_wait_alu 0xfffd
	s_delay_alu instid0(VALU_DEP_3)
	v_add_co_ci_u32_e64 v3, null, 0, v3, vcc_lo
.LBB185_2:                              ; =>This Inner Loop Header: Depth=1
	v_add_nc_u32_e32 v12, s7, v7
	s_getpc_b64 s[4:5]
	s_wait_alu 0xfffe
	s_sext_i32_i16 s5, s5
	s_add_co_u32 s4, s4, _ZL9iq2s_grid@rel32@lo+12
	s_wait_alu 0xfffe
	s_add_co_ci_u32 s5, s5, _ZL9iq2s_grid@rel32@hi+24
	v_mad_co_u64_u32 v[37:38], null, v10, 36, v[0:1]
	v_add_nc_u32_e32 v7, 4, v7
	v_mad_co_i64_i32 v[13:14], null, 0x52, v12, s[12:13]
	v_add_nc_u32_e32 v10, 32, v10
	s_delay_alu instid0(VALU_DEP_3) | instskip(NEXT) | instid1(VALU_DEP_3)
	v_cmp_le_u32_e64 s2, s21, v7
	v_add_co_u32 v15, vcc_lo, v13, v11
	s_wait_alu 0xfffd
	s_delay_alu instid0(VALU_DEP_4)
	v_add_co_ci_u32_e64 v16, null, 0, v14, vcc_lo
	v_add_co_u32 v17, vcc_lo, v13, v9
	s_wait_alu 0xfffd
	v_add_co_ci_u32_e64 v18, null, 0, v14, vcc_lo
	s_clause 0x4
	global_load_b32 v19, v[15:16], off offset:2
	global_load_u8 v20, v[17:18], off offset:66
	global_load_u8 v12, v[17:18], off offset:74
	global_load_b32 v39, v[15:16], off offset:34
	global_load_u16 v40, v[13:14], off
	s_or_b32 s3, s2, s3
	s_wait_loadcnt 0x4
	v_and_b32_e32 v14, 0xff, v19
	s_wait_loadcnt 0x3
	v_lshlrev_b32_e32 v15, 8, v20
	v_bfe_u32 v16, v19, 8, 8
	v_lshlrev_b32_e32 v17, 6, v20
	v_lshrrev_b32_e32 v13, 24, v19
	v_bfe_u32 v18, v19, 16, 8
	v_lshlrev_b32_e32 v19, 4, v20
	v_lshlrev_b32_e32 v20, 2, v20
	v_and_or_b32 v14, 0x300, v15, v14
	v_and_or_b32 v15, 0x300, v17, v16
	s_wait_loadcnt 0x1
	v_and_b32_e32 v42, 0xff, v39
	v_and_or_b32 v16, 0x300, v19, v18
	v_and_or_b32 v13, 0x300, v20, v13
	v_lshlrev_b32_e32 v14, 3, v14
	v_lshlrev_b32_e32 v15, 3, v15
	;; [unrolled: 1-line block ×5, first 2 shown]
	s_clause 0x3
	global_load_b64 v[29:30], v14, s[4:5]
	global_load_b64 v[31:32], v15, s[4:5]
	;; [unrolled: 1-line block ×4, first 2 shown]
	s_clause 0x1
	global_load_b128 v[13:16], v[2:3], off offset:-32
	global_load_b128 v[17:20], v[2:3], off offset:-16
	s_clause 0x1
	global_load_b128 v[21:24], v[37:38], off
	global_load_b128 v[25:28], v[37:38], off offset:16
	global_load_b32 v41, v[2:3], off
	global_load_b32 v37, v[37:38], off offset:32
	v_lshrrev_b32_e32 v38, 16, v39
	v_lshlrev_b32_e32 v45, 17, v39
	v_lshrrev_b32_e32 v46, 6, v39
	v_lshrrev_b32_e32 v47, 1, v39
	;; [unrolled: 1-line block ×13, first 2 shown]
	v_lshl_or_b32 v43, v42, 7, v43
	v_lshrrev_b32_e32 v54, 18, v39
	v_lshrrev_b32_e32 v56, 22, v39
	;; [unrolled: 1-line block ×3, first 2 shown]
	v_lshl_or_b32 v42, v42, 3, v45
	v_bfe_i32 v45, v46, 0, 1
	v_and_b32_e32 v46, 0x180, v47
	v_bfe_i32 v47, v48, 0, 1
	v_bfe_i32 v48, v49, 0, 1
	v_and_b32_e32 v49, 0x180, v50
	v_bfe_i32 v50, v51, 0, 1
	v_bfe_i32 v51, v52, 0, 1
	v_lshl_or_b32 v52, v38, 21, v53
	v_lshl_or_b32 v38, v38, 17, v55
	v_and_or_b32 v55, 0x1fe00000, v58, v57
	v_lshrrev_b16 v57, 8, v60
	v_lshrrev_b16 v58, 7, v60
	v_cmp_ne_u16_e32 vcc_lo, 0, v61
	v_and_b32_e32 v60, 0x1800180, v43
	v_bfe_u32 v43, v43, 24, 1
	v_bfe_i32 v53, v54, 0, 1
	v_bfe_i32 v54, v56, 0, 1
	;; [unrolled: 1-line block ×3, first 2 shown]
	s_wait_alu 0xfffd
	v_cndmask_b32_e64 v59, 0, -1, vcc_lo
	v_and_b32_e32 v62, 0x1800180, v42
	v_bfe_u32 v42, v42, 24, 1
	v_cmp_ne_u16_e32 vcc_lo, 0, v43
	v_lshrrev_b16 v64, 8, v46
	v_lshrrev_b16 v66, 8, v49
	v_and_b32_e32 v68, 0x1800180, v52
	v_bfe_u32 v52, v52, 24, 1
	s_wait_alu 0xfffd
	v_cndmask_b32_e64 v43, 0, -1, vcc_lo
	v_cmp_ne_u16_e32 vcc_lo, 0, v42
	v_and_b32_e32 v70, 0x1800180, v38
	v_bfe_u32 v38, v38, 24, 1
	v_and_b32_e32 v72, 0x1800180, v55
	v_bfe_u32 v55, v55, 24, 1
	s_wait_alu 0xfffd
	v_cndmask_b32_e64 v42, 0, -1, vcc_lo
	v_cmp_ne_u16_e32 vcc_lo, 0, v64
	v_lshrrev_b16 v75, 8, v60
	v_lshrrev_b16 v76, 8, v62
	;; [unrolled: 1-line block ×3, first 2 shown]
	v_lshrrev_b32_e32 v44, 2, v39
	s_wait_alu 0xfffd
	v_cndmask_b32_e64 v64, 0, -1, vcc_lo
	v_cmp_ne_u16_e32 vcc_lo, 0, v66
	v_lshrrev_b32_e32 v39, 30, v39
	v_lshrrev_b16 v46, 7, v46
	v_lshrrev_b16 v78, 8, v70
	;; [unrolled: 1-line block ×3, first 2 shown]
	s_wait_alu 0xfffd
	v_cndmask_b32_e64 v66, 0, -1, vcc_lo
	v_cmp_ne_u16_e32 vcc_lo, 0, v52
	v_bfe_i32 v39, v39, 0, 1
	v_bfe_i32 v57, v57, 0, 1
	;; [unrolled: 1-line block ×3, first 2 shown]
	v_lshrrev_b16 v60, 7, v60
	s_wait_alu 0xfffd
	v_cndmask_b32_e64 v52, 0, -1, vcc_lo
	v_cmp_ne_u16_e32 vcc_lo, 0, v38
	v_bfe_i32 v46, v46, 0, 1
	v_lshrrev_b16 v68, 7, v68
	v_lshrrev_b16 v79, 8, v72
	v_bfe_i32 v44, v44, 0, 1
	s_wait_alu 0xfffd
	v_cndmask_b32_e64 v38, 0, -1, vcc_lo
	v_cmp_ne_u16_e32 vcc_lo, 0, v55
	v_lshlrev_b16 v47, 8, v47
	v_and_b32_e32 v65, 0xff, v48
	v_and_b32_e32 v74, 0xff, v39
	v_lshlrev_b16 v59, 8, v59
	s_wait_alu 0xfffd
	v_cndmask_b32_e64 v55, 0, -1, vcc_lo
	v_cmp_ne_u16_e32 vcc_lo, 0, v75
	v_lshrrev_b16 v62, 7, v62
	v_bfe_i32 v49, v49, 0, 1
	v_lshrrev_b16 v70, 7, v70
	v_lshrrev_b16 v72, 7, v72
	s_wait_alu 0xfffd
	v_cndmask_b32_e64 v75, 0, -1, vcc_lo
	v_cmp_ne_u16_e32 vcc_lo, 0, v76
	v_lshlrev_b16 v57, 8, v57
	v_and_b32_e32 v80, 0xff, v58
	v_bfe_i32 v60, v60, 0, 1
	v_and_b32_e32 v81, 0xff, v46
	s_wait_alu 0xfffd
	v_cndmask_b32_e64 v76, 0, -1, vcc_lo
	v_cmp_ne_u16_e32 vcc_lo, 0, v77
	v_lshlrev_b16 v64, 8, v64
	v_bfe_i32 v68, v68, 0, 1
	v_and_b32_e32 v61, 0xff, v44
	v_lshlrev_b16 v50, 8, v50
	s_wait_alu 0xfffd
	v_cndmask_b32_e64 v77, 0, -1, vcc_lo
	v_cmp_ne_u16_e32 vcc_lo, 0, v78
	v_and_b32_e32 v67, 0xff, v51
	v_and_b32_e32 v69, 0xff, v53
	v_or_b32_e32 v65, v65, v47
	v_or_b32_e32 v74, v74, v59
	s_wait_alu 0xfffd
	v_cndmask_b32_e64 v78, 0, -1, vcc_lo
	v_cmp_ne_u16_e32 vcc_lo, 0, v79
	v_lshlrev_b16 v43, 8, v43
	v_bfe_i32 v62, v62, 0, 1
	v_and_b32_e32 v82, 0xff, v49
	v_lshlrev_b16 v66, 8, v66
	v_lshlrev_b16 v52, 8, v52
	v_bfe_i32 v70, v70, 0, 1
	v_bfe_i32 v72, v72, 0, 1
	s_wait_alu 0xfffd
	v_cndmask_b32_e64 v79, 0, -1, vcc_lo
	v_or_b32_e32 v80, v80, v57
	v_and_b32_e32 v83, 0xff, v60
	v_lshlrev_b16 v75, 8, v75
	v_or_b32_e32 v81, v81, v64
	v_and_b32_e32 v85, 0xff, v68
	v_lshlrev_b16 v77, 8, v77
	v_and_b32_e32 v63, 0xff, v45
	v_and_b32_e32 v71, 0xff, v54
	;; [unrolled: 1-line block ×3, first 2 shown]
	v_or_b32_e32 v67, v67, v50
	v_lshlrev_b16 v42, 8, v42
	v_lshlrev_b32_e32 v65, 16, v65
	v_lshlrev_b16 v38, 8, v38
	v_lshlrev_b16 v55, 8, v55
	v_lshlrev_b32_e32 v74, 16, v74
	v_or_b32_e32 v61, v61, v43
	v_and_b32_e32 v84, 0xff, v62
	v_lshlrev_b16 v76, 8, v76
	v_or_b32_e32 v82, v82, v66
	v_or_b32_e32 v69, v69, v52
	v_and_b32_e32 v86, 0xff, v70
	v_lshlrev_b16 v78, 8, v78
	v_and_b32_e32 v87, 0xff, v72
	v_lshlrev_b16 v79, 8, v79
	v_and_b32_e32 v80, 0xffff, v80
	v_or_b32_e32 v83, v83, v75
	v_and_b32_e32 v81, 0xffff, v81
	v_or_b32_e32 v85, v85, v77
	v_lshlrev_b32_e32 v67, 16, v67
	v_or_b32_e32 v63, v63, v42
	v_or_b32_e32 v71, v71, v38
	;; [unrolled: 1-line block ×3, first 2 shown]
	v_lshlrev_b32_e32 v61, 16, v61
	v_or_b32_e32 v84, v84, v76
	v_and_b32_e32 v82, 0xffff, v82
	v_lshlrev_b32_e32 v69, 16, v69
	v_or_b32_e32 v86, v86, v78
	v_or_b32_e32 v87, v87, v79
	;; [unrolled: 1-line block ×3, first 2 shown]
	v_and_b32_e32 v80, 0xffff, v83
	v_or_b32_e32 v65, v81, v65
	v_and_b32_e32 v81, 0xffff, v85
	v_lshlrev_b32_e32 v63, 16, v63
	v_lshlrev_b32_e32 v71, 16, v71
	;; [unrolled: 1-line block ×3, first 2 shown]
	v_and_b32_e32 v83, 0xffff, v84
	v_or_b32_e32 v67, v82, v67
	v_and_b32_e32 v82, 0xffff, v86
	v_and_b32_e32 v84, 0xffff, v87
	v_or_b32_e32 v61, v80, v61
	v_or_b32_e32 v69, v81, v69
	;; [unrolled: 1-line block ×5, first 2 shown]
	v_lshlrev_b16 v46, 8, v46
	v_lshlrev_b16 v49, 8, v49
	;; [unrolled: 1-line block ×16, first 2 shown]
	v_add_co_u32 v2, vcc_lo, 0x480, v2
	s_wait_alu 0xfffd
	v_add_co_ci_u32_e64 v3, null, 0, v3, vcc_lo
	s_wait_loadcnt 0x5
	v_cvt_f32_f16_e32 v13, v13
	v_xor_b32_e32 v29, v29, v61
	v_xor_b32_e32 v31, v31, v65
	;; [unrolled: 1-line block ×8, first 2 shown]
	v_lshrrev_b32_e32 v61, 16, v29
	v_and_b32_e32 v63, 0xffffff00, v29
	v_lshlrev_b16 v29, 8, v29
	v_lshrrev_b32_e32 v69, 16, v31
	v_and_b32_e32 v71, 0xffffff00, v31
	v_lshlrev_b16 v31, 8, v31
	;; [unrolled: 3-line block ×6, first 2 shown]
	v_sub_nc_i16 v29, v29, v60 clamp
	v_and_b32_e32 v60, 0xffffff00, v61
	v_lshlrev_b16 v61, 8, v61
	v_sub_nc_i16 v64, v71, v64 clamp
	v_sub_nc_i16 v31, v31, v46 clamp
	v_and_b32_e32 v46, 0xffffff00, v69
	v_lshlrev_b16 v69, 8, v69
	v_sub_nc_i16 v66, v74, v66 clamp
	;; [unrolled: 4-line block ×3, first 2 shown]
	v_and_b32_e32 v68, 0xffffff00, v80
	v_lshlrev_b16 v74, 8, v80
	v_lshrrev_b32_e32 v84, 16, v35
	v_and_b32_e32 v85, 0xffffff00, v35
	v_lshlrev_b16 v35, 8, v35
	v_sub_nc_i16 v63, v63, v75 clamp
	v_sub_nc_i16 v67, v67, v76 clamp
	v_sub_nc_i16 v30, v30, v62 clamp
	v_and_b32_e32 v62, 0xffffff00, v65
	v_lshlrev_b16 v65, 8, v65
	v_sub_nc_i16 v73, v81, v77 clamp
	v_sub_nc_i16 v34, v34, v70 clamp
	v_and_b32_e32 v70, 0xffffff00, v82
	v_lshlrev_b16 v76, 8, v82
	v_sub_nc_i16 v43, v60, v43 clamp
	v_sub_nc_i16 v44, v61, v44 clamp
	v_sub_nc_i16 v46, v46, v47 clamp
	v_sub_nc_i16 v47, v69, v48 clamp
	v_sub_nc_i16 v48, v49, v50 clamp
	v_sub_nc_i16 v49, v71, v51 clamp
	v_sub_nc_i16 v50, v68, v52 clamp
	v_sub_nc_i16 v51, v74, v53 clamp
	v_lshrrev_b32_e32 v86, 16, v36
	v_and_b32_e32 v87, 0xffffff00, v36
	v_lshlrev_b16 v36, 8, v36
	v_sub_nc_i16 v75, v83, v78 clamp
	v_sub_nc_i16 v35, v35, v72 clamp
	v_and_b32_e32 v72, 0xffffff00, v84
	v_lshlrev_b16 v78, 8, v84
	v_perm_b32 v29, v29, v63, 0xc0c0105
	v_sub_nc_i16 v42, v62, v42 clamp
	v_sub_nc_i16 v45, v65, v45 clamp
	v_perm_b32 v33, v33, v73, 0xc0c0105
	v_sub_nc_i16 v38, v70, v38 clamp
	v_sub_nc_i16 v52, v76, v54 clamp
	v_perm_b32 v43, v44, v43, 0xc0c0105
	v_perm_b32 v44, v47, v46, 0xc0c0105
	;; [unrolled: 1-line block ×3, first 2 shown]
	v_sub_nc_i16 v77, v85, v79 clamp
	v_sub_nc_i16 v36, v36, v58 clamp
	v_and_b32_e32 v58, 0xffffff00, v86
	v_lshlrev_b16 v79, 8, v86
	v_perm_b32 v30, v30, v67, 0xc0c0105
	v_perm_b32 v34, v34, v75, 0xc0c0105
	v_sub_nc_i16 v53, v72, v55 clamp
	v_sub_nc_i16 v54, v78, v56 clamp
	v_perm_b32 v42, v45, v42, 0xc0c0105
	v_perm_b32 v38, v52, v38, 0xc0c0105
	v_lshl_or_b32 v29, v43, 16, v29
	v_lshl_or_b32 v33, v46, 16, v33
	v_sub_nc_i16 v57, v87, v57 clamp
	v_perm_b32 v31, v31, v64, 0xc0c0105
	v_perm_b32 v35, v35, v77, 0xc0c0105
	v_sub_nc_i16 v55, v58, v59 clamp
	v_sub_nc_i16 v39, v79, v39 clamp
	v_perm_b32 v47, v54, v53, 0xc0c0105
	v_lshl_or_b32 v30, v42, 16, v30
	v_lshl_or_b32 v34, v38, 16, v34
	v_dot4_i32_iu8 v14, v29, v14, 0 neg_lo:[1,1,0]
	s_wait_loadcnt 0x4
	v_dot4_i32_iu8 v18, v33, v18, 0 neg_lo:[1,1,0]
	s_wait_loadcnt 0x3
	;; [unrolled: 2-line block ×3, first 2 shown]
	v_dot4_i32_iu8 v26, v33, v26, 0 neg_lo:[1,1,0]
	v_perm_b32 v32, v32, v66, 0xc0c0105
	v_perm_b32 v36, v36, v57, 0xc0c0105
	;; [unrolled: 1-line block ×4, first 2 shown]
	v_lshl_or_b32 v31, v44, 16, v31
	v_lshl_or_b32 v35, v47, 16, v35
	v_dot4_i32_iu8 v14, v30, v15, v14 neg_lo:[1,1,0]
	v_dot4_i32_iu8 v15, v34, v19, v18 neg_lo:[1,1,0]
	;; [unrolled: 1-line block ×4, first 2 shown]
	v_lshl_or_b32 v32, v45, 16, v32
	v_lshl_or_b32 v36, v39, 16, v36
	v_dot4_i32_iu8 v14, v31, v16, v14 neg_lo:[1,1,0]
	v_dot4_i32_iu8 v15, v35, v20, v15 neg_lo:[1,1,0]
	;; [unrolled: 1-line block ×4, first 2 shown]
	s_delay_alu instid0(VALU_DEP_4)
	v_dot4_i32_iu8 v14, v32, v17, v14 neg_lo:[1,1,0]
	s_wait_loadcnt 0x1
	v_dot4_i32_iu8 v15, v36, v41, v15 neg_lo:[1,1,0]
	v_dot4_i32_iu8 v16, v32, v25, v16 neg_lo:[1,1,0]
	s_wait_loadcnt 0x0
	v_dot4_i32_iu8 v17, v36, v37, v18 neg_lo:[1,1,0]
	v_and_b32_e32 v18, 15, v12
	v_lshrrev_b32_e32 v12, 4, v12
	v_add_nc_u32_e32 v19, v15, v14
	s_delay_alu instid0(VALU_DEP_4) | instskip(NEXT) | instid1(VALU_DEP_4)
	v_add_nc_u32_e32 v20, v17, v16
	v_mul_lo_u32 v14, v14, v18
	v_mul_lo_u32 v16, v16, v18
	s_delay_alu instid0(VALU_DEP_4) | instskip(SKIP_3) | instid1(VALU_DEP_4)
	v_lshrrev_b32_e32 v22, 31, v19
	v_mul_lo_u32 v15, v15, v12
	v_lshrrev_b32_e32 v23, 31, v20
	v_mul_lo_u32 v12, v17, v12
	v_add_nc_u32_e32 v18, v19, v22
	s_delay_alu instid0(VALU_DEP_3) | instskip(NEXT) | instid1(VALU_DEP_2)
	v_add_nc_u32_e32 v19, v20, v23
	v_ashrrev_i32_e32 v17, 1, v18
	s_delay_alu instid0(VALU_DEP_2) | instskip(NEXT) | instid1(VALU_DEP_2)
	v_ashrrev_i32_e32 v18, 1, v19
	v_add3_u32 v14, v15, v14, v17
	s_delay_alu instid0(VALU_DEP_2) | instskip(NEXT) | instid1(VALU_DEP_2)
	v_add3_u32 v12, v12, v16, v18
	v_ashrrev_i32_e32 v15, 31, v14
	s_delay_alu instid0(VALU_DEP_2) | instskip(NEXT) | instid1(VALU_DEP_2)
	v_ashrrev_i32_e32 v16, 31, v12
	v_lshrrev_b32_e32 v15, 30, v15
	s_delay_alu instid0(VALU_DEP_2) | instskip(NEXT) | instid1(VALU_DEP_2)
	v_lshrrev_b32_e32 v16, 30, v16
	v_add_nc_u32_e32 v14, v14, v15
	v_cvt_f32_f16_e32 v15, v21
	s_delay_alu instid0(VALU_DEP_3) | instskip(SKIP_1) | instid1(VALU_DEP_4)
	v_add_nc_u32_e32 v12, v12, v16
	v_cvt_f32_f16_e32 v16, v40
	v_ashrrev_i32_e32 v14, 2, v14
	s_delay_alu instid0(VALU_DEP_3) | instskip(NEXT) | instid1(VALU_DEP_3)
	v_ashrrev_i32_e32 v12, 2, v12
	v_mul_f32_e32 v13, v16, v13
	v_mul_f32_e32 v15, v16, v15
	s_delay_alu instid0(VALU_DEP_4) | instskip(NEXT) | instid1(VALU_DEP_4)
	v_cvt_f32_i32_e32 v14, v14
	v_cvt_f32_i32_e32 v12, v12
	s_delay_alu instid0(VALU_DEP_1)
	v_dual_fmac_f32 v8, v13, v14 :: v_dual_fmac_f32 v5, v15, v12
	s_wait_alu 0xfffe
	s_and_not1_b32 exec_lo, exec_lo, s3
	s_cbranch_execnz .LBB185_2
; %bb.3:
	s_or_b32 exec_lo, exec_lo, s3
.LBB185_4:
	s_delay_alu instid0(SALU_CYCLE_1)
	s_or_b32 exec_lo, exec_lo, s22
	s_mov_b32 s3, 0
	; wave barrier
	global_inv scope:SCOPE_SE
	s_mov_b32 s2, exec_lo
	v_cmpx_eq_u32_e32 0, v6
	s_cbranch_execz .LBB185_9
; %bb.5:
	v_mbcnt_lo_u32_b32 v6, -1, 0
	s_load_b64 s[0:1], s[0:1], 0x38
	s_mul_i32 s2, s10, s19
	s_mul_i32 s4, s18, s20
	s_wait_alu 0xfffe
	s_add_co_i32 s2, s2, ttmp9
	v_xor_b32_e32 v0, 16, v6
	v_xor_b32_e32 v1, 8, v6
	;; [unrolled: 1-line block ×3, first 2 shown]
	s_wait_alu 0xfffe
	s_add_co_i32 s2, s2, s4
	s_wait_alu 0xfffe
	s_lshl_b64 s[2:3], s[2:3], 2
	v_cmp_gt_i32_e32 vcc_lo, 32, v0
	s_wait_alu 0xfffd
	v_cndmask_b32_e32 v0, v6, v0, vcc_lo
	v_cmp_gt_i32_e32 vcc_lo, 32, v1
	s_wait_kmcnt 0x0
	s_wait_alu 0xfffe
	s_add_nc_u64 s[0:1], s[0:1], s[2:3]
	s_wait_alu 0xfffd
	v_cndmask_b32_e32 v1, v6, v1, vcc_lo
	s_delay_alu instid0(VALU_DEP_1)
	v_lshlrev_b32_e32 v1, 2, v1
	v_lshlrev_b32_e32 v0, 2, v0
	ds_bpermute_b32 v2, v0, v8
	s_wait_dscnt 0x0
	v_add_f32_e32 v3, v8, v2
	v_xor_b32_e32 v2, 4, v6
	ds_bpermute_b32 v7, v1, v3
	v_cmp_gt_i32_e32 vcc_lo, 32, v2
	s_wait_dscnt 0x0
	s_wait_alu 0xfffd
	v_dual_cndmask_b32 v2, v6, v2 :: v_dual_add_f32 v7, v3, v7
	s_delay_alu instid0(VALU_DEP_1)
	v_lshlrev_b32_e32 v2, 2, v2
	v_xor_b32_e32 v3, 2, v6
	ds_bpermute_b32 v8, v2, v7
	v_cmp_gt_i32_e32 vcc_lo, 32, v3
	s_wait_alu 0xfffd
	v_cndmask_b32_e32 v3, v6, v3, vcc_lo
	v_cmp_gt_i32_e32 vcc_lo, 32, v9
	s_wait_alu 0xfffd
	v_cndmask_b32_e32 v6, v6, v9, vcc_lo
	v_cmp_eq_u32_e32 vcc_lo, 0, v4
	s_delay_alu instid0(VALU_DEP_2)
	v_lshlrev_b32_e32 v6, 2, v6
	v_lshlrev_b32_e32 v3, 2, v3
	s_wait_dscnt 0x0
	v_add_f32_e32 v7, v7, v8
	ds_bpermute_b32 v8, v3, v7
	s_wait_dscnt 0x0
	v_add_f32_e32 v7, v7, v8
	ds_bpermute_b32 v8, v6, v7
	s_and_saveexec_b32 s2, vcc_lo
	s_cbranch_execz .LBB185_7
; %bb.6:
	s_wait_dscnt 0x0
	v_dual_add_f32 v4, v7, v8 :: v_dual_mov_b32 v7, 0
	global_store_b32 v7, v4, s[0:1]
.LBB185_7:
	s_wait_alu 0xfffe
	s_or_b32 exec_lo, exec_lo, s2
	ds_bpermute_b32 v0, v0, v5
	s_wait_dscnt 0x0
	v_add_f32_e32 v0, v5, v0
	ds_bpermute_b32 v1, v1, v0
	s_wait_dscnt 0x0
	v_add_f32_e32 v0, v0, v1
	;; [unrolled: 3-line block ×4, first 2 shown]
	ds_bpermute_b32 v1, v6, v0
	s_and_b32 exec_lo, exec_lo, vcc_lo
	s_cbranch_execz .LBB185_9
; %bb.8:
	s_mov_b32 s7, 0
	s_wait_dscnt 0x0
	v_dual_add_f32 v0, v0, v1 :: v_dual_mov_b32 v1, 0
	s_wait_alu 0xfffe
	s_lshl_b64 s[2:3], s[6:7], 2
	s_wait_alu 0xfffe
	s_add_nc_u64 s[0:1], s[0:1], s[2:3]
	global_store_b32 v1, v0, s[0:1]
.LBB185_9:
	s_endpgm
	.section	.rodata,"a",@progbits
	.p2align	6, 0x0
	.amdhsa_kernel _ZL13mul_mat_vec_qIL9ggml_type22ELi2ELb0ELb0EEvPKvS2_PKi31ggml_cuda_mm_fusion_args_devicePfj15HIP_vector_typeIjLj3EEjjjS8_jjjS8_jjjj
		.amdhsa_group_segment_fixed_size 0
		.amdhsa_private_segment_fixed_size 0
		.amdhsa_kernarg_size 144
		.amdhsa_user_sgpr_count 2
		.amdhsa_user_sgpr_dispatch_ptr 0
		.amdhsa_user_sgpr_queue_ptr 0
		.amdhsa_user_sgpr_kernarg_segment_ptr 1
		.amdhsa_user_sgpr_dispatch_id 0
		.amdhsa_user_sgpr_private_segment_size 0
		.amdhsa_wavefront_size32 1
		.amdhsa_uses_dynamic_stack 0
		.amdhsa_enable_private_segment 0
		.amdhsa_system_sgpr_workgroup_id_x 1
		.amdhsa_system_sgpr_workgroup_id_y 1
		.amdhsa_system_sgpr_workgroup_id_z 1
		.amdhsa_system_sgpr_workgroup_info 0
		.amdhsa_system_vgpr_workitem_id 1
		.amdhsa_next_free_vgpr 88
		.amdhsa_next_free_sgpr 28
		.amdhsa_reserve_vcc 1
		.amdhsa_float_round_mode_32 0
		.amdhsa_float_round_mode_16_64 0
		.amdhsa_float_denorm_mode_32 3
		.amdhsa_float_denorm_mode_16_64 3
		.amdhsa_fp16_overflow 0
		.amdhsa_workgroup_processor_mode 1
		.amdhsa_memory_ordered 1
		.amdhsa_forward_progress 1
		.amdhsa_inst_pref_size 30
		.amdhsa_round_robin_scheduling 0
		.amdhsa_exception_fp_ieee_invalid_op 0
		.amdhsa_exception_fp_denorm_src 0
		.amdhsa_exception_fp_ieee_div_zero 0
		.amdhsa_exception_fp_ieee_overflow 0
		.amdhsa_exception_fp_ieee_underflow 0
		.amdhsa_exception_fp_ieee_inexact 0
		.amdhsa_exception_int_div_zero 0
	.end_amdhsa_kernel
	.section	.text._ZL13mul_mat_vec_qIL9ggml_type22ELi2ELb0ELb0EEvPKvS2_PKi31ggml_cuda_mm_fusion_args_devicePfj15HIP_vector_typeIjLj3EEjjjS8_jjjS8_jjjj,"axG",@progbits,_ZL13mul_mat_vec_qIL9ggml_type22ELi2ELb0ELb0EEvPKvS2_PKi31ggml_cuda_mm_fusion_args_devicePfj15HIP_vector_typeIjLj3EEjjjS8_jjjS8_jjjj,comdat
.Lfunc_end185:
	.size	_ZL13mul_mat_vec_qIL9ggml_type22ELi2ELb0ELb0EEvPKvS2_PKi31ggml_cuda_mm_fusion_args_devicePfj15HIP_vector_typeIjLj3EEjjjS8_jjjS8_jjjj, .Lfunc_end185-_ZL13mul_mat_vec_qIL9ggml_type22ELi2ELb0ELb0EEvPKvS2_PKi31ggml_cuda_mm_fusion_args_devicePfj15HIP_vector_typeIjLj3EEjjjS8_jjjS8_jjjj
                                        ; -- End function
	.set _ZL13mul_mat_vec_qIL9ggml_type22ELi2ELb0ELb0EEvPKvS2_PKi31ggml_cuda_mm_fusion_args_devicePfj15HIP_vector_typeIjLj3EEjjjS8_jjjS8_jjjj.num_vgpr, 88
	.set _ZL13mul_mat_vec_qIL9ggml_type22ELi2ELb0ELb0EEvPKvS2_PKi31ggml_cuda_mm_fusion_args_devicePfj15HIP_vector_typeIjLj3EEjjjS8_jjjS8_jjjj.num_agpr, 0
	.set _ZL13mul_mat_vec_qIL9ggml_type22ELi2ELb0ELb0EEvPKvS2_PKi31ggml_cuda_mm_fusion_args_devicePfj15HIP_vector_typeIjLj3EEjjjS8_jjjS8_jjjj.numbered_sgpr, 28
	.set _ZL13mul_mat_vec_qIL9ggml_type22ELi2ELb0ELb0EEvPKvS2_PKi31ggml_cuda_mm_fusion_args_devicePfj15HIP_vector_typeIjLj3EEjjjS8_jjjS8_jjjj.num_named_barrier, 0
	.set _ZL13mul_mat_vec_qIL9ggml_type22ELi2ELb0ELb0EEvPKvS2_PKi31ggml_cuda_mm_fusion_args_devicePfj15HIP_vector_typeIjLj3EEjjjS8_jjjS8_jjjj.private_seg_size, 0
	.set _ZL13mul_mat_vec_qIL9ggml_type22ELi2ELb0ELb0EEvPKvS2_PKi31ggml_cuda_mm_fusion_args_devicePfj15HIP_vector_typeIjLj3EEjjjS8_jjjS8_jjjj.uses_vcc, 1
	.set _ZL13mul_mat_vec_qIL9ggml_type22ELi2ELb0ELb0EEvPKvS2_PKi31ggml_cuda_mm_fusion_args_devicePfj15HIP_vector_typeIjLj3EEjjjS8_jjjS8_jjjj.uses_flat_scratch, 0
	.set _ZL13mul_mat_vec_qIL9ggml_type22ELi2ELb0ELb0EEvPKvS2_PKi31ggml_cuda_mm_fusion_args_devicePfj15HIP_vector_typeIjLj3EEjjjS8_jjjS8_jjjj.has_dyn_sized_stack, 0
	.set _ZL13mul_mat_vec_qIL9ggml_type22ELi2ELb0ELb0EEvPKvS2_PKi31ggml_cuda_mm_fusion_args_devicePfj15HIP_vector_typeIjLj3EEjjjS8_jjjS8_jjjj.has_recursion, 0
	.set _ZL13mul_mat_vec_qIL9ggml_type22ELi2ELb0ELb0EEvPKvS2_PKi31ggml_cuda_mm_fusion_args_devicePfj15HIP_vector_typeIjLj3EEjjjS8_jjjS8_jjjj.has_indirect_call, 0
	.section	.AMDGPU.csdata,"",@progbits
; Kernel info:
; codeLenInByte = 3772
; TotalNumSgprs: 30
; NumVgprs: 88
; ScratchSize: 0
; MemoryBound: 0
; FloatMode: 240
; IeeeMode: 1
; LDSByteSize: 0 bytes/workgroup (compile time only)
; SGPRBlocks: 0
; VGPRBlocks: 10
; NumSGPRsForWavesPerEU: 30
; NumVGPRsForWavesPerEU: 88
; Occupancy: 16
; WaveLimiterHint : 0
; COMPUTE_PGM_RSRC2:SCRATCH_EN: 0
; COMPUTE_PGM_RSRC2:USER_SGPR: 2
; COMPUTE_PGM_RSRC2:TRAP_HANDLER: 0
; COMPUTE_PGM_RSRC2:TGID_X_EN: 1
; COMPUTE_PGM_RSRC2:TGID_Y_EN: 1
; COMPUTE_PGM_RSRC2:TGID_Z_EN: 1
; COMPUTE_PGM_RSRC2:TIDIG_COMP_CNT: 1
	.section	.text._ZL13mul_mat_vec_qIL9ggml_type22ELi3ELb0ELb0EEvPKvS2_PKi31ggml_cuda_mm_fusion_args_devicePfj15HIP_vector_typeIjLj3EEjjjS8_jjjS8_jjjj,"axG",@progbits,_ZL13mul_mat_vec_qIL9ggml_type22ELi3ELb0ELb0EEvPKvS2_PKi31ggml_cuda_mm_fusion_args_devicePfj15HIP_vector_typeIjLj3EEjjjS8_jjjS8_jjjj,comdat
	.globl	_ZL13mul_mat_vec_qIL9ggml_type22ELi3ELb0ELb0EEvPKvS2_PKi31ggml_cuda_mm_fusion_args_devicePfj15HIP_vector_typeIjLj3EEjjjS8_jjjS8_jjjj ; -- Begin function _ZL13mul_mat_vec_qIL9ggml_type22ELi3ELb0ELb0EEvPKvS2_PKi31ggml_cuda_mm_fusion_args_devicePfj15HIP_vector_typeIjLj3EEjjjS8_jjjS8_jjjj
	.p2align	8
	.type	_ZL13mul_mat_vec_qIL9ggml_type22ELi3ELb0ELb0EEvPKvS2_PKi31ggml_cuda_mm_fusion_args_devicePfj15HIP_vector_typeIjLj3EEjjjS8_jjjS8_jjjj,@function
_ZL13mul_mat_vec_qIL9ggml_type22ELi3ELb0ELb0EEvPKvS2_PKi31ggml_cuda_mm_fusion_args_devicePfj15HIP_vector_typeIjLj3EEjjjS8_jjjS8_jjjj: ; @_ZL13mul_mat_vec_qIL9ggml_type22ELi3ELb0ELb0EEvPKvS2_PKi31ggml_cuda_mm_fusion_args_devicePfj15HIP_vector_typeIjLj3EEjjjS8_jjjS8_jjjj
; %bb.0:
	s_clause 0x5
	s_load_b96 s[16:18], s[0:1], 0x80
	s_load_b32 s12, s[0:1], 0x40
	s_load_b128 s[4:7], s[0:1], 0x50
	s_load_b32 s2, s[0:1], 0x60
	s_load_b128 s[8:11], s[0:1], 0x68
	s_load_b32 s3, s[0:1], 0x78
	v_bfe_u32 v6, v0, 10, 10
	v_dual_mov_b32 v5, 0 :: v_dual_and_b32 v4, 0x3ff, v0
	v_mov_b32_e32 v7, 0
	v_mov_b32_e32 v9, 0
	s_and_b32 s19, ttmp7, 0xffff
	s_delay_alu instid0(VALU_DEP_3) | instskip(SKIP_2) | instid1(VALU_DEP_1)
	v_lshl_or_b32 v0, v6, 5, v4
	s_lshr_b32 s22, ttmp7, 16
	s_mov_b32 s23, exec_lo
	v_lshrrev_b32_e32 v8, 3, v0
	s_wait_kmcnt 0x0
	s_lshr_b32 s24, s12, 8
	s_delay_alu instid0(VALU_DEP_1) | instid1(SALU_CYCLE_1)
	v_cmpx_gt_u32_e64 s24, v8
	s_cbranch_execz .LBB186_4
; %bb.1:
	v_lshl_add_u32 v0, v6, 5, v4
	s_mov_b32 s21, 0
	s_mul_i32 s12, s9, s19
	s_mov_b32 s13, s21
	s_mul_i32 s20, s17, s22
	v_lshrrev_b32_e32 v0, 3, v0
	s_mul_u64 s[26:27], s[12:13], 36
	s_load_b128 s[12:15], s[0:1], 0x0
	v_dual_mov_b32 v5, 0 :: v_dual_and_b32 v10, 7, v4
	s_delay_alu instid0(VALU_DEP_2)
	v_mad_co_u64_u32 v[0:1], null, 0x120, v0, s[26:27]
	s_mul_hi_u32 s7, s7, s19
	v_lshlrev_b32_e32 v2, 3, v8
	v_lshlrev_b32_e32 v7, 1, v10
	s_mul_hi_u32 s9, s11, s22
	s_add_co_i32 s7, s19, s7
	s_add_co_i32 s9, s22, s9
	v_mad_co_u64_u32 v[0:1], null, s20, 36, v[0:1]
	s_mul_u64 s[28:29], s[20:21], 36
	s_lshr_b32 s2, s7, s2
	s_lshr_b32 s7, s9, s3
	v_lshlrev_b32_e32 v13, 1, v7
	v_mov_b32_e32 v7, 0
	v_add_nc_u32_e32 v11, s5, v2
	v_mad_co_u64_u32 v[0:1], null, v10, 36, v[0:1]
	v_lshl_add_u32 v12, s5, 1, v2
	s_mul_i32 s5, s2, s8
	s_wait_kmcnt 0x0
	s_add_nc_u64 s[2:3], s[14:15], s[28:29]
	s_mul_i32 s4, s4, ttmp9
	s_add_nc_u64 s[2:3], s[2:3], s[26:27]
	v_mov_b32_e32 v9, 0
	v_add_co_u32 v2, vcc_lo, s14, v0
	s_delay_alu instid0(VALU_DEP_1) | instskip(SKIP_1) | instid1(VALU_DEP_3)
	v_add_co_ci_u32_e64 v3, null, s15, v1, vcc_lo
	v_mad_co_u64_u32 v[0:1], null, v10, 36, s[2:3]
	v_add_co_u32 v2, vcc_lo, v2, 16
	s_wait_alu 0xfffd
	s_delay_alu instid0(VALU_DEP_3)
	v_add_co_ci_u32_e64 v3, null, 0, v3, vcc_lo
	s_mul_i32 s7, s7, s16
	s_wait_alu 0xfffe
	s_add_co_i32 s5, s5, s4
	s_wait_alu 0xfffe
	s_add_co_i32 s7, s7, s5
.LBB186_2:                              ; =>This Inner Loop Header: Depth=1
	s_delay_alu instid0(SALU_CYCLE_1) | instskip(SKIP_2) | instid1(VALU_DEP_3)
	v_add_nc_u32_e32 v22, s7, v8
	v_mad_co_u64_u32 v[30:31], null, v11, 36, v[0:1]
	v_mad_co_u64_u32 v[34:35], null, v12, 36, v[0:1]
	v_mad_co_i64_i32 v[38:39], null, 0x52, v22, s[12:13]
	s_clause 0x2
	global_load_b32 v46, v[2:3], off offset:16
	global_load_b128 v[14:17], v[2:3], off offset:-16
	global_load_b128 v[18:21], v[2:3], off
	s_clause 0x5
	global_load_b128 v[22:25], v[30:31], off
	global_load_b128 v[26:29], v[30:31], off offset:16
	global_load_b32 v47, v[30:31], off offset:32
	global_load_b128 v[30:33], v[34:35], off
	global_load_b32 v48, v[34:35], off offset:32
	global_load_b128 v[34:37], v[34:35], off offset:16
	s_getpc_b64 s[4:5]
	s_wait_alu 0xfffe
	s_sext_i32_i16 s5, s5
	s_add_co_u32 s4, s4, _ZL9iq2s_grid@rel32@lo+12
	s_wait_alu 0xfffe
	s_add_co_ci_u32 s5, s5, _ZL9iq2s_grid@rel32@hi+24
	v_add_co_u32 v2, vcc_lo, 0x480, v2
	v_add_co_u32 v40, s2, v38, v13
	s_wait_alu 0xf1ff
	v_add_co_ci_u32_e64 v41, null, 0, v39, s2
	v_add_co_u32 v42, s2, v38, v10
	s_wait_alu 0xf1ff
	v_add_co_ci_u32_e64 v43, null, 0, v39, s2
	s_clause 0x4
	global_load_b32 v44, v[40:41], off offset:2
	global_load_u8 v45, v[42:43], off offset:66
	global_load_u8 v42, v[42:43], off offset:74
	global_load_b32 v40, v[40:41], off offset:34
	global_load_u16 v49, v[38:39], off
	s_wait_alu 0xfffd
	v_add_co_ci_u32_e64 v3, null, 0, v3, vcc_lo
	s_wait_loadcnt 0xa
	v_cvt_f32_f16_e32 v22, v22
	v_cvt_f32_f16_e32 v14, v14
	s_wait_loadcnt 0x4
	v_and_b32_e32 v39, 0xff, v44
	s_wait_loadcnt 0x3
	v_lshlrev_b32_e32 v41, 8, v45
	v_bfe_u32 v55, v44, 8, 8
	v_lshlrev_b32_e32 v56, 6, v45
	v_lshrrev_b32_e32 v38, 24, v44
	v_bfe_u32 v44, v44, 16, 8
	v_lshlrev_b32_e32 v63, 4, v45
	v_lshlrev_b32_e32 v45, 2, v45
	v_and_or_b32 v39, 0x300, v41, v39
	s_wait_loadcnt 0x1
	v_lshrrev_b32_e32 v50, 16, v40
	v_and_b32_e32 v43, 0xff, v40
	v_lshlrev_b32_e32 v51, 21, v40
	v_lshrrev_b32_e32 v52, 2, v40
	v_lshlrev_b32_e32 v53, 17, v40
	v_lshrrev_b32_e32 v54, 6, v40
	v_lshrrev_b32_e32 v57, 1, v40
	;; [unrolled: 1-line block ×17, first 2 shown]
	v_and_or_b32 v40, 0x300, v56, v55
	v_and_or_b32 v41, 0x300, v63, v44
	;; [unrolled: 1-line block ×3, first 2 shown]
	v_lshlrev_b32_e32 v39, 3, v39
	v_lshrrev_b32_e32 v74, 4, v42
	v_lshlrev_b32_e32 v40, 3, v40
	v_and_b32_e32 v75, 15, v42
	v_lshlrev_b32_e32 v42, 3, v41
	v_lshlrev_b32_e32 v44, 3, v38
	v_lshl_or_b32 v51, v43, 7, v51
	v_lshl_or_b32 v53, v43, 3, v53
	s_clause 0x3
	global_load_b64 v[38:39], v39, s[4:5]
	global_load_b64 v[40:41], v40, s[4:5]
	;; [unrolled: 1-line block ×4, first 2 shown]
	v_bfe_i32 v56, v58, 0, 1
	v_and_b32_e32 v58, 0x180, v60
	v_bfe_i32 v60, v62, 0, 1
	v_bfe_i32 v62, v65, 0, 1
	;; [unrolled: 1-line block ×3, first 2 shown]
	v_cmp_ne_u16_e64 s2, 0, v72
	v_and_b32_e32 v70, 0x1800180, v51
	v_bfe_u32 v51, v51, 24, 1
	v_and_b32_e32 v55, 0x180, v57
	v_bfe_i32 v57, v59, 0, 1
	v_bfe_i32 v59, v61, 0, 1
	v_lshl_or_b32 v61, v50, 21, v64
	v_and_or_b32 v64, 0x1fe00000, v69, v68
	s_wait_alu 0xf1ff
	v_cndmask_b32_e64 v69, 0, -1, s2
	v_and_b32_e32 v72, 0x1800180, v53
	v_bfe_u32 v53, v53, 24, 1
	v_cmp_ne_u16_e64 s2, 0, v51
	v_lshrrev_b16 v76, 8, v55
	v_lshrrev_b16 v78, 8, v58
	v_lshl_or_b32 v50, v50, 17, v66
	v_and_b32_e32 v80, 0x1800180, v61
	s_wait_alu 0xf1ff
	v_cndmask_b32_e64 v51, 0, -1, s2
	v_cmp_ne_u16_e64 s2, 0, v53
	v_bfe_u32 v61, v61, 24, 1
	v_lshrrev_b16 v58, 7, v58
	v_and_b32_e32 v82, 0x1800180, v50
	v_bfe_u32 v50, v50, 24, 1
	s_wait_alu 0xf1ff
	v_cndmask_b32_e64 v53, 0, -1, s2
	v_cmp_ne_u16_e64 s2, 0, v76
	v_and_b32_e32 v84, 0x1800180, v64
	v_bfe_u32 v64, v64, 24, 1
	v_bfe_i32 v58, v58, 0, 1
	v_lshlrev_b16 v59, 8, v59
	s_wait_alu 0xf1ff
	v_cndmask_b32_e64 v76, 0, -1, s2
	v_cmp_ne_u16_e64 s2, 0, v78
	v_lshrrev_b16 v91, 8, v84
	v_and_b32_e32 v79, 0xff, v60
	v_lshrrev_b16 v87, 8, v70
	v_lshrrev_b16 v70, 7, v70
	s_wait_alu 0xf1ff
	v_cndmask_b32_e64 v78, 0, -1, s2
	v_cmp_ne_u16_e64 s2, 0, v61
	v_cmp_ne_u16_e64 s3, 0, v91
	v_and_b32_e32 v91, 0xff, v58
	v_or_b32_e32 v79, v79, v59
	v_lshlrev_b16 v78, 8, v78
	s_wait_alu 0xf1ff
	v_cndmask_b32_e64 v61, 0, -1, s2
	v_cmp_ne_u16_e64 s2, 0, v50
	v_bfe_i32 v52, v52, 0, 1
	v_bfe_i32 v70, v70, 0, 1
	v_or_b32_e32 v91, v91, v78
	v_lshlrev_b32_e32 v79, 16, v79
	s_wait_alu 0xf1ff
	v_cndmask_b32_e64 v50, 0, -1, s2
	v_cmp_ne_u16_e64 s2, 0, v64
	v_bfe_i32 v63, v67, 0, 1
	v_and_b32_e32 v91, 0xffff, v91
	v_lshrrev_b16 v66, 8, v71
	v_lshrrev_b16 v67, 7, v71
	s_wait_alu 0xf1ff
	v_cndmask_b32_e64 v64, 0, -1, s2
	v_cmp_ne_u16_e64 s2, 0, v87
	v_and_b32_e32 v71, 0xff, v52
	v_lshrrev_b16 v88, 8, v72
	v_lshlrev_b16 v51, 8, v51
	v_or_b32_e32 v79, v91, v79
	s_wait_alu 0xf1ff
	v_cndmask_b32_e64 v87, 0, -1, s2
	v_and_b32_e32 v91, 0xff, v70
	v_lshrrev_b16 v72, 7, v72
	v_cmp_ne_u16_e64 s2, 0, v88
	v_or_b32_e32 v71, v71, v51
	v_lshlrev_b16 v87, 8, v87
	v_bfe_i32 v54, v54, 0, 1
	v_bfe_i32 v72, v72, 0, 1
	s_wait_alu 0xf1ff
	v_cndmask_b32_e64 v88, 0, -1, s2
	v_lshlrev_b32_e32 v71, 16, v71
	v_or_b32_e32 v91, v91, v87
	v_bfe_i32 v68, v73, 0, 1
	v_and_b32_e32 v73, 0xff, v54
	v_lshrrev_b16 v89, 8, v80
	v_lshlrev_b16 v53, 8, v53
	v_and_b32_e32 v91, 0xffff, v91
	v_lshlrev_b16 v88, 8, v88
	v_bfe_i32 v66, v66, 0, 1
	v_bfe_i32 v67, v67, 0, 1
	v_lshrrev_b16 v80, 7, v80
	v_or_b32_e32 v71, v91, v71
	v_and_b32_e32 v91, 0xff, v72
	v_cmp_ne_u16_e64 s4, 0, v89
	v_or_b32_e32 v73, v73, v53
	v_and_b32_e32 v86, 0xff, v68
	v_lshlrev_b16 v69, 8, v69
	v_or_b32_e32 v91, v91, v88
	v_lshlrev_b16 v66, 8, v66
	v_and_b32_e32 v92, 0xff, v67
	v_bfe_i32 v80, v80, 0, 1
	s_wait_alu 0xf1ff
	v_cndmask_b32_e64 v89, 0, -1, s4
	v_lshlrev_b32_e32 v73, 16, v73
	v_and_b32_e32 v91, 0xffff, v91
	v_lshrrev_b16 v55, 7, v55
	v_and_b32_e32 v81, 0xff, v62
	v_lshrrev_b16 v90, 8, v82
	v_or_b32_e32 v86, v86, v69
	v_or_b32_e32 v92, v92, v66
	v_lshlrev_b16 v61, 8, v61
	v_or_b32_e32 v73, v91, v73
	v_and_b32_e32 v91, 0xff, v80
	v_lshlrev_b16 v89, 8, v89
	v_bfe_i32 v55, v55, 0, 1
	v_lshrrev_b16 v82, 7, v82
	v_cmp_ne_u16_e64 s2, 0, v90
	v_lshlrev_b32_e32 v86, 16, v86
	v_and_b32_e32 v92, 0xffff, v92
	v_or_b32_e32 v81, v81, v61
	v_or_b32_e32 v91, v91, v89
	v_lshlrev_b16 v56, 8, v56
	v_and_b32_e32 v77, 0xff, v57
	v_and_b32_e32 v90, 0xff, v55
	v_lshlrev_b16 v76, 8, v76
	v_bfe_i32 v82, v82, 0, 1
	v_or_b32_e32 v86, v92, v86
	s_wait_alu 0xf1ff
	v_cndmask_b32_e64 v92, 0, -1, s2
	v_lshlrev_b32_e32 v81, 16, v81
	v_and_b32_e32 v91, 0xffff, v91
	v_and_b32_e32 v83, 0xff, v63
	v_or_b32_e32 v77, v77, v56
	v_lshlrev_b16 v50, 8, v50
	v_or_b32_e32 v90, v90, v76
	v_or_b32_e32 v81, v91, v81
	v_and_b32_e32 v91, 0xff, v82
	v_lshlrev_b16 v92, 8, v92
	v_lshrrev_b16 v84, 7, v84
	v_lshlrev_b32_e32 v77, 16, v77
	v_and_b32_e32 v90, 0xffff, v90
	v_or_b32_e32 v83, v83, v50
	v_or_b32_e32 v91, v91, v92
	v_bfe_i32 v84, v84, 0, 1
	v_and_b32_e32 v85, 0xff, v65
	v_or_b32_e32 v77, v90, v77
	v_cndmask_b32_e64 v90, 0, -1, s3
	v_lshlrev_b32_e32 v83, 16, v83
	v_and_b32_e32 v91, 0xffff, v91
	v_lshlrev_b16 v64, 8, v64
	v_lshlrev_b16 v70, 8, v70
	;; [unrolled: 1-line block ×4, first 2 shown]
	v_or_b32_e32 v83, v91, v83
	v_and_b32_e32 v91, 0xff, v84
	v_or_b32_e32 v85, v85, v64
	v_lshlrev_b16 v80, 8, v80
	v_lshlrev_b16 v82, 8, v82
	;; [unrolled: 1-line block ×3, first 2 shown]
	v_or_b32_e32 v91, v91, v90
	v_lshlrev_b32_e32 v85, 16, v85
	v_lshlrev_b16 v54, 8, v54
	v_lshlrev_b16 v57, 8, v57
	;; [unrolled: 1-line block ×3, first 2 shown]
	v_and_b32_e32 v91, 0xffff, v91
	v_lshlrev_b16 v62, 8, v62
	v_lshlrev_b16 v72, 8, v72
	;; [unrolled: 1-line block ×4, first 2 shown]
	v_or_b32_e32 v85, v91, v85
	v_lshlrev_b16 v84, 8, v84
	v_lshlrev_b16 v65, 8, v65
	;; [unrolled: 1-line block ×4, first 2 shown]
	s_wait_loadcnt 0x3
	v_xor_b32_e32 v38, v38, v71
	v_xor_b32_e32 v39, v39, v73
	s_wait_loadcnt 0x2
	v_xor_b32_e32 v40, v40, v77
	v_xor_b32_e32 v41, v41, v79
	s_wait_loadcnt 0x1
	v_xor_b32_e32 v42, v42, v81
	v_xor_b32_e32 v43, v43, v83
	v_lshrrev_b32_e32 v71, 16, v38
	v_and_b32_e32 v73, 0xffffff00, v38
	v_lshlrev_b16 v38, 8, v38
	v_and_b32_e32 v79, 0xffffff00, v39
	s_wait_loadcnt 0x0
	v_xor_b32_e32 v44, v44, v85
	v_xor_b32_e32 v45, v45, v86
	v_lshrrev_b32_e32 v77, 16, v39
	v_lshrrev_b32_e32 v81, 16, v40
	v_and_b32_e32 v83, 0xffffff00, v40
	v_lshrrev_b32_e32 v85, 16, v41
	v_and_b32_e32 v86, 0xffffff00, v41
	v_lshlrev_b16 v41, 8, v41
	v_lshrrev_b32_e32 v91, 16, v42
	v_sub_nc_i16 v73, v73, v87 clamp
	v_and_b32_e32 v87, 0xffffff00, v42
	v_lshlrev_b16 v42, 8, v42
	v_sub_nc_i16 v38, v38, v70 clamp
	v_lshrrev_b32_e32 v70, 16, v43
	v_sub_nc_i16 v79, v79, v88 clamp
	v_and_b32_e32 v88, 0xffffff00, v43
	v_lshlrev_b16 v43, 8, v43
	v_lshlrev_b16 v39, 8, v39
	v_sub_nc_i16 v76, v83, v76 clamp
	v_and_b32_e32 v83, 0xffffff00, v44
	v_sub_nc_i16 v41, v41, v58 clamp
	v_and_b32_e32 v58, 0xffffff00, v71
	v_lshlrev_b16 v71, 8, v71
	v_sub_nc_i16 v87, v87, v89 clamp
	v_and_b32_e32 v89, 0xffffff00, v77
	v_lshlrev_b16 v77, 8, v77
	;; [unrolled: 3-line block ×5, first 2 shown]
	v_lshlrev_b16 v40, 8, v40
	v_sub_nc_i16 v39, v39, v72 clamp
	v_lshrrev_b32_e32 v72, 16, v44
	v_lshlrev_b16 v44, 8, v44
	v_sub_nc_i16 v83, v83, v90 clamp
	v_and_b32_e32 v90, 0xffffff00, v70
	v_lshlrev_b16 v70, 8, v70
	v_sub_nc_i16 v51, v58, v51 clamp
	v_sub_nc_i16 v52, v71, v52 clamp
	;; [unrolled: 1-line block ×11, first 2 shown]
	v_lshrrev_b32_e32 v55, 16, v45
	v_sub_nc_i16 v78, v86, v78 clamp
	v_and_b32_e32 v86, 0xffffff00, v45
	v_lshlrev_b16 v45, 8, v45
	v_sub_nc_i16 v44, v44, v84 clamp
	v_and_b32_e32 v84, 0xffffff00, v72
	v_lshlrev_b16 v72, 8, v72
	v_perm_b32 v38, v38, v73, 0xc0c0105
	v_perm_b32 v42, v42, v87, 0xc0c0105
	v_sub_nc_i16 v50, v90, v50 clamp
	v_sub_nc_i16 v62, v70, v63 clamp
	v_perm_b32 v51, v52, v51, 0xc0c0105
	v_perm_b32 v52, v54, v53, 0xc0c0105
	v_perm_b32 v53, v57, v56, 0xc0c0105
	v_perm_b32 v56, v61, v60, 0xc0c0105
	v_sub_nc_i16 v45, v45, v67 clamp
	v_and_b32_e32 v67, 0xffffff00, v55
	v_lshlrev_b16 v55, 8, v55
	v_perm_b32 v39, v39, v79, 0xc0c0105
	v_perm_b32 v43, v43, v88, 0xc0c0105
	v_sub_nc_i16 v63, v84, v64 clamp
	v_sub_nc_i16 v64, v72, v65 clamp
	v_perm_b32 v50, v62, v50, 0xc0c0105
	v_lshl_or_b32 v38, v51, 16, v38
	v_lshl_or_b32 v42, v56, 16, v42
	v_sub_nc_i16 v66, v86, v66 clamp
	v_perm_b32 v40, v40, v76, 0xc0c0105
	v_perm_b32 v44, v44, v83, 0xc0c0105
	v_sub_nc_i16 v65, v67, v69 clamp
	v_sub_nc_i16 v55, v55, v68 clamp
	v_perm_b32 v57, v64, v63, 0xc0c0105
	v_lshl_or_b32 v39, v52, 16, v39
	v_lshl_or_b32 v43, v50, 16, v43
	v_dot4_i32_iu8 v15, v38, v15, 0 neg_lo:[1,1,0]
	v_dot4_i32_iu8 v19, v42, v19, 0 neg_lo:[1,1,0]
	v_dot4_i32_iu8 v23, v38, v23, 0 neg_lo:[1,1,0]
	v_dot4_i32_iu8 v27, v42, v27, 0 neg_lo:[1,1,0]
	v_dot4_i32_iu8 v31, v38, v31, 0 neg_lo:[1,1,0]
	v_dot4_i32_iu8 v35, v42, v35, 0 neg_lo:[1,1,0]
	v_perm_b32 v41, v41, v78, 0xc0c0105
	v_perm_b32 v45, v45, v66, 0xc0c0105
	;; [unrolled: 1-line block ×4, first 2 shown]
	v_lshl_or_b32 v40, v53, 16, v40
	v_lshl_or_b32 v44, v57, 16, v44
	v_dot4_i32_iu8 v15, v39, v16, v15 neg_lo:[1,1,0]
	v_dot4_i32_iu8 v16, v43, v20, v19 neg_lo:[1,1,0]
	;; [unrolled: 1-line block ×6, first 2 shown]
	v_lshl_or_b32 v41, v54, 16, v41
	v_lshl_or_b32 v45, v55, 16, v45
	v_dot4_i32_iu8 v15, v40, v17, v15 neg_lo:[1,1,0]
	v_dot4_i32_iu8 v16, v44, v21, v16 neg_lo:[1,1,0]
	;; [unrolled: 1-line block ×12, first 2 shown]
	v_mul_lo_u32 v21, v15, v75
	v_mul_lo_u32 v23, v16, v74
	v_add_nc_u32_e32 v15, v16, v15
	v_add_nc_u32_e32 v16, v18, v17
	;; [unrolled: 1-line block ×3, first 2 shown]
	v_mul_lo_u32 v17, v17, v75
	v_mul_lo_u32 v18, v18, v74
	v_lshrrev_b32_e32 v25, 31, v15
	v_lshrrev_b32_e32 v26, 31, v16
	;; [unrolled: 1-line block ×3, first 2 shown]
	v_mul_lo_u32 v19, v19, v75
	v_mul_lo_u32 v20, v20, v74
	v_add_nc_u32_e32 v15, v15, v25
	v_add_nc_u32_e32 v16, v16, v26
	;; [unrolled: 1-line block ×3, first 2 shown]
	s_delay_alu instid0(VALU_DEP_3) | instskip(NEXT) | instid1(VALU_DEP_3)
	v_ashrrev_i32_e32 v15, 1, v15
	v_ashrrev_i32_e32 v16, 1, v16
	s_delay_alu instid0(VALU_DEP_3) | instskip(NEXT) | instid1(VALU_DEP_3)
	v_ashrrev_i32_e32 v24, 1, v24
	v_add3_u32 v15, v23, v21, v15
	s_delay_alu instid0(VALU_DEP_3) | instskip(NEXT) | instid1(VALU_DEP_3)
	v_add3_u32 v16, v18, v17, v16
	v_add3_u32 v17, v20, v19, v24
	v_cvt_f32_f16_e32 v18, v30
	v_cvt_f32_f16_e32 v23, v49
	v_ashrrev_i32_e32 v19, 31, v15
	v_ashrrev_i32_e32 v20, 31, v16
	;; [unrolled: 1-line block ×3, first 2 shown]
	v_add_nc_u32_e32 v8, 4, v8
	v_dual_mul_f32 v14, v23, v14 :: v_dual_add_nc_u32 v11, 32, v11
	v_lshrrev_b32_e32 v19, 30, v19
	v_lshrrev_b32_e32 v20, 30, v20
	;; [unrolled: 1-line block ×3, first 2 shown]
	v_mul_f32_e32 v18, v23, v18
	s_delay_alu instid0(VALU_DEP_4) | instskip(NEXT) | instid1(VALU_DEP_4)
	v_add_nc_u32_e32 v15, v15, v19
	v_add_nc_u32_e32 v16, v16, v20
	s_delay_alu instid0(VALU_DEP_4)
	v_add_nc_u32_e32 v17, v17, v21
	v_mul_f32_e32 v19, v23, v22
	v_cmp_le_u32_e32 vcc_lo, s24, v8
	v_ashrrev_i32_e32 v15, 2, v15
	v_ashrrev_i32_e32 v16, 2, v16
	;; [unrolled: 1-line block ×3, first 2 shown]
	s_or_b32 s21, vcc_lo, s21
	s_delay_alu instid0(VALU_DEP_3) | instskip(NEXT) | instid1(VALU_DEP_3)
	v_cvt_f32_i32_e32 v15, v15
	v_cvt_f32_i32_e32 v16, v16
	s_delay_alu instid0(VALU_DEP_3) | instskip(NEXT) | instid1(VALU_DEP_3)
	v_cvt_f32_i32_e32 v17, v17
	v_dual_fmac_f32 v9, v14, v15 :: v_dual_add_nc_u32 v12, 32, v12
	s_delay_alu instid0(VALU_DEP_3) | instskip(NEXT) | instid1(VALU_DEP_3)
	v_fmac_f32_e32 v7, v19, v16
	v_fmac_f32_e32 v5, v18, v17
	s_wait_alu 0xfffe
	s_and_not1_b32 exec_lo, exec_lo, s21
	s_cbranch_execnz .LBB186_2
; %bb.3:
	s_or_b32 exec_lo, exec_lo, s21
.LBB186_4:
	s_delay_alu instid0(SALU_CYCLE_1)
	s_or_b32 exec_lo, exec_lo, s23
	s_mov_b32 s3, 0
	; wave barrier
	global_inv scope:SCOPE_SE
	s_mov_b32 s2, exec_lo
	v_cmpx_eq_u32_e32 0, v6
	s_cbranch_execz .LBB186_11
; %bb.5:
	v_mbcnt_lo_u32_b32 v6, -1, 0
	s_load_b64 s[0:1], s[0:1], 0x38
	s_mul_i32 s2, s10, s19
	s_mul_i32 s4, s18, s22
	s_wait_alu 0xfffe
	s_add_co_i32 s2, s2, ttmp9
	v_xor_b32_e32 v0, 16, v6
	v_xor_b32_e32 v1, 8, v6
	;; [unrolled: 1-line block ×3, first 2 shown]
	s_wait_alu 0xfffe
	s_add_co_i32 s2, s2, s4
	s_wait_alu 0xfffe
	s_lshl_b64 s[2:3], s[2:3], 2
	v_cmp_gt_i32_e32 vcc_lo, 32, v0
	s_wait_alu 0xfffd
	v_cndmask_b32_e32 v0, v6, v0, vcc_lo
	v_cmp_gt_i32_e32 vcc_lo, 32, v1
	s_wait_kmcnt 0x0
	s_wait_alu 0xfffe
	s_add_nc_u64 s[0:1], s[0:1], s[2:3]
	s_wait_alu 0xfffd
	v_cndmask_b32_e32 v1, v6, v1, vcc_lo
	s_delay_alu instid0(VALU_DEP_1)
	v_lshlrev_b32_e32 v1, 2, v1
	v_lshlrev_b32_e32 v0, 2, v0
	ds_bpermute_b32 v2, v0, v9
	s_wait_dscnt 0x0
	v_add_f32_e32 v3, v9, v2
	v_xor_b32_e32 v2, 4, v6
	ds_bpermute_b32 v8, v1, v3
	v_cmp_gt_i32_e32 vcc_lo, 32, v2
	s_wait_alu 0xfffd
	v_cndmask_b32_e32 v2, v6, v2, vcc_lo
	s_wait_dscnt 0x0
	v_add_f32_e32 v8, v3, v8
	v_xor_b32_e32 v3, 2, v6
	s_delay_alu instid0(VALU_DEP_1) | instskip(SKIP_3) | instid1(VALU_DEP_2)
	v_cmp_gt_i32_e32 vcc_lo, 32, v3
	s_wait_alu 0xfffd
	v_cndmask_b32_e32 v3, v6, v3, vcc_lo
	v_cmp_gt_i32_e32 vcc_lo, 32, v10
	v_lshlrev_b32_e32 v3, 2, v3
	v_lshlrev_b32_e32 v2, 2, v2
	s_wait_alu 0xfffd
	v_cndmask_b32_e32 v6, v6, v10, vcc_lo
	v_cmp_eq_u32_e32 vcc_lo, 0, v4
	ds_bpermute_b32 v9, v2, v8
	v_lshlrev_b32_e32 v6, 2, v6
	s_wait_dscnt 0x0
	v_add_f32_e32 v8, v8, v9
	ds_bpermute_b32 v9, v3, v8
	s_wait_dscnt 0x0
	v_add_f32_e32 v8, v8, v9
	ds_bpermute_b32 v9, v6, v8
	s_and_saveexec_b32 s2, vcc_lo
	s_cbranch_execz .LBB186_7
; %bb.6:
	s_wait_dscnt 0x0
	v_add_f32_e32 v4, v8, v9
	v_mov_b32_e32 v8, 0
	global_store_b32 v8, v4, s[0:1]
.LBB186_7:
	s_wait_alu 0xfffe
	s_or_b32 exec_lo, exec_lo, s2
	ds_bpermute_b32 v4, v0, v7
	s_wait_dscnt 0x0
	v_add_f32_e32 v4, v7, v4
	ds_bpermute_b32 v7, v1, v4
	s_wait_dscnt 0x0
	v_add_f32_e32 v4, v4, v7
	;; [unrolled: 3-line block ×4, first 2 shown]
	ds_bpermute_b32 v7, v6, v4
	s_and_saveexec_b32 s2, vcc_lo
	s_cbranch_execz .LBB186_9
; %bb.8:
	s_mov_b32 s7, 0
	s_wait_dscnt 0x0
	v_dual_add_f32 v4, v4, v7 :: v_dual_mov_b32 v7, 0
	s_wait_alu 0xfffe
	s_lshl_b64 s[4:5], s[6:7], 2
	s_wait_alu 0xfffe
	s_add_nc_u64 s[4:5], s[0:1], s[4:5]
	global_store_b32 v7, v4, s[4:5]
.LBB186_9:
	s_wait_alu 0xfffe
	s_or_b32 exec_lo, exec_lo, s2
	ds_bpermute_b32 v0, v0, v5
	s_wait_dscnt 0x0
	v_add_f32_e32 v0, v5, v0
	ds_bpermute_b32 v1, v1, v0
	s_wait_dscnt 0x0
	v_add_f32_e32 v0, v0, v1
	;; [unrolled: 3-line block ×4, first 2 shown]
	ds_bpermute_b32 v1, v6, v0
	s_and_b32 exec_lo, exec_lo, vcc_lo
	s_cbranch_execz .LBB186_11
; %bb.10:
	s_lshl_b32 s2, s6, 1
	s_mov_b32 s3, 0
	s_wait_dscnt 0x0
	v_dual_add_f32 v0, v0, v1 :: v_dual_mov_b32 v1, 0
	s_wait_alu 0xfffe
	s_lshl_b64 s[2:3], s[2:3], 2
	s_wait_alu 0xfffe
	s_add_nc_u64 s[0:1], s[0:1], s[2:3]
	global_store_b32 v1, v0, s[0:1]
.LBB186_11:
	s_endpgm
	.section	.rodata,"a",@progbits
	.p2align	6, 0x0
	.amdhsa_kernel _ZL13mul_mat_vec_qIL9ggml_type22ELi3ELb0ELb0EEvPKvS2_PKi31ggml_cuda_mm_fusion_args_devicePfj15HIP_vector_typeIjLj3EEjjjS8_jjjS8_jjjj
		.amdhsa_group_segment_fixed_size 0
		.amdhsa_private_segment_fixed_size 0
		.amdhsa_kernarg_size 144
		.amdhsa_user_sgpr_count 2
		.amdhsa_user_sgpr_dispatch_ptr 0
		.amdhsa_user_sgpr_queue_ptr 0
		.amdhsa_user_sgpr_kernarg_segment_ptr 1
		.amdhsa_user_sgpr_dispatch_id 0
		.amdhsa_user_sgpr_private_segment_size 0
		.amdhsa_wavefront_size32 1
		.amdhsa_uses_dynamic_stack 0
		.amdhsa_enable_private_segment 0
		.amdhsa_system_sgpr_workgroup_id_x 1
		.amdhsa_system_sgpr_workgroup_id_y 1
		.amdhsa_system_sgpr_workgroup_id_z 1
		.amdhsa_system_sgpr_workgroup_info 0
		.amdhsa_system_vgpr_workitem_id 1
		.amdhsa_next_free_vgpr 93
		.amdhsa_next_free_sgpr 30
		.amdhsa_reserve_vcc 1
		.amdhsa_float_round_mode_32 0
		.amdhsa_float_round_mode_16_64 0
		.amdhsa_float_denorm_mode_32 3
		.amdhsa_float_denorm_mode_16_64 3
		.amdhsa_fp16_overflow 0
		.amdhsa_workgroup_processor_mode 1
		.amdhsa_memory_ordered 1
		.amdhsa_forward_progress 1
		.amdhsa_inst_pref_size 33
		.amdhsa_round_robin_scheduling 0
		.amdhsa_exception_fp_ieee_invalid_op 0
		.amdhsa_exception_fp_denorm_src 0
		.amdhsa_exception_fp_ieee_div_zero 0
		.amdhsa_exception_fp_ieee_overflow 0
		.amdhsa_exception_fp_ieee_underflow 0
		.amdhsa_exception_fp_ieee_inexact 0
		.amdhsa_exception_int_div_zero 0
	.end_amdhsa_kernel
	.section	.text._ZL13mul_mat_vec_qIL9ggml_type22ELi3ELb0ELb0EEvPKvS2_PKi31ggml_cuda_mm_fusion_args_devicePfj15HIP_vector_typeIjLj3EEjjjS8_jjjS8_jjjj,"axG",@progbits,_ZL13mul_mat_vec_qIL9ggml_type22ELi3ELb0ELb0EEvPKvS2_PKi31ggml_cuda_mm_fusion_args_devicePfj15HIP_vector_typeIjLj3EEjjjS8_jjjS8_jjjj,comdat
.Lfunc_end186:
	.size	_ZL13mul_mat_vec_qIL9ggml_type22ELi3ELb0ELb0EEvPKvS2_PKi31ggml_cuda_mm_fusion_args_devicePfj15HIP_vector_typeIjLj3EEjjjS8_jjjS8_jjjj, .Lfunc_end186-_ZL13mul_mat_vec_qIL9ggml_type22ELi3ELb0ELb0EEvPKvS2_PKi31ggml_cuda_mm_fusion_args_devicePfj15HIP_vector_typeIjLj3EEjjjS8_jjjS8_jjjj
                                        ; -- End function
	.set _ZL13mul_mat_vec_qIL9ggml_type22ELi3ELb0ELb0EEvPKvS2_PKi31ggml_cuda_mm_fusion_args_devicePfj15HIP_vector_typeIjLj3EEjjjS8_jjjS8_jjjj.num_vgpr, 93
	.set _ZL13mul_mat_vec_qIL9ggml_type22ELi3ELb0ELb0EEvPKvS2_PKi31ggml_cuda_mm_fusion_args_devicePfj15HIP_vector_typeIjLj3EEjjjS8_jjjS8_jjjj.num_agpr, 0
	.set _ZL13mul_mat_vec_qIL9ggml_type22ELi3ELb0ELb0EEvPKvS2_PKi31ggml_cuda_mm_fusion_args_devicePfj15HIP_vector_typeIjLj3EEjjjS8_jjjS8_jjjj.numbered_sgpr, 30
	.set _ZL13mul_mat_vec_qIL9ggml_type22ELi3ELb0ELb0EEvPKvS2_PKi31ggml_cuda_mm_fusion_args_devicePfj15HIP_vector_typeIjLj3EEjjjS8_jjjS8_jjjj.num_named_barrier, 0
	.set _ZL13mul_mat_vec_qIL9ggml_type22ELi3ELb0ELb0EEvPKvS2_PKi31ggml_cuda_mm_fusion_args_devicePfj15HIP_vector_typeIjLj3EEjjjS8_jjjS8_jjjj.private_seg_size, 0
	.set _ZL13mul_mat_vec_qIL9ggml_type22ELi3ELb0ELb0EEvPKvS2_PKi31ggml_cuda_mm_fusion_args_devicePfj15HIP_vector_typeIjLj3EEjjjS8_jjjS8_jjjj.uses_vcc, 1
	.set _ZL13mul_mat_vec_qIL9ggml_type22ELi3ELb0ELb0EEvPKvS2_PKi31ggml_cuda_mm_fusion_args_devicePfj15HIP_vector_typeIjLj3EEjjjS8_jjjS8_jjjj.uses_flat_scratch, 0
	.set _ZL13mul_mat_vec_qIL9ggml_type22ELi3ELb0ELb0EEvPKvS2_PKi31ggml_cuda_mm_fusion_args_devicePfj15HIP_vector_typeIjLj3EEjjjS8_jjjS8_jjjj.has_dyn_sized_stack, 0
	.set _ZL13mul_mat_vec_qIL9ggml_type22ELi3ELb0ELb0EEvPKvS2_PKi31ggml_cuda_mm_fusion_args_devicePfj15HIP_vector_typeIjLj3EEjjjS8_jjjS8_jjjj.has_recursion, 0
	.set _ZL13mul_mat_vec_qIL9ggml_type22ELi3ELb0ELb0EEvPKvS2_PKi31ggml_cuda_mm_fusion_args_devicePfj15HIP_vector_typeIjLj3EEjjjS8_jjjS8_jjjj.has_indirect_call, 0
	.section	.AMDGPU.csdata,"",@progbits
; Kernel info:
; codeLenInByte = 4120
; TotalNumSgprs: 32
; NumVgprs: 93
; ScratchSize: 0
; MemoryBound: 0
; FloatMode: 240
; IeeeMode: 1
; LDSByteSize: 0 bytes/workgroup (compile time only)
; SGPRBlocks: 0
; VGPRBlocks: 11
; NumSGPRsForWavesPerEU: 32
; NumVGPRsForWavesPerEU: 93
; Occupancy: 16
; WaveLimiterHint : 0
; COMPUTE_PGM_RSRC2:SCRATCH_EN: 0
; COMPUTE_PGM_RSRC2:USER_SGPR: 2
; COMPUTE_PGM_RSRC2:TRAP_HANDLER: 0
; COMPUTE_PGM_RSRC2:TGID_X_EN: 1
; COMPUTE_PGM_RSRC2:TGID_Y_EN: 1
; COMPUTE_PGM_RSRC2:TGID_Z_EN: 1
; COMPUTE_PGM_RSRC2:TIDIG_COMP_CNT: 1
	.section	.text._ZL13mul_mat_vec_qIL9ggml_type22ELi4ELb0ELb0EEvPKvS2_PKi31ggml_cuda_mm_fusion_args_devicePfj15HIP_vector_typeIjLj3EEjjjS8_jjjS8_jjjj,"axG",@progbits,_ZL13mul_mat_vec_qIL9ggml_type22ELi4ELb0ELb0EEvPKvS2_PKi31ggml_cuda_mm_fusion_args_devicePfj15HIP_vector_typeIjLj3EEjjjS8_jjjS8_jjjj,comdat
	.globl	_ZL13mul_mat_vec_qIL9ggml_type22ELi4ELb0ELb0EEvPKvS2_PKi31ggml_cuda_mm_fusion_args_devicePfj15HIP_vector_typeIjLj3EEjjjS8_jjjS8_jjjj ; -- Begin function _ZL13mul_mat_vec_qIL9ggml_type22ELi4ELb0ELb0EEvPKvS2_PKi31ggml_cuda_mm_fusion_args_devicePfj15HIP_vector_typeIjLj3EEjjjS8_jjjS8_jjjj
	.p2align	8
	.type	_ZL13mul_mat_vec_qIL9ggml_type22ELi4ELb0ELb0EEvPKvS2_PKi31ggml_cuda_mm_fusion_args_devicePfj15HIP_vector_typeIjLj3EEjjjS8_jjjS8_jjjj,@function
_ZL13mul_mat_vec_qIL9ggml_type22ELi4ELb0ELb0EEvPKvS2_PKi31ggml_cuda_mm_fusion_args_devicePfj15HIP_vector_typeIjLj3EEjjjS8_jjjS8_jjjj: ; @_ZL13mul_mat_vec_qIL9ggml_type22ELi4ELb0ELb0EEvPKvS2_PKi31ggml_cuda_mm_fusion_args_devicePfj15HIP_vector_typeIjLj3EEjjjS8_jjjS8_jjjj
; %bb.0:
	s_clause 0x5
	s_load_b96 s[16:18], s[0:1], 0x80
	s_load_b32 s12, s[0:1], 0x40
	s_load_b128 s[4:7], s[0:1], 0x50
	s_load_b32 s3, s[0:1], 0x60
	s_load_b128 s[8:11], s[0:1], 0x68
	s_load_b32 s2, s[0:1], 0x78
	v_bfe_u32 v8, v0, 10, 10
	v_dual_mov_b32 v6, 0 :: v_dual_and_b32 v5, 0x3ff, v0
	v_mov_b32_e32 v7, 0
	v_mov_b32_e32 v9, 0
	;; [unrolled: 1-line block ×3, first 2 shown]
	s_delay_alu instid0(VALU_DEP_4) | instskip(SKIP_3) | instid1(VALU_DEP_1)
	v_lshl_or_b32 v0, v8, 5, v5
	s_and_b32 s19, ttmp7, 0xffff
	s_lshr_b32 s22, ttmp7, 16
	s_mov_b32 s23, exec_lo
	v_lshrrev_b32_e32 v10, 3, v0
	s_wait_kmcnt 0x0
	s_lshr_b32 s24, s12, 8
	s_delay_alu instid0(VALU_DEP_1) | instid1(SALU_CYCLE_1)
	v_cmpx_gt_u32_e64 s24, v10
	s_cbranch_execz .LBB187_4
; %bb.1:
	v_lshl_add_u32 v0, v8, 5, v5
	s_mov_b32 s21, 0
	s_mul_i32 s26, s9, s19
	s_mov_b32 s27, s21
	s_load_b128 s[12:15], s[0:1], 0x0
	v_lshrrev_b32_e32 v0, 3, v0
	s_mul_u64 s[26:27], s[26:27], 36
	s_mul_i32 s20, s17, s22
	v_and_b32_e32 v12, 7, v5
	s_mul_hi_u32 s7, s7, s19
	v_mad_co_u64_u32 v[0:1], null, 0x120, v0, s[26:27]
	s_add_co_i32 s7, s19, s7
	v_lshlrev_b32_e32 v4, 3, v10
	s_lshr_b32 s3, s7, s3
	v_dual_mov_b32 v6, 0 :: v_dual_lshlrev_b32 v7, 1, v12
	s_mul_i32 s7, s3, s8
	v_mad_co_u64_u32 v[0:1], null, s20, 36, v[0:1]
	s_mul_hi_u32 s3, s11, s22
	s_mul_u64 s[8:9], s[20:21], 36
	s_add_co_i32 s3, s22, s3
	v_mad_co_u64_u32 v[2:3], null, s5, 3, v[4:5]
	s_lshr_b32 s11, s3, s2
	v_mad_co_u64_u32 v[14:15], null, v12, 36, v[0:1]
	s_wait_kmcnt 0x0
	s_add_nc_u64 s[2:3], s[14:15], s[8:9]
	s_mul_i32 s4, s4, ttmp9
	s_add_nc_u64 s[2:3], s[2:3], s[26:27]
	v_add_nc_u32_e32 v13, s5, v4
	v_mov_b32_e32 v11, 0
	s_mul_i32 s8, s11, s16
	v_add_co_u32 v3, vcc_lo, s14, v14
	s_delay_alu instid0(VALU_DEP_1)
	v_add_co_ci_u32_e64 v9, null, s15, v15, vcc_lo
	v_lshlrev_b32_e32 v15, 1, v7
	v_mov_b32_e32 v7, 0
	v_mad_co_u64_u32 v[0:1], null, v12, 36, s[2:3]
	v_add_co_u32 v3, vcc_lo, v3, 16
	v_lshl_add_u32 v14, s5, 1, v4
	s_wait_alu 0xfffd
	v_add_co_ci_u32_e64 v4, null, 0, v9, vcc_lo
	v_mov_b32_e32 v9, 0
	s_wait_alu 0xfffe
	s_add_co_i32 s7, s7, s4
	s_delay_alu instid0(SALU_CYCLE_1)
	s_add_co_i32 s4, s8, s7
.LBB187_2:                              ; =>This Inner Loop Header: Depth=1
	s_wait_alu 0xfffe
	v_add_nc_u32_e32 v24, s4, v10
	v_mad_co_u64_u32 v[32:33], null, v13, 36, v[0:1]
	v_mad_co_u64_u32 v[36:37], null, v14, 36, v[0:1]
	s_delay_alu instid0(VALU_DEP_3)
	v_mad_co_i64_i32 v[46:47], null, 0x52, v24, s[12:13]
	v_mad_co_u64_u32 v[44:45], null, v2, 36, v[0:1]
	s_clause 0x1
	global_load_b128 v[16:19], v[3:4], off offset:-16
	global_load_b128 v[20:23], v[3:4], off
	s_clause 0x6
	global_load_b128 v[24:27], v[32:33], off
	global_load_b128 v[28:31], v[32:33], off offset:16
	global_load_b32 v54, v[32:33], off offset:32
	global_load_b128 v[32:35], v[36:37], off
	global_load_b32 v55, v[36:37], off offset:32
	global_load_b128 v[36:39], v[36:37], off offset:16
	global_load_b128 v[40:43], v[44:45], off
	s_getpc_b64 s[2:3]
	s_wait_alu 0xfffe
	s_sext_i32_i16 s3, s3
	s_add_co_u32 s2, s2, _ZL9iq2s_grid@rel32@lo+12
	s_wait_alu 0xfffe
	s_add_co_ci_u32 s3, s3, _ZL9iq2s_grid@rel32@hi+24
	v_add_nc_u32_e32 v10, 4, v10
	v_add_co_u32 v48, vcc_lo, v46, v15
	s_wait_alu 0xfffd
	v_add_co_ci_u32_e64 v49, null, 0, v47, vcc_lo
	v_add_co_u32 v50, vcc_lo, v46, v12
	s_wait_alu 0xfffd
	v_add_co_ci_u32_e64 v51, null, 0, v47, vcc_lo
	s_clause 0x4
	global_load_b32 v52, v[48:49], off offset:2
	global_load_u8 v56, v[50:51], off offset:74
	global_load_b32 v48, v[48:49], off offset:34
	global_load_u8 v49, v[50:51], off offset:66
	global_load_u16 v57, v[46:47], off
	v_add_nc_u32_e32 v13, 32, v13
	v_add_nc_u32_e32 v2, 32, v2
	;; [unrolled: 1-line block ×3, first 2 shown]
	s_wait_loadcnt 0xb
	v_cvt_f32_f16_e32 v24, v24
	s_wait_loadcnt 0x8
	v_cvt_f32_f16_e32 v32, v32
	v_cvt_f32_f16_e32 v16, v16
	s_wait_loadcnt 0x4
	v_and_b32_e32 v50, 0xff, v52
	v_bfe_u32 v62, v52, 8, 8
	s_wait_loadcnt 0x2
	v_and_b32_e32 v53, 0xff, v48
	s_wait_loadcnt 0x1
	v_lshlrev_b32_e32 v51, 8, v49
	v_lshlrev_b32_e32 v58, 21, v48
	v_lshlrev_b32_e32 v60, 17, v48
	v_lshlrev_b32_e32 v63, 6, v49
	v_lshrrev_b32_e32 v46, 24, v52
	v_bfe_u32 v52, v52, 16, 8
	v_lshlrev_b32_e32 v70, 4, v49
	v_lshlrev_b32_e32 v49, 2, v49
	v_lshrrev_b32_e32 v47, 16, v48
	v_lshrrev_b32_e32 v59, 2, v48
	;; [unrolled: 1-line block ×19, first 2 shown]
	v_and_or_b32 v50, 0x300, v51, v50
	v_lshl_or_b32 v51, v53, 7, v58
	v_lshl_or_b32 v53, v53, 3, v60
	v_and_or_b32 v60, 0x300, v63, v62
	v_and_or_b32 v52, 0x300, v70, v52
	;; [unrolled: 1-line block ×3, first 2 shown]
	v_bfe_i32 v58, v59, 0, 1
	v_bfe_i32 v59, v61, 0, 1
	v_and_b32_e32 v61, 0x180, v64
	v_and_b32_e32 v64, 0x180, v67
	v_lshl_or_b32 v67, v47, 21, v71
	v_lshl_or_b32 v47, v47, 17, v73
	v_and_or_b32 v49, 0x1fe00000, v76, v75
	v_bfe_i32 v73, v48, 0, 1
	v_lshlrev_b32_e32 v48, 3, v50
	v_lshlrev_b32_e32 v50, 3, v60
	v_and_b32_e32 v75, 0x1800180, v51
	v_bfe_u32 v76, v51, 24, 1
	v_lshlrev_b32_e32 v51, 3, v52
	v_lshlrev_b32_e32 v52, 3, v46
	v_bfe_i32 v62, v65, 0, 1
	v_bfe_i32 v65, v68, 0, 1
	;; [unrolled: 1-line block ×3, first 2 shown]
	v_lshrrev_b16 v71, 8, v78
	v_lshrrev_b16 v72, 7, v78
	v_cmp_ne_u16_e32 vcc_lo, 0, v79
	v_and_b32_e32 v78, 0x1800180, v53
	v_bfe_u32 v79, v53, 24, 1
	v_and_b32_e32 v86, 0x1800180, v47
	v_bfe_u32 v87, v47, 24, 1
	;; [unrolled: 2-line block ×3, first 2 shown]
	s_clause 0x3
	global_load_b64 v[46:47], v48, s[2:3]
	global_load_b64 v[48:49], v50, s[2:3]
	;; [unrolled: 1-line block ×4, first 2 shown]
	v_lshrrev_b16 v92, 8, v75
	v_bfe_i32 v63, v66, 0, 1
	v_bfe_i32 v66, v69, 0, 1
	;; [unrolled: 1-line block ×3, first 2 shown]
	s_wait_alu 0xfffd
	v_cndmask_b32_e64 v74, 0, -1, vcc_lo
	v_lshrrev_b16 v82, 8, v64
	v_lshrrev_b16 v75, 7, v75
	v_cmp_ne_u16_e32 vcc_lo, 0, v76
	v_cmp_ne_u16_e64 s2, 0, v79
	v_cmp_ne_u16_e64 s3, 0, v92
	v_lshrrev_b16 v60, 8, v61
	v_bfe_i32 v75, v75, 0, 1
	s_wait_alu 0xfffd
	v_cndmask_b32_e64 v76, 0, -1, vcc_lo
	s_wait_alu 0xf1ff
	v_cndmask_b32_e64 v79, 0, -1, s2
	v_cmp_ne_u16_e64 s2, 0, v82
	s_wait_alu 0xfffe
	v_cndmask_b32_e64 v82, 0, -1, s3
	v_bfe_i32 v70, v77, 0, 1
	v_and_b32_e32 v77, 0xff, v58
	v_cmp_ne_u16_e32 vcc_lo, 0, v60
	v_lshrrev_b16 v60, 8, v78
	v_lshlrev_b16 v76, 8, v76
	v_and_b32_e32 v92, 0xff, v75
	v_lshlrev_b16 v82, 8, v82
	v_lshrrev_b16 v78, 7, v78
	v_cmp_ne_u16_e64 s3, 0, v60
	v_or_b32_e32 v77, v77, v76
	v_and_b32_e32 v80, 0xff, v59
	v_or_b32_e32 v92, v92, v82
	v_bfe_i32 v78, v78, 0, 1
	s_wait_alu 0xf1ff
	v_cndmask_b32_e64 v60, 0, -1, s3
	v_lshlrev_b32_e32 v77, 16, v77
	v_lshlrev_b16 v79, 8, v79
	v_and_b32_e32 v92, 0xffff, v92
	v_lshrrev_b16 v61, 7, v61
	v_lshlrev_b16 v60, 8, v60
	v_lshlrev_b16 v65, 8, v65
	v_or_b32_e32 v80, v80, v79
	v_or_b32_e32 v77, v92, v77
	v_and_b32_e32 v92, 0xff, v78
	v_and_b32_e32 v83, 0xff, v66
	;; [unrolled: 1-line block ×3, first 2 shown]
	v_lshlrev_b32_e32 v80, 16, v80
	v_bfe_u32 v67, v67, 24, 1
	v_or_b32_e32 v92, v92, v60
	v_bfe_i32 v61, v61, 0, 1
	v_lshlrev_b16 v62, 8, v62
	v_and_b32_e32 v81, 0xff, v63
	v_lshrrev_b16 v64, 7, v64
	v_and_b32_e32 v92, 0xffff, v92
	v_and_b32_e32 v85, 0xff, v68
	;; [unrolled: 1-line block ×3, first 2 shown]
	v_or_b32_e32 v81, v81, v62
	v_bfe_i32 v64, v64, 0, 1
	v_or_b32_e32 v80, v92, v80
	s_wait_alu 0xfffd
	v_cndmask_b32_e64 v92, 0, -1, vcc_lo
	v_cmp_ne_u16_e32 vcc_lo, 0, v87
	v_lshrrev_b16 v87, 8, v86
	v_lshlrev_b32_e32 v81, 16, v81
	v_lshrrev_b16 v86, 7, v86
	v_lshlrev_b16 v92, 8, v92
	v_bfe_i32 v71, v71, 0, 1
	v_bfe_i32 v72, v72, 0, 1
	v_lshlrev_b16 v74, 8, v74
	v_bfe_i32 v86, v86, 0, 1
	v_and_b32_e32 v91, 0xff, v70
	v_lshlrev_b16 v71, 8, v71
	v_lshlrev_b16 v75, 8, v75
	;; [unrolled: 1-line block ×10, first 2 shown]
	s_wait_loadcnt 0x3
	v_xor_b32_e32 v77, v46, v77
	v_xor_b32_e32 v80, v47, v80
	v_cndmask_b32_e64 v46, 0, -1, s2
	v_or_b32_e32 v47, v83, v65
	v_lshrrev_b16 v83, 8, v84
	v_cmp_ne_u16_e64 s2, 0, v67
	v_lshrrev_b16 v84, 7, v84
	v_lshlrev_b16 v46, 8, v46
	v_lshlrev_b32_e32 v47, 16, v47
	s_wait_alu 0xf1ff
	v_cndmask_b32_e64 v67, 0, -1, s2
	v_cmp_ne_u16_e64 s2, 0, v83
	s_wait_alu 0xfffd
	v_cndmask_b32_e64 v83, 0, -1, vcc_lo
	v_cmp_ne_u16_e32 vcc_lo, 0, v87
	v_and_b32_e32 v87, 0xff, v61
	v_bfe_i32 v84, v84, 0, 1
	v_lshlrev_b16 v67, 8, v67
	v_lshlrev_b16 v61, 8, v61
	s_delay_alu instid0(VALU_DEP_4) | instskip(NEXT) | instid1(VALU_DEP_3)
	v_or_b32_e32 v87, v87, v92
	v_or_b32_e32 v85, v85, v67
	s_delay_alu instid0(VALU_DEP_2) | instskip(NEXT) | instid1(VALU_DEP_2)
	v_and_b32_e32 v87, 0xffff, v87
	v_lshlrev_b32_e32 v85, 16, v85
	s_delay_alu instid0(VALU_DEP_2) | instskip(SKIP_3) | instid1(VALU_DEP_3)
	v_or_b32_e32 v81, v87, v81
	v_and_b32_e32 v87, 0xff, v64
	v_lshlrev_b16 v64, 8, v64
	s_wait_loadcnt 0x2
	v_xor_b32_e32 v48, v48, v81
	s_delay_alu instid0(VALU_DEP_3) | instskip(SKIP_3) | instid1(VALU_DEP_4)
	v_or_b32_e32 v87, v87, v46
	v_lshlrev_b16 v81, 8, v83
	v_and_b32_e32 v83, 0xff, v84
	v_lshlrev_b16 v84, 8, v84
	v_and_b32_e32 v87, 0xffff, v87
	s_delay_alu instid0(VALU_DEP_4) | instskip(NEXT) | instid1(VALU_DEP_2)
	v_or_b32_e32 v88, v88, v81
	v_or_b32_e32 v47, v87, v47
	s_wait_alu 0xf1ff
	v_cndmask_b32_e64 v87, 0, -1, s2
	s_delay_alu instid0(VALU_DEP_3) | instskip(NEXT) | instid1(VALU_DEP_3)
	v_lshlrev_b32_e32 v88, 16, v88
	v_xor_b32_e32 v49, v49, v47
	s_delay_alu instid0(VALU_DEP_3) | instskip(SKIP_3) | instid1(VALU_DEP_3)
	v_lshlrev_b16 v87, 8, v87
	s_wait_alu 0xfffd
	v_cndmask_b32_e64 v47, 0, -1, vcc_lo
	v_cmp_ne_u16_e32 vcc_lo, 0, v90
	v_or_b32_e32 v83, v83, v87
	s_delay_alu instid0(VALU_DEP_3) | instskip(SKIP_2) | instid1(VALU_DEP_3)
	v_lshlrev_b16 v47, 8, v47
	s_wait_alu 0xfffd
	v_cndmask_b32_e64 v90, 0, -1, vcc_lo
	v_and_b32_e32 v83, 0xffff, v83
	s_delay_alu instid0(VALU_DEP_2) | instskip(NEXT) | instid1(VALU_DEP_2)
	v_lshlrev_b16 v90, 8, v90
	v_or_b32_e32 v83, v83, v85
	v_and_b32_e32 v85, 0xff, v86
	s_delay_alu instid0(VALU_DEP_3)
	v_or_b32_e32 v91, v91, v90
	v_lshlrev_b16 v86, 8, v86
	s_wait_loadcnt 0x1
	v_xor_b32_e32 v50, v50, v83
	v_or_b32_e32 v85, v85, v47
	v_lshrrev_b16 v83, 8, v89
	v_lshlrev_b32_e32 v91, 16, v91
	s_delay_alu instid0(VALU_DEP_3) | instskip(NEXT) | instid1(VALU_DEP_3)
	v_and_b32_e32 v85, 0xffff, v85
	v_cmp_ne_u16_e32 vcc_lo, 0, v83
	s_delay_alu instid0(VALU_DEP_2)
	v_or_b32_e32 v85, v85, v88
	v_and_b32_e32 v88, 0xff, v73
	s_wait_alu 0xfffd
	v_cndmask_b32_e64 v83, 0, -1, vcc_lo
	v_lshlrev_b16 v73, 8, v73
	v_xor_b32_e32 v51, v51, v85
	v_lshrrev_b16 v85, 7, v89
	v_and_b32_e32 v89, 0xff, v72
	v_or_b32_e32 v88, v88, v74
	v_lshlrev_b16 v83, 8, v83
	v_lshlrev_b16 v72, 8, v72
	v_bfe_i32 v85, v85, 0, 1
	v_or_b32_e32 v89, v89, v71
	v_lshlrev_b32_e32 v88, 16, v88
	s_delay_alu instid0(VALU_DEP_2) | instskip(NEXT) | instid1(VALU_DEP_1)
	v_and_b32_e32 v89, 0xffff, v89
	v_or_b32_e32 v88, v89, v88
	v_and_b32_e32 v89, 0xff, v85
	v_lshlrev_b16 v85, 8, v85
	s_wait_loadcnt 0x0
	s_delay_alu instid0(VALU_DEP_3) | instskip(SKIP_2) | instid1(VALU_DEP_2)
	v_xor_b32_e32 v53, v53, v88
	v_and_b32_e32 v88, 0xffffff00, v77
	v_or_b32_e32 v89, v89, v83
	v_sub_nc_i16 v82, v88, v82 clamp
	v_and_b32_e32 v88, 0xffffff00, v80
	s_delay_alu instid0(VALU_DEP_3) | instskip(NEXT) | instid1(VALU_DEP_2)
	v_and_b32_e32 v89, 0xffff, v89
	v_sub_nc_i16 v60, v88, v60 clamp
	v_and_b32_e32 v88, 0xffffff00, v48
	s_delay_alu instid0(VALU_DEP_3)
	v_or_b32_e32 v89, v89, v91
	global_load_b32 v91, v[44:45], off offset:32
	v_sub_nc_i16 v88, v88, v92 clamp
	v_and_b32_e32 v92, 0xffffff00, v49
	v_xor_b32_e32 v52, v52, v89
	v_lshlrev_b16 v89, 8, v77
	v_lshrrev_b32_e32 v77, 16, v77
	s_delay_alu instid0(VALU_DEP_4) | instskip(SKIP_1) | instid1(VALU_DEP_4)
	v_sub_nc_i16 v92, v92, v46 clamp
	v_and_b32_e32 v46, 0xffffff00, v50
	v_sub_nc_i16 v75, v89, v75 clamp
	v_lshlrev_b16 v89, 8, v80
	s_delay_alu instid0(VALU_DEP_3) | instskip(SKIP_1) | instid1(VALU_DEP_4)
	v_sub_nc_i16 v87, v46, v87 clamp
	v_and_b32_e32 v46, 0xffffff00, v51
	v_perm_b32 v75, v75, v82, 0xc0c0105
	v_and_b32_e32 v82, 0xffffff00, v77
	v_lshlrev_b16 v77, 8, v77
	v_sub_nc_i16 v78, v89, v78 clamp
	v_sub_nc_i16 v93, v46, v47 clamp
	v_and_b32_e32 v46, 0xffffff00, v52
	v_lshlrev_b16 v47, 8, v52
	v_sub_nc_i16 v76, v82, v76 clamp
	global_load_b32 v82, v[3:4], off offset:16
	v_lshlrev_b16 v89, 8, v48
	v_sub_nc_i16 v83, v46, v83 clamp
	v_and_b32_e32 v46, 0xffffff00, v53
	v_sub_nc_i16 v85, v47, v85 clamp
	v_lshlrev_b16 v47, 8, v53
	v_sub_nc_i16 v58, v77, v58 clamp
	v_lshrrev_b32_e32 v77, 16, v80
	v_sub_nc_i16 v71, v46, v71 clamp
	v_sub_nc_i16 v61, v89, v61 clamp
	;; [unrolled: 1-line block ×3, first 2 shown]
	global_load_b128 v[44:47], v[44:45], off offset:16
	v_lshlrev_b16 v89, 8, v49
	v_perm_b32 v60, v78, v60, 0xc0c0105
	v_and_b32_e32 v78, 0xffffff00, v77
	v_lshlrev_b16 v77, 8, v77
	v_lshrrev_b32_e32 v48, 16, v48
	v_sub_nc_i16 v64, v89, v64 clamp
	v_lshlrev_b16 v89, 8, v50
	v_lshrrev_b32_e32 v49, 16, v49
	v_sub_nc_i16 v59, v77, v59 clamp
	v_and_b32_e32 v77, 0xffffff00, v48
	v_lshrrev_b32_e32 v50, 16, v50
	v_lshlrev_b16 v48, 8, v48
	v_sub_nc_i16 v84, v89, v84 clamp
	v_lshlrev_b16 v89, 8, v51
	v_sub_nc_i16 v78, v78, v79 clamp
	v_lshrrev_b32_e32 v51, 16, v51
	v_sub_nc_i16 v48, v48, v63 clamp
	v_and_b32_e32 v63, 0xffffff00, v49
	v_and_b32_e32 v79, 0xffffff00, v50
	v_lshlrev_b16 v50, 8, v50
	v_lshrrev_b32_e32 v52, 16, v52
	v_lshlrev_b16 v49, 8, v49
	v_sub_nc_i16 v63, v63, v65 clamp
	v_and_b32_e32 v65, 0xffffff00, v51
	v_lshlrev_b16 v51, 8, v51
	v_sub_nc_i16 v67, v79, v67 clamp
	v_sub_nc_i16 v50, v50, v68 clamp
	v_sub_nc_i16 v86, v89, v86 clamp
	v_lshrrev_b32_e32 v53, 16, v53
	v_sub_nc_i16 v49, v49, v66 clamp
	v_and_b32_e32 v66, 0xffffff00, v52
	v_lshlrev_b16 v52, 8, v52
	v_perm_b32 v80, v84, v87, 0xc0c0105
	v_sub_nc_i16 v65, v65, v81 clamp
	v_sub_nc_i16 v51, v51, v69 clamp
	v_perm_b32 v58, v58, v76, 0xc0c0105
	v_perm_b32 v50, v50, v67, 0xc0c0105
	v_sub_nc_i16 v62, v77, v62 clamp
	v_and_b32_e32 v84, 0xffffff00, v53
	v_lshlrev_b16 v53, 8, v53
	v_perm_b32 v68, v86, v93, 0xc0c0105
	v_sub_nc_i16 v66, v66, v90 clamp
	v_sub_nc_i16 v52, v52, v70 clamp
	v_perm_b32 v59, v59, v78, 0xc0c0105
	v_perm_b32 v51, v51, v65, 0xc0c0105
	v_lshl_or_b32 v58, v58, 16, v75
	v_lshl_or_b32 v50, v50, 16, v80
	v_perm_b32 v61, v61, v88, 0xc0c0105
	v_perm_b32 v69, v85, v83, 0xc0c0105
	;; [unrolled: 1-line block ×3, first 2 shown]
	v_sub_nc_i16 v71, v84, v74 clamp
	v_sub_nc_i16 v53, v53, v73 clamp
	v_perm_b32 v48, v48, v62, 0xc0c0105
	v_perm_b32 v52, v52, v66, 0xc0c0105
	v_lshl_or_b32 v59, v59, 16, v60
	v_lshl_or_b32 v51, v51, 16, v68
	v_dot4_i32_iu8 v17, v58, v17, 0 neg_lo:[1,1,0]
	v_dot4_i32_iu8 v21, v50, v21, 0 neg_lo:[1,1,0]
	;; [unrolled: 1-line block ×7, first 2 shown]
	v_perm_b32 v64, v64, v92, 0xc0c0105
	v_perm_b32 v49, v49, v63, 0xc0c0105
	;; [unrolled: 1-line block ×3, first 2 shown]
	v_lshl_or_b32 v48, v48, 16, v61
	v_lshl_or_b32 v52, v52, 16, v69
	v_dot4_i32_iu8 v17, v59, v18, v17 neg_lo:[1,1,0]
	v_dot4_i32_iu8 v18, v51, v22, v21 neg_lo:[1,1,0]
	;; [unrolled: 1-line block ×7, first 2 shown]
	v_lshl_or_b32 v49, v49, 16, v64
	v_lshl_or_b32 v53, v53, 16, v70
	v_dot4_i32_iu8 v17, v48, v19, v17 neg_lo:[1,1,0]
	v_dot4_i32_iu8 v18, v52, v23, v18 neg_lo:[1,1,0]
	;; [unrolled: 1-line block ×7, first 2 shown]
	v_lshrrev_b32_e32 v77, 4, v56
	v_and_b32_e32 v56, 15, v56
	v_dot4_i32_iu8 v17, v49, v20, v17 neg_lo:[1,1,0]
	v_dot4_i32_iu8 v19, v49, v28, v19 neg_lo:[1,1,0]
	;; [unrolled: 1-line block ×5, first 2 shown]
	v_add_co_u32 v3, vcc_lo, 0x480, v3
	s_delay_alu instid0(VALU_DEP_4)
	v_mul_lo_u32 v28, v20, v77
	s_wait_alu 0xfffd
	v_add_co_ci_u32_e64 v4, null, 0, v4, vcc_lo
	v_cmp_le_u32_e32 vcc_lo, s24, v10
	s_or_b32 s21, vcc_lo, s21
	s_wait_loadcnt 0x1
	v_dot4_i32_iu8 v18, v53, v82, v18 neg_lo:[1,1,0]
	s_delay_alu instid0(VALU_DEP_1) | instskip(SKIP_3) | instid1(VALU_DEP_2)
	v_mul_lo_u32 v27, v18, v77
	s_wait_loadcnt 0x0
	v_dot4_i32_iu8 v45, v50, v45, 0 neg_lo:[1,1,0]
	v_dot4_i32_iu8 v23, v49, v44, v25 neg_lo:[1,1,0]
	;; [unrolled: 1-line block ×3, first 2 shown]
	s_delay_alu instid0(VALU_DEP_1) | instskip(NEXT) | instid1(VALU_DEP_1)
	v_dot4_i32_iu8 v26, v52, v47, v30 neg_lo:[1,1,0]
	v_dot4_i32_iu8 v25, v53, v91, v26 neg_lo:[1,1,0]
	v_mul_lo_u32 v26, v17, v56
	v_add_nc_u32_e32 v17, v18, v17
	v_mul_lo_u32 v18, v19, v56
	v_add_nc_u32_e32 v19, v20, v19
	;; [unrolled: 2-line block ×3, first 2 shown]
	v_add_nc_u32_e32 v29, v25, v23
	v_lshrrev_b32_e32 v30, 31, v17
	v_lshrrev_b32_e32 v31, 31, v19
	v_mul_lo_u32 v22, v22, v77
	v_lshrrev_b32_e32 v33, 31, v21
	v_lshrrev_b32_e32 v34, 31, v29
	v_add_nc_u32_e32 v17, v17, v30
	v_add_nc_u32_e32 v19, v19, v31
	v_mul_lo_u32 v23, v23, v56
	v_add_nc_u32_e32 v21, v21, v33
	v_add_nc_u32_e32 v29, v29, v34
	v_mul_lo_u32 v25, v25, v77
	v_ashrrev_i32_e32 v17, 1, v17
	v_ashrrev_i32_e32 v19, 1, v19
	;; [unrolled: 1-line block ×4, first 2 shown]
	v_cvt_f32_f16_e32 v30, v40
	v_add3_u32 v17, v27, v26, v17
	v_add3_u32 v18, v28, v18, v19
	;; [unrolled: 1-line block ×4, first 2 shown]
	v_cvt_f32_f16_e32 v21, v57
	v_ashrrev_i32_e32 v22, 31, v17
	v_ashrrev_i32_e32 v23, 31, v18
	v_ashrrev_i32_e32 v25, 31, v19
	v_ashrrev_i32_e32 v26, 31, v20
	v_mul_f32_e32 v16, v21, v16
	v_lshrrev_b32_e32 v22, 30, v22
	v_lshrrev_b32_e32 v23, 30, v23
	;; [unrolled: 1-line block ×4, first 2 shown]
	v_mul_f32_e32 v24, v21, v24
	v_add_nc_u32_e32 v17, v17, v22
	v_add_nc_u32_e32 v18, v18, v23
	;; [unrolled: 1-line block ×4, first 2 shown]
	v_mul_f32_e32 v22, v21, v32
	v_ashrrev_i32_e32 v17, 2, v17
	v_ashrrev_i32_e32 v18, 2, v18
	;; [unrolled: 1-line block ×4, first 2 shown]
	v_mul_f32_e32 v21, v21, v30
	v_cvt_f32_i32_e32 v17, v17
	v_cvt_f32_i32_e32 v18, v18
	;; [unrolled: 1-line block ×4, first 2 shown]
	s_delay_alu instid0(VALU_DEP_4) | instskip(NEXT) | instid1(VALU_DEP_4)
	v_fmac_f32_e32 v11, v16, v17
	v_fmac_f32_e32 v9, v24, v18
	s_delay_alu instid0(VALU_DEP_3)
	v_dual_fmac_f32 v7, v22, v19 :: v_dual_fmac_f32 v6, v21, v20
	s_wait_alu 0xfffe
	s_and_not1_b32 exec_lo, exec_lo, s21
	s_cbranch_execnz .LBB187_2
; %bb.3:
	s_or_b32 exec_lo, exec_lo, s21
.LBB187_4:
	s_delay_alu instid0(SALU_CYCLE_1)
	s_or_b32 exec_lo, exec_lo, s23
	s_mov_b32 s3, 0
	; wave barrier
	global_inv scope:SCOPE_SE
	s_mov_b32 s2, exec_lo
	v_cmpx_eq_u32_e32 0, v8
	s_cbranch_execz .LBB187_13
; %bb.5:
	v_mbcnt_lo_u32_b32 v4, -1, 0
	s_load_b64 s[0:1], s[0:1], 0x38
	s_mul_i32 s2, s10, s19
	s_mul_i32 s4, s18, s22
	s_wait_alu 0xfffe
	s_add_co_i32 s2, s2, ttmp9
	v_xor_b32_e32 v0, 16, v4
	v_xor_b32_e32 v1, 8, v4
	s_wait_alu 0xfffe
	s_add_co_i32 s2, s2, s4
	s_wait_alu 0xfffe
	s_lshl_b64 s[2:3], s[2:3], 2
	v_cmp_gt_i32_e32 vcc_lo, 32, v0
	s_wait_alu 0xfffd
	v_cndmask_b32_e32 v0, v4, v0, vcc_lo
	v_cmp_gt_i32_e32 vcc_lo, 32, v1
	s_wait_alu 0xfffd
	v_cndmask_b32_e32 v1, v4, v1, vcc_lo
	s_wait_kmcnt 0x0
	s_wait_alu 0xfffe
	s_add_nc_u64 s[0:1], s[0:1], s[2:3]
	s_delay_alu instid0(VALU_DEP_1)
	v_lshlrev_b32_e32 v1, 2, v1
	v_lshlrev_b32_e32 v0, 2, v0
	ds_bpermute_b32 v2, v0, v11
	s_wait_dscnt 0x0
	v_add_f32_e32 v3, v11, v2
	v_xor_b32_e32 v2, 4, v4
	v_xor_b32_e32 v11, 1, v4
	ds_bpermute_b32 v8, v1, v3
	v_cmp_gt_i32_e32 vcc_lo, 32, v2
	s_wait_alu 0xfffd
	v_cndmask_b32_e32 v2, v4, v2, vcc_lo
	s_wait_dscnt 0x0
	v_add_f32_e32 v8, v3, v8
	v_xor_b32_e32 v3, 2, v4
	s_delay_alu instid0(VALU_DEP_1) | instskip(SKIP_3) | instid1(VALU_DEP_2)
	v_cmp_gt_i32_e32 vcc_lo, 32, v3
	s_wait_alu 0xfffd
	v_cndmask_b32_e32 v3, v4, v3, vcc_lo
	v_cmp_gt_i32_e32 vcc_lo, 32, v11
	v_lshlrev_b32_e32 v3, 2, v3
	v_lshlrev_b32_e32 v2, 2, v2
	s_wait_alu 0xfffd
	v_cndmask_b32_e32 v4, v4, v11, vcc_lo
	v_cmp_eq_u32_e32 vcc_lo, 0, v5
	ds_bpermute_b32 v10, v2, v8
	v_lshlrev_b32_e32 v4, 2, v4
	s_wait_dscnt 0x0
	v_add_f32_e32 v8, v8, v10
	ds_bpermute_b32 v10, v3, v8
	s_wait_dscnt 0x0
	v_add_f32_e32 v8, v8, v10
	ds_bpermute_b32 v10, v4, v8
	s_and_saveexec_b32 s2, vcc_lo
	s_cbranch_execz .LBB187_7
; %bb.6:
	s_wait_dscnt 0x0
	v_dual_add_f32 v5, v8, v10 :: v_dual_mov_b32 v8, 0
	global_store_b32 v8, v5, s[0:1]
.LBB187_7:
	s_wait_alu 0xfffe
	s_or_b32 exec_lo, exec_lo, s2
	ds_bpermute_b32 v5, v0, v9
	s_wait_dscnt 0x0
	v_add_f32_e32 v5, v9, v5
	ds_bpermute_b32 v8, v1, v5
	s_wait_dscnt 0x0
	v_add_f32_e32 v5, v5, v8
	;; [unrolled: 3-line block ×4, first 2 shown]
	ds_bpermute_b32 v8, v4, v5
	s_and_saveexec_b32 s2, vcc_lo
	s_cbranch_execz .LBB187_9
; %bb.8:
	s_mov_b32 s7, 0
	s_wait_dscnt 0x0
	v_dual_add_f32 v5, v5, v8 :: v_dual_mov_b32 v8, 0
	s_lshl_b64 s[4:5], s[6:7], 2
	s_wait_alu 0xfffe
	s_add_nc_u64 s[4:5], s[0:1], s[4:5]
	global_store_b32 v8, v5, s[4:5]
.LBB187_9:
	s_wait_alu 0xfffe
	s_or_b32 exec_lo, exec_lo, s2
	ds_bpermute_b32 v5, v0, v7
	s_wait_dscnt 0x0
	v_add_f32_e32 v5, v7, v5
	ds_bpermute_b32 v7, v1, v5
	s_wait_dscnt 0x0
	v_add_f32_e32 v5, v5, v7
	;; [unrolled: 3-line block ×4, first 2 shown]
	ds_bpermute_b32 v7, v4, v5
	s_and_saveexec_b32 s2, vcc_lo
	s_cbranch_execz .LBB187_11
; %bb.10:
	s_lshl_b32 s4, s6, 1
	s_mov_b32 s5, 0
	s_wait_dscnt 0x0
	v_add_f32_e32 v5, v5, v7
	v_mov_b32_e32 v7, 0
	s_wait_alu 0xfffe
	s_lshl_b64 s[4:5], s[4:5], 2
	s_wait_alu 0xfffe
	s_add_nc_u64 s[4:5], s[0:1], s[4:5]
	global_store_b32 v7, v5, s[4:5]
.LBB187_11:
	s_wait_alu 0xfffe
	s_or_b32 exec_lo, exec_lo, s2
	ds_bpermute_b32 v0, v0, v6
	s_wait_dscnt 0x0
	v_add_f32_e32 v0, v6, v0
	ds_bpermute_b32 v1, v1, v0
	s_wait_dscnt 0x0
	v_add_f32_e32 v0, v0, v1
	;; [unrolled: 3-line block ×4, first 2 shown]
	ds_bpermute_b32 v1, v4, v0
	s_and_b32 exec_lo, exec_lo, vcc_lo
	s_cbranch_execz .LBB187_13
; %bb.12:
	s_mul_i32 s2, s6, 3
	s_mov_b32 s3, 0
	s_wait_dscnt 0x0
	v_dual_add_f32 v0, v0, v1 :: v_dual_mov_b32 v1, 0
	s_wait_alu 0xfffe
	s_lshl_b64 s[2:3], s[2:3], 2
	s_wait_alu 0xfffe
	s_add_nc_u64 s[0:1], s[0:1], s[2:3]
	global_store_b32 v1, v0, s[0:1]
.LBB187_13:
	s_endpgm
	.section	.rodata,"a",@progbits
	.p2align	6, 0x0
	.amdhsa_kernel _ZL13mul_mat_vec_qIL9ggml_type22ELi4ELb0ELb0EEvPKvS2_PKi31ggml_cuda_mm_fusion_args_devicePfj15HIP_vector_typeIjLj3EEjjjS8_jjjS8_jjjj
		.amdhsa_group_segment_fixed_size 0
		.amdhsa_private_segment_fixed_size 0
		.amdhsa_kernarg_size 144
		.amdhsa_user_sgpr_count 2
		.amdhsa_user_sgpr_dispatch_ptr 0
		.amdhsa_user_sgpr_queue_ptr 0
		.amdhsa_user_sgpr_kernarg_segment_ptr 1
		.amdhsa_user_sgpr_dispatch_id 0
		.amdhsa_user_sgpr_private_segment_size 0
		.amdhsa_wavefront_size32 1
		.amdhsa_uses_dynamic_stack 0
		.amdhsa_enable_private_segment 0
		.amdhsa_system_sgpr_workgroup_id_x 1
		.amdhsa_system_sgpr_workgroup_id_y 1
		.amdhsa_system_sgpr_workgroup_id_z 1
		.amdhsa_system_sgpr_workgroup_info 0
		.amdhsa_system_vgpr_workitem_id 1
		.amdhsa_next_free_vgpr 94
		.amdhsa_next_free_sgpr 28
		.amdhsa_reserve_vcc 1
		.amdhsa_float_round_mode_32 0
		.amdhsa_float_round_mode_16_64 0
		.amdhsa_float_denorm_mode_32 3
		.amdhsa_float_denorm_mode_16_64 3
		.amdhsa_fp16_overflow 0
		.amdhsa_workgroup_processor_mode 1
		.amdhsa_memory_ordered 1
		.amdhsa_forward_progress 1
		.amdhsa_inst_pref_size 36
		.amdhsa_round_robin_scheduling 0
		.amdhsa_exception_fp_ieee_invalid_op 0
		.amdhsa_exception_fp_denorm_src 0
		.amdhsa_exception_fp_ieee_div_zero 0
		.amdhsa_exception_fp_ieee_overflow 0
		.amdhsa_exception_fp_ieee_underflow 0
		.amdhsa_exception_fp_ieee_inexact 0
		.amdhsa_exception_int_div_zero 0
	.end_amdhsa_kernel
	.section	.text._ZL13mul_mat_vec_qIL9ggml_type22ELi4ELb0ELb0EEvPKvS2_PKi31ggml_cuda_mm_fusion_args_devicePfj15HIP_vector_typeIjLj3EEjjjS8_jjjS8_jjjj,"axG",@progbits,_ZL13mul_mat_vec_qIL9ggml_type22ELi4ELb0ELb0EEvPKvS2_PKi31ggml_cuda_mm_fusion_args_devicePfj15HIP_vector_typeIjLj3EEjjjS8_jjjS8_jjjj,comdat
.Lfunc_end187:
	.size	_ZL13mul_mat_vec_qIL9ggml_type22ELi4ELb0ELb0EEvPKvS2_PKi31ggml_cuda_mm_fusion_args_devicePfj15HIP_vector_typeIjLj3EEjjjS8_jjjS8_jjjj, .Lfunc_end187-_ZL13mul_mat_vec_qIL9ggml_type22ELi4ELb0ELb0EEvPKvS2_PKi31ggml_cuda_mm_fusion_args_devicePfj15HIP_vector_typeIjLj3EEjjjS8_jjjS8_jjjj
                                        ; -- End function
	.set _ZL13mul_mat_vec_qIL9ggml_type22ELi4ELb0ELb0EEvPKvS2_PKi31ggml_cuda_mm_fusion_args_devicePfj15HIP_vector_typeIjLj3EEjjjS8_jjjS8_jjjj.num_vgpr, 94
	.set _ZL13mul_mat_vec_qIL9ggml_type22ELi4ELb0ELb0EEvPKvS2_PKi31ggml_cuda_mm_fusion_args_devicePfj15HIP_vector_typeIjLj3EEjjjS8_jjjS8_jjjj.num_agpr, 0
	.set _ZL13mul_mat_vec_qIL9ggml_type22ELi4ELb0ELb0EEvPKvS2_PKi31ggml_cuda_mm_fusion_args_devicePfj15HIP_vector_typeIjLj3EEjjjS8_jjjS8_jjjj.numbered_sgpr, 28
	.set _ZL13mul_mat_vec_qIL9ggml_type22ELi4ELb0ELb0EEvPKvS2_PKi31ggml_cuda_mm_fusion_args_devicePfj15HIP_vector_typeIjLj3EEjjjS8_jjjS8_jjjj.num_named_barrier, 0
	.set _ZL13mul_mat_vec_qIL9ggml_type22ELi4ELb0ELb0EEvPKvS2_PKi31ggml_cuda_mm_fusion_args_devicePfj15HIP_vector_typeIjLj3EEjjjS8_jjjS8_jjjj.private_seg_size, 0
	.set _ZL13mul_mat_vec_qIL9ggml_type22ELi4ELb0ELb0EEvPKvS2_PKi31ggml_cuda_mm_fusion_args_devicePfj15HIP_vector_typeIjLj3EEjjjS8_jjjS8_jjjj.uses_vcc, 1
	.set _ZL13mul_mat_vec_qIL9ggml_type22ELi4ELb0ELb0EEvPKvS2_PKi31ggml_cuda_mm_fusion_args_devicePfj15HIP_vector_typeIjLj3EEjjjS8_jjjS8_jjjj.uses_flat_scratch, 0
	.set _ZL13mul_mat_vec_qIL9ggml_type22ELi4ELb0ELb0EEvPKvS2_PKi31ggml_cuda_mm_fusion_args_devicePfj15HIP_vector_typeIjLj3EEjjjS8_jjjS8_jjjj.has_dyn_sized_stack, 0
	.set _ZL13mul_mat_vec_qIL9ggml_type22ELi4ELb0ELb0EEvPKvS2_PKi31ggml_cuda_mm_fusion_args_devicePfj15HIP_vector_typeIjLj3EEjjjS8_jjjS8_jjjj.has_recursion, 0
	.set _ZL13mul_mat_vec_qIL9ggml_type22ELi4ELb0ELb0EEvPKvS2_PKi31ggml_cuda_mm_fusion_args_devicePfj15HIP_vector_typeIjLj3EEjjjS8_jjjS8_jjjj.has_indirect_call, 0
	.section	.AMDGPU.csdata,"",@progbits
; Kernel info:
; codeLenInByte = 4492
; TotalNumSgprs: 30
; NumVgprs: 94
; ScratchSize: 0
; MemoryBound: 0
; FloatMode: 240
; IeeeMode: 1
; LDSByteSize: 0 bytes/workgroup (compile time only)
; SGPRBlocks: 0
; VGPRBlocks: 11
; NumSGPRsForWavesPerEU: 30
; NumVGPRsForWavesPerEU: 94
; Occupancy: 16
; WaveLimiterHint : 0
; COMPUTE_PGM_RSRC2:SCRATCH_EN: 0
; COMPUTE_PGM_RSRC2:USER_SGPR: 2
; COMPUTE_PGM_RSRC2:TRAP_HANDLER: 0
; COMPUTE_PGM_RSRC2:TGID_X_EN: 1
; COMPUTE_PGM_RSRC2:TGID_Y_EN: 1
; COMPUTE_PGM_RSRC2:TGID_Z_EN: 1
; COMPUTE_PGM_RSRC2:TIDIG_COMP_CNT: 1
	.section	.text._ZL13mul_mat_vec_qIL9ggml_type22ELi5ELb0ELb0EEvPKvS2_PKi31ggml_cuda_mm_fusion_args_devicePfj15HIP_vector_typeIjLj3EEjjjS8_jjjS8_jjjj,"axG",@progbits,_ZL13mul_mat_vec_qIL9ggml_type22ELi5ELb0ELb0EEvPKvS2_PKi31ggml_cuda_mm_fusion_args_devicePfj15HIP_vector_typeIjLj3EEjjjS8_jjjS8_jjjj,comdat
	.globl	_ZL13mul_mat_vec_qIL9ggml_type22ELi5ELb0ELb0EEvPKvS2_PKi31ggml_cuda_mm_fusion_args_devicePfj15HIP_vector_typeIjLj3EEjjjS8_jjjS8_jjjj ; -- Begin function _ZL13mul_mat_vec_qIL9ggml_type22ELi5ELb0ELb0EEvPKvS2_PKi31ggml_cuda_mm_fusion_args_devicePfj15HIP_vector_typeIjLj3EEjjjS8_jjjS8_jjjj
	.p2align	8
	.type	_ZL13mul_mat_vec_qIL9ggml_type22ELi5ELb0ELb0EEvPKvS2_PKi31ggml_cuda_mm_fusion_args_devicePfj15HIP_vector_typeIjLj3EEjjjS8_jjjS8_jjjj,@function
_ZL13mul_mat_vec_qIL9ggml_type22ELi5ELb0ELb0EEvPKvS2_PKi31ggml_cuda_mm_fusion_args_devicePfj15HIP_vector_typeIjLj3EEjjjS8_jjjS8_jjjj: ; @_ZL13mul_mat_vec_qIL9ggml_type22ELi5ELb0ELb0EEvPKvS2_PKi31ggml_cuda_mm_fusion_args_devicePfj15HIP_vector_typeIjLj3EEjjjS8_jjjS8_jjjj
; %bb.0:
	s_clause 0x5
	s_load_b96 s[16:18], s[0:1], 0x80
	s_load_b32 s3, s[0:1], 0x40
	s_load_b128 s[4:7], s[0:1], 0x50
	s_load_b32 s2, s[0:1], 0x60
	s_load_b128 s[8:11], s[0:1], 0x68
	s_load_b32 s23, s[0:1], 0x78
	v_bfe_u32 v9, v0, 10, 10
	v_dual_mov_b32 v5, 0 :: v_dual_and_b32 v6, 0x3ff, v0
	v_dual_mov_b32 v7, 0 :: v_dual_mov_b32 v8, 0
	v_mov_b32_e32 v10, 0
	s_delay_alu instid0(VALU_DEP_3)
	v_lshl_or_b32 v0, v9, 5, v6
	v_mov_b32_e32 v12, 0
	s_and_b32 s19, ttmp7, 0xffff
	s_lshr_b32 s20, ttmp7, 16
	s_mov_b32 s21, exec_lo
	v_lshrrev_b32_e32 v11, 3, v0
	s_wait_kmcnt 0x0
	s_lshr_b32 s22, s3, 8
	s_delay_alu instid0(VALU_DEP_1) | instid1(SALU_CYCLE_1)
	v_cmpx_gt_u32_e64 s22, v11
	s_cbranch_execz .LBB188_4
; %bb.1:
	v_lshl_add_u32 v0, v9, 5, v6
	s_mov_b32 s3, 0
	s_mul_i32 s24, s9, s19
	s_mov_b32 s25, s3
	s_mul_hi_u32 s7, s7, s19
	v_lshrrev_b32_e32 v0, 3, v0
	s_mul_u64 s[24:25], s[24:25], 36
	s_add_co_i32 s7, s19, s7
	s_load_b128 s[12:15], s[0:1], 0x0
	s_lshr_b32 s2, s7, s2
	v_mad_co_u64_u32 v[0:1], null, 0x120, v0, s[24:25]
	s_mul_i32 s7, s2, s8
	s_mul_i32 s2, s17, s20
	v_and_b32_e32 v13, 7, v6
	v_dual_mov_b32 v5, 0 :: v_dual_lshlrev_b32 v4, 3, v11
	s_mul_hi_u32 s8, s11, s20
	v_mad_co_u64_u32 v[0:1], null, s2, 36, v[0:1]
	s_add_co_i32 s11, s20, s8
	s_mul_u64 s[8:9], s[2:3], 36
	v_mad_co_u64_u32 v[2:3], null, s5, 3, v[4:5]
	s_mul_i32 s4, s4, ttmp9
	s_lshr_b32 s11, s11, s23
	v_mad_co_u64_u32 v[7:8], null, v13, 36, v[0:1]
	s_wait_kmcnt 0x0
	s_add_nc_u64 s[8:9], s[14:15], s[8:9]
	v_add_nc_u32_e32 v14, s5, v4
	s_add_nc_u64 s[8:9], s[8:9], s[24:25]
	v_lshl_add_u32 v15, s5, 2, v4
	v_lshl_add_u32 v16, s5, 1, v4
	v_mov_b32_e32 v12, 0
	v_add_co_u32 v3, vcc_lo, s14, v7
	s_delay_alu instid0(VALU_DEP_1)
	v_add_co_ci_u32_e64 v7, null, s15, v8, vcc_lo
	v_mov_b32_e32 v8, 0
	v_lshlrev_b32_e32 v10, 1, v13
	v_mad_co_u64_u32 v[0:1], null, v13, 36, s[8:9]
	v_add_co_u32 v3, vcc_lo, v3, 16
	s_wait_alu 0xfffd
	v_add_co_ci_u32_e64 v4, null, 0, v7, vcc_lo
	v_mov_b32_e32 v7, 0
	v_dual_mov_b32 v10, 0 :: v_dual_lshlrev_b32 v17, 1, v10
	s_mul_i32 s2, s11, s16
	s_wait_alu 0xfffe
	s_add_co_i32 s7, s7, s4
	s_delay_alu instid0(SALU_CYCLE_1)
	s_add_co_i32 s7, s2, s7
.LBB188_2:                              ; =>This Inner Loop Header: Depth=1
	s_delay_alu instid0(SALU_CYCLE_1)
	v_add_nc_u32_e32 v18, s7, v11
	s_getpc_b64 s[4:5]
	s_wait_alu 0xfffe
	s_sext_i32_i16 s5, s5
	s_add_co_u32 s4, s4, _ZL9iq2s_grid@rel32@lo+12
	s_wait_alu 0xfffe
	s_add_co_ci_u32 s5, s5, _ZL9iq2s_grid@rel32@hi+24
	v_add_nc_u32_e32 v11, 4, v11
	v_mad_co_i64_i32 v[29:30], null, 0x52, v18, s[12:13]
	s_delay_alu instid0(VALU_DEP_1) | instskip(SKIP_1) | instid1(VALU_DEP_2)
	v_add_co_u32 v18, vcc_lo, v29, v17
	s_wait_alu 0xfffd
	v_add_co_ci_u32_e64 v19, null, 0, v30, vcc_lo
	v_add_co_u32 v20, vcc_lo, v29, v13
	s_wait_alu 0xfffd
	v_add_co_ci_u32_e64 v21, null, 0, v30, vcc_lo
	s_clause 0x3
	global_load_b32 v22, v[18:19], off offset:2
	global_load_u8 v25, v[20:21], off offset:66
	global_load_b32 v26, v[18:19], off offset:34
	global_load_u8 v28, v[20:21], off offset:74
	s_wait_loadcnt 0x3
	v_and_b32_e32 v18, 0xff, v22
	v_lshrrev_b32_e32 v24, 24, v22
	s_wait_loadcnt 0x2
	v_lshlrev_b32_e32 v19, 8, v25
	s_wait_loadcnt 0x1
	v_lshlrev_b32_e32 v20, 21, v26
	v_lshrrev_b32_e32 v23, 16, v26
	s_delay_alu instid0(VALU_DEP_3) | instskip(SKIP_1) | instid1(VALU_DEP_2)
	v_and_or_b32 v18, 0x300, v19, v18
	v_and_b32_e32 v19, 0xff, v26
	v_lshlrev_b32_e32 v18, 3, v18
	s_delay_alu instid0(VALU_DEP_2) | instskip(NEXT) | instid1(VALU_DEP_1)
	v_lshl_or_b32 v20, v19, 7, v20
	v_and_b32_e32 v21, 0x1800180, v20
	v_bfe_u32 v20, v20, 24, 1
	s_delay_alu instid0(VALU_DEP_2) | instskip(NEXT) | instid1(VALU_DEP_2)
	v_lshrrev_b16 v27, 8, v21
	v_cmp_ne_u16_e32 vcc_lo, 0, v20
	v_lshrrev_b16 v20, 7, v21
	v_lshrrev_b32_e32 v21, 2, v26
	s_delay_alu instid0(VALU_DEP_4)
	v_cmp_ne_u16_e64 s2, 0, v27
	s_wait_alu 0xfffd
	v_cndmask_b32_e64 v32, 0, -1, vcc_lo
	v_bfe_i32 v20, v20, 0, 1
	v_bfe_i32 v21, v21, 0, 1
	s_wait_alu 0xf1ff
	v_cndmask_b32_e64 v31, 0, -1, s2
	v_lshlrev_b16 v32, 8, v32
	v_and_b32_e32 v27, 0xff, v20
	v_and_b32_e32 v33, 0xff, v21
	v_lshlrev_b16 v20, 8, v20
	v_lshlrev_b16 v31, 8, v31
	;; [unrolled: 1-line block ×3, first 2 shown]
	s_delay_alu instid0(VALU_DEP_4) | instskip(NEXT) | instid1(VALU_DEP_3)
	v_or_b32_e32 v33, v33, v32
	v_or_b32_e32 v27, v27, v31
	s_delay_alu instid0(VALU_DEP_2) | instskip(NEXT) | instid1(VALU_DEP_2)
	v_lshlrev_b32_e32 v33, 16, v33
	v_and_b32_e32 v27, 0xffff, v27
	s_delay_alu instid0(VALU_DEP_1) | instskip(SKIP_1) | instid1(VALU_DEP_1)
	v_or_b32_e32 v27, v27, v33
	v_lshlrev_b32_e32 v33, 17, v26
	v_lshl_or_b32 v19, v19, 3, v33
	s_delay_alu instid0(VALU_DEP_1) | instskip(SKIP_1) | instid1(VALU_DEP_2)
	v_and_b32_e32 v33, 0x1800180, v19
	v_bfe_u32 v19, v19, 24, 1
	v_lshrrev_b16 v34, 8, v33
	s_delay_alu instid0(VALU_DEP_2) | instskip(SKIP_2) | instid1(VALU_DEP_4)
	v_cmp_ne_u16_e32 vcc_lo, 0, v19
	v_lshrrev_b16 v19, 7, v33
	v_lshrrev_b32_e32 v33, 6, v26
	v_cmp_ne_u16_e64 s2, 0, v34
	s_wait_alu 0xfffd
	v_cndmask_b32_e64 v36, 0, -1, vcc_lo
	v_bfe_i32 v34, v19, 0, 1
	v_bfe_i32 v33, v33, 0, 1
	s_wait_alu 0xf1ff
	v_cndmask_b32_e64 v35, 0, -1, s2
	v_lshlrev_b16 v36, 8, v36
	v_and_b32_e32 v19, 0xff, v34
	v_and_b32_e32 v37, 0xff, v33
	s_delay_alu instid0(VALU_DEP_4) | instskip(NEXT) | instid1(VALU_DEP_2)
	v_lshlrev_b16 v35, 8, v35
	v_or_b32_e32 v37, v37, v36
	s_delay_alu instid0(VALU_DEP_2) | instskip(NEXT) | instid1(VALU_DEP_2)
	v_or_b32_e32 v19, v19, v35
	v_lshlrev_b32_e32 v37, 16, v37
	s_delay_alu instid0(VALU_DEP_2) | instskip(NEXT) | instid1(VALU_DEP_1)
	v_and_b32_e32 v19, 0xffff, v19
	v_or_b32_e32 v37, v19, v37
	global_load_b64 v[18:19], v18, s[4:5]
	s_wait_loadcnt 0x0
	v_xor_b32_e32 v18, v18, v27
	v_xor_b32_e32 v19, v19, v37
	v_lshrrev_b32_e32 v37, 14, v26
	s_delay_alu instid0(VALU_DEP_3) | instskip(SKIP_2) | instid1(VALU_DEP_4)
	v_lshrrev_b32_e32 v27, 16, v18
	v_and_b32_e32 v38, 0xffffff00, v18
	v_lshlrev_b16 v18, 8, v18
	v_bfe_i32 v37, v37, 0, 1
	s_delay_alu instid0(VALU_DEP_3) | instskip(NEXT) | instid1(VALU_DEP_3)
	v_sub_nc_i16 v31, v38, v31 clamp
	v_sub_nc_i16 v18, v18, v20 clamp
	v_and_b32_e32 v20, 0xffffff00, v27
	v_lshlrev_b16 v27, 8, v27
	v_and_b32_e32 v39, 0xff, v37
	s_delay_alu instid0(VALU_DEP_4) | instskip(NEXT) | instid1(VALU_DEP_4)
	v_perm_b32 v18, v18, v31, 0xc0c0105
	v_sub_nc_i16 v20, v20, v32 clamp
	s_delay_alu instid0(VALU_DEP_4) | instskip(SKIP_3) | instid1(VALU_DEP_4)
	v_sub_nc_i16 v21, v27, v21 clamp
	v_lshlrev_b16 v27, 8, v34
	v_lshrrev_b32_e32 v31, 11, v26
	v_lshrrev_b32_e32 v32, 10, v26
	v_perm_b32 v20, v21, v20, 0xc0c0105
	v_and_b32_e32 v21, 0xffffff00, v19
	s_delay_alu instid0(VALU_DEP_4) | instskip(NEXT) | instid1(VALU_DEP_4)
	v_bfe_i32 v31, v31, 0, 1
	v_bfe_i32 v32, v32, 0, 1
	s_delay_alu instid0(VALU_DEP_4)
	v_lshl_or_b32 v18, v20, 16, v18
	v_lshrrev_b32_e32 v20, 16, v19
	v_lshlrev_b16 v19, 8, v19
	v_sub_nc_i16 v21, v21, v35 clamp
	v_lshlrev_b16 v31, 8, v31
	v_and_b32_e32 v34, 0xff, v32
	v_lshlrev_b16 v32, 8, v32
	v_sub_nc_i16 v19, v19, v27 clamp
	v_lshlrev_b16 v27, 8, v33
	s_delay_alu instid0(VALU_DEP_4) | instskip(NEXT) | instid1(VALU_DEP_3)
	v_or_b32_e32 v34, v34, v31
	v_perm_b32 v19, v19, v21, 0xc0c0105
	v_and_b32_e32 v21, 0xffffff00, v20
	v_lshlrev_b16 v20, 8, v20
	s_delay_alu instid0(VALU_DEP_4) | instskip(NEXT) | instid1(VALU_DEP_3)
	v_lshlrev_b32_e32 v34, 16, v34
	v_sub_nc_i16 v21, v21, v36 clamp
	s_delay_alu instid0(VALU_DEP_3) | instskip(SKIP_1) | instid1(VALU_DEP_2)
	v_sub_nc_i16 v20, v20, v27 clamp
	v_lshrrev_b32_e32 v36, 15, v26
	v_perm_b32 v20, v20, v21, 0xc0c0105
	v_lshlrev_b32_e32 v21, 6, v25
	s_delay_alu instid0(VALU_DEP_3) | instskip(NEXT) | instid1(VALU_DEP_3)
	v_bfe_i32 v36, v36, 0, 1
	v_lshl_or_b32 v19, v20, 16, v19
	v_bfe_u32 v20, v22, 8, 8
	s_delay_alu instid0(VALU_DEP_3) | instskip(SKIP_1) | instid1(VALU_DEP_3)
	v_lshlrev_b16 v36, 8, v36
	v_bfe_u32 v22, v22, 16, 8
	v_and_or_b32 v20, 0x300, v21, v20
	v_lshrrev_b32_e32 v21, 1, v26
	s_delay_alu instid0(VALU_DEP_4) | instskip(NEXT) | instid1(VALU_DEP_3)
	v_or_b32_e32 v39, v39, v36
	v_lshlrev_b32_e32 v20, 3, v20
	s_delay_alu instid0(VALU_DEP_3) | instskip(NEXT) | instid1(VALU_DEP_3)
	v_and_b32_e32 v21, 0x180, v21
	v_lshlrev_b32_e32 v39, 16, v39
	s_delay_alu instid0(VALU_DEP_2) | instskip(SKIP_1) | instid1(VALU_DEP_2)
	v_lshrrev_b16 v27, 8, v21
	v_lshrrev_b16 v21, 7, v21
	v_cmp_ne_u16_e32 vcc_lo, 0, v27
	s_delay_alu instid0(VALU_DEP_2) | instskip(SKIP_2) | instid1(VALU_DEP_2)
	v_bfe_i32 v27, v21, 0, 1
	s_wait_alu 0xfffd
	v_cndmask_b32_e64 v33, 0, -1, vcc_lo
	v_and_b32_e32 v21, 0xff, v27
	v_lshlrev_b16 v27, 8, v27
	s_delay_alu instid0(VALU_DEP_3) | instskip(NEXT) | instid1(VALU_DEP_1)
	v_lshlrev_b16 v33, 8, v33
	v_or_b32_e32 v21, v21, v33
	s_delay_alu instid0(VALU_DEP_1) | instskip(NEXT) | instid1(VALU_DEP_1)
	v_and_b32_e32 v21, 0xffff, v21
	v_or_b32_e32 v34, v21, v34
	v_lshrrev_b32_e32 v21, 5, v26
	s_delay_alu instid0(VALU_DEP_1) | instskip(NEXT) | instid1(VALU_DEP_1)
	v_and_b32_e32 v21, 0x180, v21
	v_lshrrev_b16 v35, 8, v21
	v_lshrrev_b16 v21, 7, v21
	s_delay_alu instid0(VALU_DEP_2) | instskip(NEXT) | instid1(VALU_DEP_2)
	v_cmp_ne_u16_e32 vcc_lo, 0, v35
	v_bfe_i32 v35, v21, 0, 1
	s_wait_alu 0xfffd
	v_cndmask_b32_e64 v38, 0, -1, vcc_lo
	s_delay_alu instid0(VALU_DEP_2) | instskip(NEXT) | instid1(VALU_DEP_2)
	v_and_b32_e32 v21, 0xff, v35
	v_lshlrev_b16 v38, 8, v38
	s_delay_alu instid0(VALU_DEP_1) | instskip(NEXT) | instid1(VALU_DEP_1)
	v_or_b32_e32 v21, v21, v38
	v_and_b32_e32 v21, 0xffff, v21
	s_delay_alu instid0(VALU_DEP_1) | instskip(SKIP_4) | instid1(VALU_DEP_2)
	v_or_b32_e32 v39, v21, v39
	global_load_b64 v[20:21], v20, s[4:5]
	s_wait_loadcnt 0x0
	v_xor_b32_e32 v20, v20, v34
	v_xor_b32_e32 v21, v21, v39
	v_lshrrev_b32_e32 v34, 16, v20
	v_and_b32_e32 v40, 0xffffff00, v20
	v_lshlrev_b16 v20, 8, v20
	s_delay_alu instid0(VALU_DEP_2) | instskip(NEXT) | instid1(VALU_DEP_2)
	v_sub_nc_i16 v33, v40, v33 clamp
	v_sub_nc_i16 v20, v20, v27 clamp
	v_and_b32_e32 v27, 0xffffff00, v34
	s_delay_alu instid0(VALU_DEP_2) | instskip(NEXT) | instid1(VALU_DEP_2)
	v_perm_b32 v20, v20, v33, 0xc0c0105
	v_sub_nc_i16 v27, v27, v31 clamp
	v_lshlrev_b16 v31, 8, v34
	s_delay_alu instid0(VALU_DEP_1) | instskip(SKIP_1) | instid1(VALU_DEP_2)
	v_sub_nc_i16 v31, v31, v32 clamp
	v_lshlrev_b16 v32, 8, v35
	v_perm_b32 v27, v31, v27, 0xc0c0105
	v_and_b32_e32 v31, 0xffffff00, v21
	s_delay_alu instid0(VALU_DEP_2) | instskip(SKIP_2) | instid1(VALU_DEP_4)
	v_lshl_or_b32 v20, v27, 16, v20
	v_lshrrev_b32_e32 v27, 16, v21
	v_lshlrev_b16 v21, 8, v21
	v_sub_nc_i16 v31, v31, v38 clamp
	s_delay_alu instid0(VALU_DEP_2) | instskip(SKIP_1) | instid1(VALU_DEP_2)
	v_sub_nc_i16 v21, v21, v32 clamp
	v_lshlrev_b16 v32, 8, v37
	v_perm_b32 v21, v21, v31, 0xc0c0105
	v_and_b32_e32 v31, 0xffffff00, v27
	v_lshlrev_b16 v27, 8, v27
	s_delay_alu instid0(VALU_DEP_2) | instskip(NEXT) | instid1(VALU_DEP_2)
	v_sub_nc_i16 v31, v31, v36 clamp
	v_sub_nc_i16 v27, v27, v32 clamp
	s_delay_alu instid0(VALU_DEP_1) | instskip(NEXT) | instid1(VALU_DEP_1)
	v_perm_b32 v27, v27, v31, 0xc0c0105
	v_lshl_or_b32 v21, v27, 16, v21
	v_lshlrev_b32_e32 v27, 4, v25
	v_lshlrev_b32_e32 v25, 2, v25
	s_delay_alu instid0(VALU_DEP_2) | instskip(SKIP_1) | instid1(VALU_DEP_3)
	v_and_or_b32 v22, 0x300, v27, v22
	v_lshrrev_b32_e32 v27, 9, v26
	v_and_or_b32 v24, 0x300, v25, v24
	v_lshrrev_b32_e32 v25, 17, v26
	s_delay_alu instid0(VALU_DEP_4) | instskip(NEXT) | instid1(VALU_DEP_4)
	v_lshlrev_b32_e32 v22, 3, v22
	v_lshl_or_b32 v27, v23, 21, v27
	s_delay_alu instid0(VALU_DEP_4) | instskip(NEXT) | instid1(VALU_DEP_2)
	v_lshlrev_b32_e32 v24, 3, v24
	v_and_b32_e32 v31, 0x1800180, v27
	v_bfe_u32 v27, v27, 24, 1
	s_delay_alu instid0(VALU_DEP_2) | instskip(NEXT) | instid1(VALU_DEP_2)
	v_lshrrev_b16 v32, 8, v31
	v_cmp_ne_u16_e32 vcc_lo, 0, v27
	v_lshrrev_b16 v27, 7, v31
	v_lshrrev_b32_e32 v31, 18, v26
	s_delay_alu instid0(VALU_DEP_4)
	v_cmp_ne_u16_e64 s2, 0, v32
	s_wait_alu 0xfffd
	v_cndmask_b32_e64 v34, 0, -1, vcc_lo
	v_bfe_i32 v27, v27, 0, 1
	v_bfe_i32 v31, v31, 0, 1
	s_wait_alu 0xf1ff
	v_cndmask_b32_e64 v33, 0, -1, s2
	v_lshlrev_b16 v34, 8, v34
	v_and_b32_e32 v32, 0xff, v27
	v_and_b32_e32 v35, 0xff, v31
	v_lshlrev_b16 v27, 8, v27
	v_lshlrev_b16 v33, 8, v33
	;; [unrolled: 1-line block ×3, first 2 shown]
	s_delay_alu instid0(VALU_DEP_4) | instskip(NEXT) | instid1(VALU_DEP_3)
	v_or_b32_e32 v35, v35, v34
	v_or_b32_e32 v32, v32, v33
	s_delay_alu instid0(VALU_DEP_2) | instskip(NEXT) | instid1(VALU_DEP_2)
	v_lshlrev_b32_e32 v35, 16, v35
	v_and_b32_e32 v32, 0xffff, v32
	s_delay_alu instid0(VALU_DEP_1) | instskip(SKIP_1) | instid1(VALU_DEP_1)
	v_or_b32_e32 v32, v32, v35
	v_lshrrev_b32_e32 v35, 13, v26
	v_lshl_or_b32 v23, v23, 17, v35
	s_delay_alu instid0(VALU_DEP_1) | instskip(SKIP_1) | instid1(VALU_DEP_2)
	v_and_b32_e32 v35, 0x1800180, v23
	v_bfe_u32 v23, v23, 24, 1
	v_lshrrev_b16 v36, 8, v35
	s_delay_alu instid0(VALU_DEP_2) | instskip(SKIP_2) | instid1(VALU_DEP_4)
	v_cmp_ne_u16_e32 vcc_lo, 0, v23
	v_lshrrev_b16 v23, 7, v35
	v_lshrrev_b32_e32 v35, 22, v26
	v_cmp_ne_u16_e64 s2, 0, v36
	s_wait_alu 0xfffd
	v_cndmask_b32_e64 v38, 0, -1, vcc_lo
	v_bfe_i32 v36, v23, 0, 1
	v_bfe_i32 v35, v35, 0, 1
	s_wait_alu 0xf1ff
	v_cndmask_b32_e64 v37, 0, -1, s2
	v_lshlrev_b16 v38, 8, v38
	v_and_b32_e32 v23, 0xff, v36
	v_and_b32_e32 v39, 0xff, v35
	s_delay_alu instid0(VALU_DEP_4) | instskip(NEXT) | instid1(VALU_DEP_2)
	v_lshlrev_b16 v37, 8, v37
	v_or_b32_e32 v39, v39, v38
	s_delay_alu instid0(VALU_DEP_2) | instskip(NEXT) | instid1(VALU_DEP_2)
	v_or_b32_e32 v23, v23, v37
	v_lshlrev_b32_e32 v39, 16, v39
	s_delay_alu instid0(VALU_DEP_2) | instskip(NEXT) | instid1(VALU_DEP_1)
	v_and_b32_e32 v23, 0xffff, v23
	v_or_b32_e32 v39, v23, v39
	global_load_b64 v[22:23], v22, s[4:5]
	s_wait_loadcnt 0x0
	v_xor_b32_e32 v22, v22, v32
	v_xor_b32_e32 v23, v23, v39
	s_delay_alu instid0(VALU_DEP_2) | instskip(SKIP_2) | instid1(VALU_DEP_2)
	v_lshrrev_b32_e32 v32, 16, v22
	v_and_b32_e32 v40, 0xffffff00, v22
	v_lshlrev_b16 v22, 8, v22
	v_sub_nc_i16 v33, v40, v33 clamp
	s_delay_alu instid0(VALU_DEP_2) | instskip(SKIP_2) | instid1(VALU_DEP_3)
	v_sub_nc_i16 v22, v22, v27 clamp
	v_and_b32_e32 v27, 0xffffff00, v32
	v_lshlrev_b16 v32, 8, v32
	v_perm_b32 v22, v22, v33, 0xc0c0105
	s_delay_alu instid0(VALU_DEP_3) | instskip(NEXT) | instid1(VALU_DEP_3)
	v_sub_nc_i16 v27, v27, v34 clamp
	v_sub_nc_i16 v31, v32, v31 clamp
	v_lshlrev_b16 v32, 8, v36
	v_lshrrev_b32_e32 v36, 31, v26
	s_delay_alu instid0(VALU_DEP_3) | instskip(SKIP_1) | instid1(VALU_DEP_2)
	v_perm_b32 v27, v31, v27, 0xc0c0105
	v_and_b32_e32 v31, 0xffffff00, v23
	v_lshl_or_b32 v22, v27, 16, v22
	v_lshrrev_b32_e32 v27, 16, v23
	v_lshlrev_b16 v23, 8, v23
	s_delay_alu instid0(VALU_DEP_4) | instskip(NEXT) | instid1(VALU_DEP_2)
	v_sub_nc_i16 v31, v31, v37 clamp
	v_sub_nc_i16 v23, v23, v32 clamp
	v_lshlrev_b16 v32, 8, v35
	s_delay_alu instid0(VALU_DEP_2) | instskip(SKIP_2) | instid1(VALU_DEP_2)
	v_perm_b32 v23, v23, v31, 0xc0c0105
	v_and_b32_e32 v31, 0xffffff00, v27
	v_lshlrev_b16 v27, 8, v27
	v_sub_nc_i16 v31, v31, v38 clamp
	s_delay_alu instid0(VALU_DEP_2) | instskip(NEXT) | instid1(VALU_DEP_1)
	v_sub_nc_i16 v27, v27, v32 clamp
	v_perm_b32 v27, v27, v31, 0xc0c0105
	s_delay_alu instid0(VALU_DEP_1) | instskip(SKIP_1) | instid1(VALU_DEP_1)
	v_lshl_or_b32 v23, v27, 16, v23
	v_lshrrev_b32_e32 v27, 3, v26
	v_and_or_b32 v25, 0x1fe00000, v27, v25
	s_delay_alu instid0(VALU_DEP_1) | instskip(SKIP_1) | instid1(VALU_DEP_2)
	v_and_b32_e32 v27, 0x1800180, v25
	v_bfe_u32 v25, v25, 24, 1
	v_lshrrev_b16 v31, 8, v27
	s_delay_alu instid0(VALU_DEP_2) | instskip(SKIP_2) | instid1(VALU_DEP_4)
	v_cmp_ne_u16_e32 vcc_lo, 0, v25
	v_lshrrev_b16 v25, 7, v27
	v_lshrrev_b32_e32 v27, 26, v26
	v_cmp_ne_u16_e64 s2, 0, v31
	s_wait_alu 0xfffd
	v_cndmask_b32_e64 v33, 0, -1, vcc_lo
	v_bfe_i32 v31, v25, 0, 1
	v_bfe_i32 v27, v27, 0, 1
	v_cmp_ne_u16_e32 vcc_lo, 0, v36
	s_wait_alu 0xf1ff
	v_cndmask_b32_e64 v32, 0, -1, s2
	v_lshlrev_b16 v33, 8, v33
	v_and_b32_e32 v25, 0xff, v31
	v_and_b32_e32 v34, 0xff, v27
	s_wait_alu 0xfffd
	v_cndmask_b32_e64 v38, 0, -1, vcc_lo
	v_lshlrev_b16 v32, 8, v32
	v_lshlrev_b16 v31, 8, v31
	v_lshlrev_b16 v27, 8, v27
	v_or_b32_e32 v34, v34, v33
	v_lshlrev_b16 v38, 8, v38
	v_or_b32_e32 v25, v25, v32
	s_delay_alu instid0(VALU_DEP_3) | instskip(NEXT) | instid1(VALU_DEP_2)
	v_lshlrev_b32_e32 v34, 16, v34
	v_and_b32_e32 v25, 0xffff, v25
	s_delay_alu instid0(VALU_DEP_1) | instskip(SKIP_2) | instid1(VALU_DEP_2)
	v_or_b32_e32 v34, v25, v34
	v_lshrrev_b32_e32 v25, 21, v26
	v_lshrrev_b32_e32 v26, 30, v26
	v_lshrrev_b16 v35, 8, v25
	v_lshrrev_b16 v25, 7, v25
	s_delay_alu instid0(VALU_DEP_3) | instskip(NEXT) | instid1(VALU_DEP_3)
	v_bfe_i32 v37, v26, 0, 1
	v_bfe_i32 v35, v35, 0, 1
	s_delay_alu instid0(VALU_DEP_3) | instskip(NEXT) | instid1(VALU_DEP_3)
	v_bfe_i32 v36, v25, 0, 1
	v_and_b32_e32 v26, 0xff, v37
	s_delay_alu instid0(VALU_DEP_3) | instskip(NEXT) | instid1(VALU_DEP_3)
	v_lshlrev_b16 v35, 8, v35
	v_and_b32_e32 v25, 0xff, v36
	s_delay_alu instid0(VALU_DEP_3) | instskip(NEXT) | instid1(VALU_DEP_2)
	v_or_b32_e32 v26, v26, v38
	v_or_b32_e32 v25, v25, v35
	s_delay_alu instid0(VALU_DEP_2) | instskip(NEXT) | instid1(VALU_DEP_2)
	v_lshlrev_b32_e32 v26, 16, v26
	v_and_b32_e32 v25, 0xffff, v25
	s_delay_alu instid0(VALU_DEP_1) | instskip(SKIP_3) | instid1(VALU_DEP_1)
	v_or_b32_e32 v39, v25, v26
	global_load_b64 v[25:26], v24, s[4:5]
	s_wait_loadcnt 0x0
	v_xor_b32_e32 v24, v25, v34
	v_lshrrev_b32_e32 v25, 16, v24
	v_and_b32_e32 v34, 0xffffff00, v24
	v_lshlrev_b16 v24, 8, v24
	s_delay_alu instid0(VALU_DEP_2) | instskip(NEXT) | instid1(VALU_DEP_2)
	v_sub_nc_i16 v32, v34, v32 clamp
	v_sub_nc_i16 v24, v24, v31 clamp
	v_and_b32_e32 v31, 0xffffff00, v25
	v_lshlrev_b16 v25, 8, v25
	s_delay_alu instid0(VALU_DEP_3) | instskip(NEXT) | instid1(VALU_DEP_3)
	v_perm_b32 v24, v24, v32, 0xc0c0105
	v_sub_nc_i16 v31, v31, v33 clamp
	s_delay_alu instid0(VALU_DEP_3) | instskip(NEXT) | instid1(VALU_DEP_1)
	v_sub_nc_i16 v25, v25, v27 clamp
	v_perm_b32 v25, v25, v31, 0xc0c0105
	v_lshlrev_b16 v31, 8, v36
	s_delay_alu instid0(VALU_DEP_2) | instskip(SKIP_1) | instid1(VALU_DEP_1)
	v_lshl_or_b32 v25, v25, 16, v24
	v_xor_b32_e32 v24, v26, v39
	v_lshrrev_b32_e32 v26, 16, v24
	v_and_b32_e32 v27, 0xffffff00, v24
	v_lshlrev_b16 v24, 8, v24
	s_delay_alu instid0(VALU_DEP_2) | instskip(NEXT) | instid1(VALU_DEP_2)
	v_sub_nc_i16 v27, v27, v35 clamp
	v_sub_nc_i16 v24, v24, v31 clamp
	v_lshlrev_b16 v31, 8, v37
	s_delay_alu instid0(VALU_DEP_2) | instskip(SKIP_2) | instid1(VALU_DEP_2)
	v_perm_b32 v24, v24, v27, 0xc0c0105
	v_and_b32_e32 v27, 0xffffff00, v26
	v_lshlrev_b16 v26, 8, v26
	v_sub_nc_i16 v27, v27, v38 clamp
	s_delay_alu instid0(VALU_DEP_2) | instskip(NEXT) | instid1(VALU_DEP_1)
	v_sub_nc_i16 v26, v26, v31 clamp
	v_perm_b32 v26, v26, v27, 0xc0c0105
	s_delay_alu instid0(VALU_DEP_1)
	v_lshl_or_b32 v27, v26, 16, v24
	global_load_u16 v24, v[29:30], off
	s_clause 0x2
	global_load_b128 v[29:32], v[3:4], off offset:-16
	global_load_b32 v37, v[3:4], off offset:16
	global_load_b128 v[33:36], v[3:4], off
	v_lshrrev_b32_e32 v26, 4, v28
	v_and_b32_e32 v28, 15, v28
	v_add_co_u32 v3, vcc_lo, 0x480, v3
	s_wait_alu 0xfffd
	v_add_co_ci_u32_e64 v4, null, 0, v4, vcc_lo
	v_cmp_le_u32_e32 vcc_lo, s22, v11
	s_or_b32 s3, vcc_lo, s3
	s_wait_loadcnt 0x2
	v_dot4_i32_iu8 v30, v18, v30, 0 neg_lo:[1,1,0]
	v_cvt_f32_f16_e32 v24, v24
	v_cvt_f32_f16_e32 v29, v29
	s_delay_alu instid0(VALU_DEP_3) | instskip(SKIP_2) | instid1(VALU_DEP_3)
	v_dot4_i32_iu8 v30, v19, v31, v30 neg_lo:[1,1,0]
	s_wait_loadcnt 0x0
	v_dot4_i32_iu8 v31, v22, v34, 0 neg_lo:[1,1,0]
	v_mul_f32_e32 v29, v24, v29
	s_delay_alu instid0(VALU_DEP_3) | instskip(NEXT) | instid1(VALU_DEP_3)
	v_dot4_i32_iu8 v30, v20, v32, v30 neg_lo:[1,1,0]
	v_dot4_i32_iu8 v31, v23, v35, v31 neg_lo:[1,1,0]
	s_delay_alu instid0(VALU_DEP_2) | instskip(NEXT) | instid1(VALU_DEP_2)
	v_dot4_i32_iu8 v30, v21, v33, v30 neg_lo:[1,1,0]
	v_dot4_i32_iu8 v31, v25, v36, v31 neg_lo:[1,1,0]
	s_delay_alu instid0(VALU_DEP_2) | instskip(NEXT) | instid1(VALU_DEP_2)
	v_mul_lo_u32 v32, v30, v28
	v_dot4_i32_iu8 v31, v27, v37, v31 neg_lo:[1,1,0]
	s_delay_alu instid0(VALU_DEP_1) | instskip(SKIP_1) | instid1(VALU_DEP_2)
	v_add_nc_u32_e32 v30, v31, v30
	v_mul_lo_u32 v33, v31, v26
	v_lshrrev_b32_e32 v31, 31, v30
	s_delay_alu instid0(VALU_DEP_1) | instskip(NEXT) | instid1(VALU_DEP_1)
	v_add_nc_u32_e32 v30, v30, v31
	v_ashrrev_i32_e32 v30, 1, v30
	s_delay_alu instid0(VALU_DEP_1) | instskip(SKIP_2) | instid1(VALU_DEP_3)
	v_add3_u32 v30, v33, v32, v30
	v_mad_co_u64_u32 v[33:34], null, v14, 36, v[0:1]
	v_add_nc_u32_e32 v14, 32, v14
	v_ashrrev_i32_e32 v31, 31, v30
	s_delay_alu instid0(VALU_DEP_1) | instskip(NEXT) | instid1(VALU_DEP_1)
	v_lshrrev_b32_e32 v31, 30, v31
	v_add_nc_u32_e32 v30, v30, v31
	s_delay_alu instid0(VALU_DEP_1) | instskip(NEXT) | instid1(VALU_DEP_1)
	v_ashrrev_i32_e32 v30, 2, v30
	v_cvt_f32_i32_e32 v30, v30
	s_delay_alu instid0(VALU_DEP_1)
	v_fmac_f32_e32 v12, v29, v30
	s_clause 0x2
	global_load_b128 v[29:32], v[33:34], off
	global_load_b32 v37, v[33:34], off offset:32
	global_load_b128 v[33:36], v[33:34], off offset:16
	s_wait_loadcnt 0x2
	v_dot4_i32_iu8 v30, v18, v30, 0 neg_lo:[1,1,0]
	v_cvt_f32_f16_e32 v29, v29
	s_delay_alu instid0(VALU_DEP_2) | instskip(SKIP_2) | instid1(VALU_DEP_3)
	v_dot4_i32_iu8 v30, v19, v31, v30 neg_lo:[1,1,0]
	s_wait_loadcnt 0x0
	v_dot4_i32_iu8 v31, v22, v34, 0 neg_lo:[1,1,0]
	v_mul_f32_e32 v29, v24, v29
	s_delay_alu instid0(VALU_DEP_3) | instskip(NEXT) | instid1(VALU_DEP_3)
	v_dot4_i32_iu8 v30, v20, v32, v30 neg_lo:[1,1,0]
	v_dot4_i32_iu8 v31, v23, v35, v31 neg_lo:[1,1,0]
	s_delay_alu instid0(VALU_DEP_2) | instskip(NEXT) | instid1(VALU_DEP_2)
	v_dot4_i32_iu8 v30, v21, v33, v30 neg_lo:[1,1,0]
	v_dot4_i32_iu8 v31, v25, v36, v31 neg_lo:[1,1,0]
	s_delay_alu instid0(VALU_DEP_2) | instskip(NEXT) | instid1(VALU_DEP_2)
	v_mul_lo_u32 v32, v30, v28
	v_dot4_i32_iu8 v31, v27, v37, v31 neg_lo:[1,1,0]
	s_delay_alu instid0(VALU_DEP_1) | instskip(SKIP_1) | instid1(VALU_DEP_2)
	v_add_nc_u32_e32 v30, v31, v30
	v_mul_lo_u32 v33, v31, v26
	v_lshrrev_b32_e32 v31, 31, v30
	s_delay_alu instid0(VALU_DEP_1) | instskip(NEXT) | instid1(VALU_DEP_1)
	v_add_nc_u32_e32 v30, v30, v31
	v_ashrrev_i32_e32 v30, 1, v30
	s_delay_alu instid0(VALU_DEP_1) | instskip(SKIP_2) | instid1(VALU_DEP_3)
	v_add3_u32 v30, v33, v32, v30
	v_mad_co_u64_u32 v[33:34], null, v16, 36, v[0:1]
	v_add_nc_u32_e32 v16, 32, v16
	v_ashrrev_i32_e32 v31, 31, v30
	s_delay_alu instid0(VALU_DEP_1) | instskip(NEXT) | instid1(VALU_DEP_1)
	v_lshrrev_b32_e32 v31, 30, v31
	v_add_nc_u32_e32 v30, v30, v31
	s_delay_alu instid0(VALU_DEP_1) | instskip(NEXT) | instid1(VALU_DEP_1)
	v_ashrrev_i32_e32 v30, 2, v30
	v_cvt_f32_i32_e32 v30, v30
	s_delay_alu instid0(VALU_DEP_1)
	v_fmac_f32_e32 v10, v29, v30
	s_clause 0x2
	global_load_b128 v[29:32], v[33:34], off
	global_load_b32 v37, v[33:34], off offset:32
	global_load_b128 v[33:36], v[33:34], off offset:16
	s_wait_loadcnt 0x2
	v_dot4_i32_iu8 v30, v18, v30, 0 neg_lo:[1,1,0]
	v_cvt_f32_f16_e32 v29, v29
	s_delay_alu instid0(VALU_DEP_2) | instskip(SKIP_2) | instid1(VALU_DEP_3)
	;; [unrolled: 41-line block ×3, first 2 shown]
	v_dot4_i32_iu8 v30, v19, v31, v30 neg_lo:[1,1,0]
	s_wait_loadcnt 0x0
	v_dot4_i32_iu8 v31, v22, v34, 0 neg_lo:[1,1,0]
	v_mul_f32_e32 v29, v24, v29
	s_delay_alu instid0(VALU_DEP_3) | instskip(NEXT) | instid1(VALU_DEP_3)
	v_dot4_i32_iu8 v30, v20, v32, v30 neg_lo:[1,1,0]
	v_dot4_i32_iu8 v31, v23, v35, v31 neg_lo:[1,1,0]
	s_delay_alu instid0(VALU_DEP_2) | instskip(NEXT) | instid1(VALU_DEP_2)
	v_dot4_i32_iu8 v30, v21, v33, v30 neg_lo:[1,1,0]
	v_dot4_i32_iu8 v31, v25, v36, v31 neg_lo:[1,1,0]
	s_delay_alu instid0(VALU_DEP_2) | instskip(NEXT) | instid1(VALU_DEP_2)
	v_mul_lo_u32 v32, v30, v28
	v_dot4_i32_iu8 v31, v27, v37, v31 neg_lo:[1,1,0]
	s_delay_alu instid0(VALU_DEP_1) | instskip(SKIP_1) | instid1(VALU_DEP_2)
	v_add_nc_u32_e32 v30, v31, v30
	v_mul_lo_u32 v33, v31, v26
	v_lshrrev_b32_e32 v31, 31, v30
	s_delay_alu instid0(VALU_DEP_1) | instskip(NEXT) | instid1(VALU_DEP_1)
	v_add_nc_u32_e32 v30, v30, v31
	v_ashrrev_i32_e32 v30, 1, v30
	s_delay_alu instid0(VALU_DEP_1) | instskip(SKIP_2) | instid1(VALU_DEP_3)
	v_add3_u32 v30, v33, v32, v30
	v_mad_co_u64_u32 v[33:34], null, v15, 36, v[0:1]
	v_add_nc_u32_e32 v15, 32, v15
	v_ashrrev_i32_e32 v31, 31, v30
	s_delay_alu instid0(VALU_DEP_1) | instskip(NEXT) | instid1(VALU_DEP_1)
	v_lshrrev_b32_e32 v31, 30, v31
	v_add_nc_u32_e32 v30, v30, v31
	s_delay_alu instid0(VALU_DEP_1) | instskip(NEXT) | instid1(VALU_DEP_1)
	v_ashrrev_i32_e32 v30, 2, v30
	v_cvt_f32_i32_e32 v30, v30
	s_delay_alu instid0(VALU_DEP_1)
	v_fmac_f32_e32 v7, v29, v30
	s_clause 0x2
	global_load_b128 v[29:32], v[33:34], off
	global_load_b32 v37, v[33:34], off offset:32
	global_load_b128 v[33:36], v[33:34], off offset:16
	s_wait_loadcnt 0x2
	v_dot4_i32_iu8 v18, v18, v30, 0 neg_lo:[1,1,0]
	s_delay_alu instid0(VALU_DEP_1) | instskip(SKIP_2) | instid1(VALU_DEP_2)
	v_dot4_i32_iu8 v18, v19, v31, v18 neg_lo:[1,1,0]
	s_wait_loadcnt 0x0
	v_dot4_i32_iu8 v19, v22, v34, 0 neg_lo:[1,1,0]
	v_dot4_i32_iu8 v18, v20, v32, v18 neg_lo:[1,1,0]
	s_delay_alu instid0(VALU_DEP_2) | instskip(NEXT) | instid1(VALU_DEP_2)
	v_dot4_i32_iu8 v19, v23, v35, v19 neg_lo:[1,1,0]
	v_dot4_i32_iu8 v18, v21, v33, v18 neg_lo:[1,1,0]
	s_delay_alu instid0(VALU_DEP_2) | instskip(NEXT) | instid1(VALU_DEP_2)
	v_dot4_i32_iu8 v19, v25, v36, v19 neg_lo:[1,1,0]
	v_mul_lo_u32 v20, v18, v28
	s_delay_alu instid0(VALU_DEP_2) | instskip(NEXT) | instid1(VALU_DEP_1)
	v_dot4_i32_iu8 v19, v27, v37, v19 neg_lo:[1,1,0]
	v_add_nc_u32_e32 v18, v19, v18
	v_mul_lo_u32 v21, v19, v26
	s_delay_alu instid0(VALU_DEP_2) | instskip(NEXT) | instid1(VALU_DEP_1)
	v_lshrrev_b32_e32 v19, 31, v18
	v_add_nc_u32_e32 v18, v18, v19
	s_delay_alu instid0(VALU_DEP_1) | instskip(NEXT) | instid1(VALU_DEP_1)
	v_ashrrev_i32_e32 v18, 1, v18
	v_add3_u32 v18, v21, v20, v18
	s_delay_alu instid0(VALU_DEP_1) | instskip(NEXT) | instid1(VALU_DEP_1)
	v_ashrrev_i32_e32 v19, 31, v18
	v_lshrrev_b32_e32 v19, 30, v19
	s_delay_alu instid0(VALU_DEP_1) | instskip(SKIP_1) | instid1(VALU_DEP_2)
	v_add_nc_u32_e32 v18, v18, v19
	v_cvt_f32_f16_e32 v19, v29
	v_ashrrev_i32_e32 v18, 2, v18
	s_delay_alu instid0(VALU_DEP_2) | instskip(NEXT) | instid1(VALU_DEP_2)
	v_mul_f32_e32 v19, v24, v19
	v_cvt_f32_i32_e32 v18, v18
	s_delay_alu instid0(VALU_DEP_1)
	v_fmac_f32_e32 v5, v19, v18
	s_wait_alu 0xfffe
	s_and_not1_b32 exec_lo, exec_lo, s3
	s_cbranch_execnz .LBB188_2
; %bb.3:
	s_or_b32 exec_lo, exec_lo, s3
.LBB188_4:
	s_delay_alu instid0(SALU_CYCLE_1)
	s_or_b32 exec_lo, exec_lo, s21
	s_mov_b32 s3, 0
	; wave barrier
	global_inv scope:SCOPE_SE
	s_mov_b32 s2, exec_lo
	v_cmpx_eq_u32_e32 0, v9
	s_cbranch_execz .LBB188_15
; %bb.5:
	v_mbcnt_lo_u32_b32 v4, -1, 0
	s_load_b64 s[0:1], s[0:1], 0x38
	s_mul_i32 s2, s10, s19
	s_mul_i32 s4, s18, s20
	s_wait_alu 0xfffe
	s_add_co_i32 s2, s2, ttmp9
	v_xor_b32_e32 v0, 16, v4
	v_xor_b32_e32 v1, 8, v4
	s_wait_alu 0xfffe
	s_add_co_i32 s2, s2, s4
	s_wait_alu 0xfffe
	s_lshl_b64 s[2:3], s[2:3], 2
	v_cmp_gt_i32_e32 vcc_lo, 32, v0
	s_wait_alu 0xfffd
	v_cndmask_b32_e32 v0, v4, v0, vcc_lo
	v_cmp_gt_i32_e32 vcc_lo, 32, v1
	s_wait_alu 0xfffd
	v_cndmask_b32_e32 v1, v4, v1, vcc_lo
	s_wait_kmcnt 0x0
	s_wait_alu 0xfffe
	s_add_nc_u64 s[0:1], s[0:1], s[2:3]
	s_delay_alu instid0(VALU_DEP_1)
	v_lshlrev_b32_e32 v1, 2, v1
	v_lshlrev_b32_e32 v0, 2, v0
	ds_bpermute_b32 v2, v0, v12
	s_wait_dscnt 0x0
	v_add_f32_e32 v3, v12, v2
	v_xor_b32_e32 v2, 4, v4
	v_xor_b32_e32 v12, 1, v4
	ds_bpermute_b32 v9, v1, v3
	v_cmp_gt_i32_e32 vcc_lo, 32, v2
	s_wait_dscnt 0x0
	s_wait_alu 0xfffd
	v_dual_cndmask_b32 v2, v4, v2 :: v_dual_add_f32 v9, v3, v9
	s_delay_alu instid0(VALU_DEP_1)
	v_lshlrev_b32_e32 v2, 2, v2
	v_xor_b32_e32 v3, 2, v4
	ds_bpermute_b32 v11, v2, v9
	v_cmp_gt_i32_e32 vcc_lo, 32, v3
	s_wait_alu 0xfffd
	v_cndmask_b32_e32 v3, v4, v3, vcc_lo
	v_cmp_gt_i32_e32 vcc_lo, 32, v12
	s_wait_alu 0xfffd
	v_cndmask_b32_e32 v4, v4, v12, vcc_lo
	v_cmp_eq_u32_e32 vcc_lo, 0, v6
	s_delay_alu instid0(VALU_DEP_2)
	v_lshlrev_b32_e32 v4, 2, v4
	v_lshlrev_b32_e32 v3, 2, v3
	s_wait_dscnt 0x0
	v_add_f32_e32 v9, v9, v11
	ds_bpermute_b32 v11, v3, v9
	s_wait_dscnt 0x0
	v_add_f32_e32 v9, v9, v11
	ds_bpermute_b32 v11, v4, v9
	s_and_saveexec_b32 s2, vcc_lo
	s_cbranch_execz .LBB188_7
; %bb.6:
	s_wait_dscnt 0x0
	v_dual_add_f32 v6, v9, v11 :: v_dual_mov_b32 v9, 0
	global_store_b32 v9, v6, s[0:1]
.LBB188_7:
	s_wait_alu 0xfffe
	s_or_b32 exec_lo, exec_lo, s2
	ds_bpermute_b32 v6, v0, v10
	s_wait_dscnt 0x0
	v_add_f32_e32 v6, v10, v6
	ds_bpermute_b32 v9, v1, v6
	s_wait_dscnt 0x0
	v_add_f32_e32 v6, v6, v9
	;; [unrolled: 3-line block ×4, first 2 shown]
	ds_bpermute_b32 v9, v4, v6
	s_and_saveexec_b32 s2, vcc_lo
	s_cbranch_execz .LBB188_9
; %bb.8:
	s_mov_b32 s7, 0
	s_wait_dscnt 0x0
	v_dual_add_f32 v6, v6, v9 :: v_dual_mov_b32 v9, 0
	s_wait_alu 0xfffe
	s_lshl_b64 s[4:5], s[6:7], 2
	s_wait_alu 0xfffe
	s_add_nc_u64 s[4:5], s[0:1], s[4:5]
	global_store_b32 v9, v6, s[4:5]
.LBB188_9:
	s_wait_alu 0xfffe
	s_or_b32 exec_lo, exec_lo, s2
	ds_bpermute_b32 v6, v0, v8
	s_wait_dscnt 0x0
	v_add_f32_e32 v6, v8, v6
	ds_bpermute_b32 v8, v1, v6
	s_wait_dscnt 0x0
	v_add_f32_e32 v6, v6, v8
	;; [unrolled: 3-line block ×4, first 2 shown]
	ds_bpermute_b32 v8, v4, v6
	s_and_saveexec_b32 s2, vcc_lo
	s_cbranch_execz .LBB188_11
; %bb.10:
	s_lshl_b32 s4, s6, 1
	s_mov_b32 s5, 0
	s_wait_dscnt 0x0
	v_add_f32_e32 v6, v6, v8
	v_mov_b32_e32 v8, 0
	s_wait_alu 0xfffe
	s_lshl_b64 s[4:5], s[4:5], 2
	s_wait_alu 0xfffe
	s_add_nc_u64 s[4:5], s[0:1], s[4:5]
	global_store_b32 v8, v6, s[4:5]
.LBB188_11:
	s_wait_alu 0xfffe
	s_or_b32 exec_lo, exec_lo, s2
	ds_bpermute_b32 v6, v0, v7
	s_wait_dscnt 0x0
	v_add_f32_e32 v6, v7, v6
	ds_bpermute_b32 v7, v1, v6
	s_wait_dscnt 0x0
	v_add_f32_e32 v6, v6, v7
	;; [unrolled: 3-line block ×4, first 2 shown]
	ds_bpermute_b32 v7, v4, v6
	s_and_saveexec_b32 s2, vcc_lo
	s_cbranch_execz .LBB188_13
; %bb.12:
	s_mul_i32 s4, s6, 3
	s_mov_b32 s5, 0
	s_wait_dscnt 0x0
	v_dual_add_f32 v6, v6, v7 :: v_dual_mov_b32 v7, 0
	s_wait_alu 0xfffe
	s_lshl_b64 s[4:5], s[4:5], 2
	s_wait_alu 0xfffe
	s_add_nc_u64 s[4:5], s[0:1], s[4:5]
	global_store_b32 v7, v6, s[4:5]
.LBB188_13:
	s_wait_alu 0xfffe
	s_or_b32 exec_lo, exec_lo, s2
	ds_bpermute_b32 v0, v0, v5
	s_wait_dscnt 0x0
	v_add_f32_e32 v0, v5, v0
	ds_bpermute_b32 v1, v1, v0
	s_wait_dscnt 0x0
	v_add_f32_e32 v0, v0, v1
	;; [unrolled: 3-line block ×4, first 2 shown]
	ds_bpermute_b32 v1, v4, v0
	s_and_b32 exec_lo, exec_lo, vcc_lo
	s_cbranch_execz .LBB188_15
; %bb.14:
	s_lshl_b32 s2, s6, 2
	s_mov_b32 s3, 0
	s_wait_dscnt 0x0
	v_dual_add_f32 v0, v0, v1 :: v_dual_mov_b32 v1, 0
	s_wait_alu 0xfffe
	s_lshl_b64 s[2:3], s[2:3], 2
	s_wait_alu 0xfffe
	s_add_nc_u64 s[0:1], s[0:1], s[2:3]
	global_store_b32 v1, v0, s[0:1]
.LBB188_15:
	s_endpgm
	.section	.rodata,"a",@progbits
	.p2align	6, 0x0
	.amdhsa_kernel _ZL13mul_mat_vec_qIL9ggml_type22ELi5ELb0ELb0EEvPKvS2_PKi31ggml_cuda_mm_fusion_args_devicePfj15HIP_vector_typeIjLj3EEjjjS8_jjjS8_jjjj
		.amdhsa_group_segment_fixed_size 0
		.amdhsa_private_segment_fixed_size 0
		.amdhsa_kernarg_size 144
		.amdhsa_user_sgpr_count 2
		.amdhsa_user_sgpr_dispatch_ptr 0
		.amdhsa_user_sgpr_queue_ptr 0
		.amdhsa_user_sgpr_kernarg_segment_ptr 1
		.amdhsa_user_sgpr_dispatch_id 0
		.amdhsa_user_sgpr_private_segment_size 0
		.amdhsa_wavefront_size32 1
		.amdhsa_uses_dynamic_stack 0
		.amdhsa_enable_private_segment 0
		.amdhsa_system_sgpr_workgroup_id_x 1
		.amdhsa_system_sgpr_workgroup_id_y 1
		.amdhsa_system_sgpr_workgroup_id_z 1
		.amdhsa_system_sgpr_workgroup_info 0
		.amdhsa_system_vgpr_workitem_id 1
		.amdhsa_next_free_vgpr 41
		.amdhsa_next_free_sgpr 26
		.amdhsa_reserve_vcc 1
		.amdhsa_float_round_mode_32 0
		.amdhsa_float_round_mode_16_64 0
		.amdhsa_float_denorm_mode_32 3
		.amdhsa_float_denorm_mode_16_64 3
		.amdhsa_fp16_overflow 0
		.amdhsa_workgroup_processor_mode 1
		.amdhsa_memory_ordered 1
		.amdhsa_forward_progress 1
		.amdhsa_inst_pref_size 42
		.amdhsa_round_robin_scheduling 0
		.amdhsa_exception_fp_ieee_invalid_op 0
		.amdhsa_exception_fp_denorm_src 0
		.amdhsa_exception_fp_ieee_div_zero 0
		.amdhsa_exception_fp_ieee_overflow 0
		.amdhsa_exception_fp_ieee_underflow 0
		.amdhsa_exception_fp_ieee_inexact 0
		.amdhsa_exception_int_div_zero 0
	.end_amdhsa_kernel
	.section	.text._ZL13mul_mat_vec_qIL9ggml_type22ELi5ELb0ELb0EEvPKvS2_PKi31ggml_cuda_mm_fusion_args_devicePfj15HIP_vector_typeIjLj3EEjjjS8_jjjS8_jjjj,"axG",@progbits,_ZL13mul_mat_vec_qIL9ggml_type22ELi5ELb0ELb0EEvPKvS2_PKi31ggml_cuda_mm_fusion_args_devicePfj15HIP_vector_typeIjLj3EEjjjS8_jjjS8_jjjj,comdat
.Lfunc_end188:
	.size	_ZL13mul_mat_vec_qIL9ggml_type22ELi5ELb0ELb0EEvPKvS2_PKi31ggml_cuda_mm_fusion_args_devicePfj15HIP_vector_typeIjLj3EEjjjS8_jjjS8_jjjj, .Lfunc_end188-_ZL13mul_mat_vec_qIL9ggml_type22ELi5ELb0ELb0EEvPKvS2_PKi31ggml_cuda_mm_fusion_args_devicePfj15HIP_vector_typeIjLj3EEjjjS8_jjjS8_jjjj
                                        ; -- End function
	.set _ZL13mul_mat_vec_qIL9ggml_type22ELi5ELb0ELb0EEvPKvS2_PKi31ggml_cuda_mm_fusion_args_devicePfj15HIP_vector_typeIjLj3EEjjjS8_jjjS8_jjjj.num_vgpr, 41
	.set _ZL13mul_mat_vec_qIL9ggml_type22ELi5ELb0ELb0EEvPKvS2_PKi31ggml_cuda_mm_fusion_args_devicePfj15HIP_vector_typeIjLj3EEjjjS8_jjjS8_jjjj.num_agpr, 0
	.set _ZL13mul_mat_vec_qIL9ggml_type22ELi5ELb0ELb0EEvPKvS2_PKi31ggml_cuda_mm_fusion_args_devicePfj15HIP_vector_typeIjLj3EEjjjS8_jjjS8_jjjj.numbered_sgpr, 26
	.set _ZL13mul_mat_vec_qIL9ggml_type22ELi5ELb0ELb0EEvPKvS2_PKi31ggml_cuda_mm_fusion_args_devicePfj15HIP_vector_typeIjLj3EEjjjS8_jjjS8_jjjj.num_named_barrier, 0
	.set _ZL13mul_mat_vec_qIL9ggml_type22ELi5ELb0ELb0EEvPKvS2_PKi31ggml_cuda_mm_fusion_args_devicePfj15HIP_vector_typeIjLj3EEjjjS8_jjjS8_jjjj.private_seg_size, 0
	.set _ZL13mul_mat_vec_qIL9ggml_type22ELi5ELb0ELb0EEvPKvS2_PKi31ggml_cuda_mm_fusion_args_devicePfj15HIP_vector_typeIjLj3EEjjjS8_jjjS8_jjjj.uses_vcc, 1
	.set _ZL13mul_mat_vec_qIL9ggml_type22ELi5ELb0ELb0EEvPKvS2_PKi31ggml_cuda_mm_fusion_args_devicePfj15HIP_vector_typeIjLj3EEjjjS8_jjjS8_jjjj.uses_flat_scratch, 0
	.set _ZL13mul_mat_vec_qIL9ggml_type22ELi5ELb0ELb0EEvPKvS2_PKi31ggml_cuda_mm_fusion_args_devicePfj15HIP_vector_typeIjLj3EEjjjS8_jjjS8_jjjj.has_dyn_sized_stack, 0
	.set _ZL13mul_mat_vec_qIL9ggml_type22ELi5ELb0ELb0EEvPKvS2_PKi31ggml_cuda_mm_fusion_args_devicePfj15HIP_vector_typeIjLj3EEjjjS8_jjjS8_jjjj.has_recursion, 0
	.set _ZL13mul_mat_vec_qIL9ggml_type22ELi5ELb0ELb0EEvPKvS2_PKi31ggml_cuda_mm_fusion_args_devicePfj15HIP_vector_typeIjLj3EEjjjS8_jjjS8_jjjj.has_indirect_call, 0
	.section	.AMDGPU.csdata,"",@progbits
; Kernel info:
; codeLenInByte = 5296
; TotalNumSgprs: 28
; NumVgprs: 41
; ScratchSize: 0
; MemoryBound: 0
; FloatMode: 240
; IeeeMode: 1
; LDSByteSize: 0 bytes/workgroup (compile time only)
; SGPRBlocks: 0
; VGPRBlocks: 5
; NumSGPRsForWavesPerEU: 28
; NumVGPRsForWavesPerEU: 41
; Occupancy: 16
; WaveLimiterHint : 0
; COMPUTE_PGM_RSRC2:SCRATCH_EN: 0
; COMPUTE_PGM_RSRC2:USER_SGPR: 2
; COMPUTE_PGM_RSRC2:TRAP_HANDLER: 0
; COMPUTE_PGM_RSRC2:TGID_X_EN: 1
; COMPUTE_PGM_RSRC2:TGID_Y_EN: 1
; COMPUTE_PGM_RSRC2:TGID_Z_EN: 1
; COMPUTE_PGM_RSRC2:TIDIG_COMP_CNT: 1
	.section	.text._ZL13mul_mat_vec_qIL9ggml_type22ELi6ELb0ELb0EEvPKvS2_PKi31ggml_cuda_mm_fusion_args_devicePfj15HIP_vector_typeIjLj3EEjjjS8_jjjS8_jjjj,"axG",@progbits,_ZL13mul_mat_vec_qIL9ggml_type22ELi6ELb0ELb0EEvPKvS2_PKi31ggml_cuda_mm_fusion_args_devicePfj15HIP_vector_typeIjLj3EEjjjS8_jjjS8_jjjj,comdat
	.globl	_ZL13mul_mat_vec_qIL9ggml_type22ELi6ELb0ELb0EEvPKvS2_PKi31ggml_cuda_mm_fusion_args_devicePfj15HIP_vector_typeIjLj3EEjjjS8_jjjS8_jjjj ; -- Begin function _ZL13mul_mat_vec_qIL9ggml_type22ELi6ELb0ELb0EEvPKvS2_PKi31ggml_cuda_mm_fusion_args_devicePfj15HIP_vector_typeIjLj3EEjjjS8_jjjS8_jjjj
	.p2align	8
	.type	_ZL13mul_mat_vec_qIL9ggml_type22ELi6ELb0ELb0EEvPKvS2_PKi31ggml_cuda_mm_fusion_args_devicePfj15HIP_vector_typeIjLj3EEjjjS8_jjjS8_jjjj,@function
_ZL13mul_mat_vec_qIL9ggml_type22ELi6ELb0ELb0EEvPKvS2_PKi31ggml_cuda_mm_fusion_args_devicePfj15HIP_vector_typeIjLj3EEjjjS8_jjjS8_jjjj: ; @_ZL13mul_mat_vec_qIL9ggml_type22ELi6ELb0ELb0EEvPKvS2_PKi31ggml_cuda_mm_fusion_args_devicePfj15HIP_vector_typeIjLj3EEjjjS8_jjjS8_jjjj
; %bb.0:
	s_clause 0x5
	s_load_b96 s[16:18], s[0:1], 0x80
	s_load_b32 s3, s[0:1], 0x40
	s_load_b128 s[4:7], s[0:1], 0x50
	s_load_b32 s2, s[0:1], 0x60
	s_load_b128 s[8:11], s[0:1], 0x68
	s_load_b32 s23, s[0:1], 0x78
	v_bfe_u32 v11, v0, 10, 10
	v_dual_mov_b32 v7, 0 :: v_dual_and_b32 v8, 0x3ff, v0
	v_dual_mov_b32 v6, 0 :: v_dual_mov_b32 v9, 0
	v_mov_b32_e32 v10, 0
	s_delay_alu instid0(VALU_DEP_3)
	v_lshl_or_b32 v0, v11, 5, v8
	v_mov_b32_e32 v12, 0
	v_mov_b32_e32 v14, 0
	s_and_b32 s19, ttmp7, 0xffff
	s_lshr_b32 s20, ttmp7, 16
	v_lshrrev_b32_e32 v13, 3, v0
	s_mov_b32 s21, exec_lo
	s_wait_kmcnt 0x0
	s_lshr_b32 s22, s3, 8
	s_delay_alu instid0(VALU_DEP_1) | instid1(SALU_CYCLE_1)
	v_cmpx_gt_u32_e64 s22, v13
	s_cbranch_execz .LBB189_4
; %bb.1:
	v_lshl_add_u32 v0, v11, 5, v8
	s_mul_hi_u32 s3, s7, s19
	s_mul_i32 s24, s9, s19
	s_add_co_i32 s7, s19, s3
	s_mov_b32 s3, 0
	v_lshrrev_b32_e32 v0, 3, v0
	s_mov_b32 s25, s3
	s_load_b128 s[12:15], s[0:1], 0x0
	s_mul_u64 s[24:25], s[24:25], 36
	s_lshr_b32 s7, s7, s2
	v_mad_co_u64_u32 v[0:1], null, 0x120, v0, s[24:25]
	s_mul_i32 s2, s17, s20
	v_dual_mov_b32 v6, 0 :: v_dual_and_b32 v15, 7, v8
	v_dual_mov_b32 v12, 0 :: v_dual_lshlrev_b32 v5, 3, v13
	s_mul_hi_u32 s9, s11, s20
	v_mad_co_u64_u32 v[2:3], null, s2, 36, v[0:1]
	s_add_co_i32 s9, s20, s9
	s_mul_u64 s[26:27], s[2:3], 36
	s_lshr_b32 s9, s9, s23
	s_mul_i32 s7, s7, s8
	s_mul_i32 s11, s9, s16
	v_lshlrev_b32_e32 v7, 1, v15
	v_mad_co_u64_u32 v[9:10], null, v15, 36, v[2:3]
	v_mad_co_u64_u32 v[2:3], null, s5, 5, v[5:6]
	;; [unrolled: 1-line block ×3, first 2 shown]
	s_wait_kmcnt 0x0
	s_add_nc_u64 s[8:9], s[14:15], s[26:27]
	s_mul_i32 s4, s4, ttmp9
	s_delay_alu instid0(VALU_DEP_3)
	v_add_co_u32 v4, vcc_lo, s14, v9
	s_add_nc_u64 s[8:9], s[8:9], s[24:25]
	v_add_co_ci_u32_e64 v9, null, s15, v10, vcc_lo
	v_mad_co_u64_u32 v[0:1], null, v15, 36, s[8:9]
	v_add_co_u32 v4, vcc_lo, v4, 16
	v_add_nc_u32_e32 v16, s5, v5
	v_lshl_add_u32 v17, s5, 2, v5
	v_lshl_add_u32 v18, s5, 1, v5
	s_wait_alu 0xfffd
	v_add_co_ci_u32_e64 v5, null, 0, v9, vcc_lo
	v_dual_mov_b32 v9, 0 :: v_dual_mov_b32 v10, 0
	v_dual_mov_b32 v14, 0 :: v_dual_lshlrev_b32 v19, 1, v7
	v_mov_b32_e32 v7, 0
	s_wait_alu 0xfffe
	s_add_co_i32 s7, s7, s4
	s_delay_alu instid0(SALU_CYCLE_1)
	s_add_co_i32 s7, s11, s7
.LBB189_2:                              ; =>This Inner Loop Header: Depth=1
	s_delay_alu instid0(SALU_CYCLE_1)
	v_add_nc_u32_e32 v20, s7, v13
	s_getpc_b64 s[4:5]
	s_wait_alu 0xfffe
	s_sext_i32_i16 s5, s5
	s_add_co_u32 s4, s4, _ZL9iq2s_grid@rel32@lo+12
	s_wait_alu 0xfffe
	s_add_co_ci_u32 s5, s5, _ZL9iq2s_grid@rel32@hi+24
	v_add_nc_u32_e32 v13, 4, v13
	v_mad_co_i64_i32 v[31:32], null, 0x52, v20, s[12:13]
	s_delay_alu instid0(VALU_DEP_1) | instskip(SKIP_1) | instid1(VALU_DEP_2)
	v_add_co_u32 v20, vcc_lo, v31, v19
	s_wait_alu 0xfffd
	v_add_co_ci_u32_e64 v21, null, 0, v32, vcc_lo
	v_add_co_u32 v22, vcc_lo, v31, v15
	s_wait_alu 0xfffd
	v_add_co_ci_u32_e64 v23, null, 0, v32, vcc_lo
	s_clause 0x3
	global_load_b32 v24, v[20:21], off offset:2
	global_load_u8 v27, v[22:23], off offset:66
	global_load_b32 v28, v[20:21], off offset:34
	global_load_u8 v30, v[22:23], off offset:74
	s_wait_loadcnt 0x3
	v_and_b32_e32 v20, 0xff, v24
	v_lshrrev_b32_e32 v26, 24, v24
	s_wait_loadcnt 0x2
	v_lshlrev_b32_e32 v21, 8, v27
	s_wait_loadcnt 0x1
	v_lshlrev_b32_e32 v22, 21, v28
	v_lshrrev_b32_e32 v25, 16, v28
	s_delay_alu instid0(VALU_DEP_3) | instskip(SKIP_1) | instid1(VALU_DEP_2)
	v_and_or_b32 v20, 0x300, v21, v20
	v_and_b32_e32 v21, 0xff, v28
	v_lshlrev_b32_e32 v20, 3, v20
	s_delay_alu instid0(VALU_DEP_2) | instskip(NEXT) | instid1(VALU_DEP_1)
	v_lshl_or_b32 v22, v21, 7, v22
	v_and_b32_e32 v23, 0x1800180, v22
	v_bfe_u32 v22, v22, 24, 1
	s_delay_alu instid0(VALU_DEP_2) | instskip(NEXT) | instid1(VALU_DEP_2)
	v_lshrrev_b16 v29, 8, v23
	v_cmp_ne_u16_e32 vcc_lo, 0, v22
	v_lshrrev_b16 v22, 7, v23
	v_lshrrev_b32_e32 v23, 2, v28
	s_delay_alu instid0(VALU_DEP_4)
	v_cmp_ne_u16_e64 s2, 0, v29
	s_wait_alu 0xfffd
	v_cndmask_b32_e64 v34, 0, -1, vcc_lo
	v_bfe_i32 v22, v22, 0, 1
	v_bfe_i32 v23, v23, 0, 1
	s_wait_alu 0xf1ff
	v_cndmask_b32_e64 v33, 0, -1, s2
	v_lshlrev_b16 v34, 8, v34
	v_and_b32_e32 v29, 0xff, v22
	v_and_b32_e32 v35, 0xff, v23
	v_lshlrev_b16 v22, 8, v22
	v_lshlrev_b16 v33, 8, v33
	;; [unrolled: 1-line block ×3, first 2 shown]
	s_delay_alu instid0(VALU_DEP_4) | instskip(NEXT) | instid1(VALU_DEP_3)
	v_or_b32_e32 v35, v35, v34
	v_or_b32_e32 v29, v29, v33
	s_delay_alu instid0(VALU_DEP_2) | instskip(NEXT) | instid1(VALU_DEP_2)
	v_lshlrev_b32_e32 v35, 16, v35
	v_and_b32_e32 v29, 0xffff, v29
	s_delay_alu instid0(VALU_DEP_1) | instskip(SKIP_1) | instid1(VALU_DEP_1)
	v_or_b32_e32 v29, v29, v35
	v_lshlrev_b32_e32 v35, 17, v28
	v_lshl_or_b32 v21, v21, 3, v35
	s_delay_alu instid0(VALU_DEP_1) | instskip(SKIP_1) | instid1(VALU_DEP_2)
	v_and_b32_e32 v35, 0x1800180, v21
	v_bfe_u32 v21, v21, 24, 1
	v_lshrrev_b16 v36, 8, v35
	s_delay_alu instid0(VALU_DEP_2) | instskip(SKIP_2) | instid1(VALU_DEP_4)
	v_cmp_ne_u16_e32 vcc_lo, 0, v21
	v_lshrrev_b16 v21, 7, v35
	v_lshrrev_b32_e32 v35, 6, v28
	v_cmp_ne_u16_e64 s2, 0, v36
	s_wait_alu 0xfffd
	v_cndmask_b32_e64 v38, 0, -1, vcc_lo
	v_bfe_i32 v36, v21, 0, 1
	v_bfe_i32 v35, v35, 0, 1
	s_wait_alu 0xf1ff
	v_cndmask_b32_e64 v37, 0, -1, s2
	v_lshlrev_b16 v38, 8, v38
	v_and_b32_e32 v21, 0xff, v36
	v_and_b32_e32 v39, 0xff, v35
	s_delay_alu instid0(VALU_DEP_4) | instskip(NEXT) | instid1(VALU_DEP_2)
	v_lshlrev_b16 v37, 8, v37
	v_or_b32_e32 v39, v39, v38
	s_delay_alu instid0(VALU_DEP_2) | instskip(NEXT) | instid1(VALU_DEP_2)
	v_or_b32_e32 v21, v21, v37
	v_lshlrev_b32_e32 v39, 16, v39
	s_delay_alu instid0(VALU_DEP_2) | instskip(NEXT) | instid1(VALU_DEP_1)
	v_and_b32_e32 v21, 0xffff, v21
	v_or_b32_e32 v39, v21, v39
	global_load_b64 v[20:21], v20, s[4:5]
	s_wait_loadcnt 0x0
	v_xor_b32_e32 v20, v20, v29
	v_xor_b32_e32 v21, v21, v39
	v_lshrrev_b32_e32 v39, 14, v28
	s_delay_alu instid0(VALU_DEP_3) | instskip(SKIP_2) | instid1(VALU_DEP_4)
	v_lshrrev_b32_e32 v29, 16, v20
	v_and_b32_e32 v40, 0xffffff00, v20
	v_lshlrev_b16 v20, 8, v20
	v_bfe_i32 v39, v39, 0, 1
	s_delay_alu instid0(VALU_DEP_3) | instskip(NEXT) | instid1(VALU_DEP_3)
	v_sub_nc_i16 v33, v40, v33 clamp
	v_sub_nc_i16 v20, v20, v22 clamp
	v_and_b32_e32 v22, 0xffffff00, v29
	v_lshlrev_b16 v29, 8, v29
	v_and_b32_e32 v41, 0xff, v39
	s_delay_alu instid0(VALU_DEP_4) | instskip(NEXT) | instid1(VALU_DEP_4)
	v_perm_b32 v20, v20, v33, 0xc0c0105
	v_sub_nc_i16 v22, v22, v34 clamp
	s_delay_alu instid0(VALU_DEP_4) | instskip(SKIP_3) | instid1(VALU_DEP_4)
	v_sub_nc_i16 v23, v29, v23 clamp
	v_lshlrev_b16 v29, 8, v36
	v_lshrrev_b32_e32 v33, 11, v28
	v_lshrrev_b32_e32 v34, 10, v28
	v_perm_b32 v22, v23, v22, 0xc0c0105
	v_and_b32_e32 v23, 0xffffff00, v21
	s_delay_alu instid0(VALU_DEP_4) | instskip(NEXT) | instid1(VALU_DEP_4)
	v_bfe_i32 v33, v33, 0, 1
	v_bfe_i32 v34, v34, 0, 1
	s_delay_alu instid0(VALU_DEP_4)
	v_lshl_or_b32 v20, v22, 16, v20
	v_lshrrev_b32_e32 v22, 16, v21
	v_lshlrev_b16 v21, 8, v21
	v_sub_nc_i16 v23, v23, v37 clamp
	v_lshlrev_b16 v33, 8, v33
	v_and_b32_e32 v36, 0xff, v34
	v_lshlrev_b16 v34, 8, v34
	v_sub_nc_i16 v21, v21, v29 clamp
	v_lshlrev_b16 v29, 8, v35
	s_delay_alu instid0(VALU_DEP_4) | instskip(NEXT) | instid1(VALU_DEP_3)
	v_or_b32_e32 v36, v36, v33
	v_perm_b32 v21, v21, v23, 0xc0c0105
	v_and_b32_e32 v23, 0xffffff00, v22
	v_lshlrev_b16 v22, 8, v22
	s_delay_alu instid0(VALU_DEP_4) | instskip(NEXT) | instid1(VALU_DEP_3)
	v_lshlrev_b32_e32 v36, 16, v36
	v_sub_nc_i16 v23, v23, v38 clamp
	s_delay_alu instid0(VALU_DEP_3) | instskip(SKIP_1) | instid1(VALU_DEP_2)
	v_sub_nc_i16 v22, v22, v29 clamp
	v_lshrrev_b32_e32 v38, 15, v28
	v_perm_b32 v22, v22, v23, 0xc0c0105
	v_lshlrev_b32_e32 v23, 6, v27
	s_delay_alu instid0(VALU_DEP_3) | instskip(NEXT) | instid1(VALU_DEP_3)
	v_bfe_i32 v38, v38, 0, 1
	v_lshl_or_b32 v21, v22, 16, v21
	v_bfe_u32 v22, v24, 8, 8
	s_delay_alu instid0(VALU_DEP_3) | instskip(SKIP_1) | instid1(VALU_DEP_3)
	v_lshlrev_b16 v38, 8, v38
	v_bfe_u32 v24, v24, 16, 8
	v_and_or_b32 v22, 0x300, v23, v22
	v_lshrrev_b32_e32 v23, 1, v28
	s_delay_alu instid0(VALU_DEP_4) | instskip(NEXT) | instid1(VALU_DEP_3)
	v_or_b32_e32 v41, v41, v38
	v_lshlrev_b32_e32 v22, 3, v22
	s_delay_alu instid0(VALU_DEP_3) | instskip(NEXT) | instid1(VALU_DEP_3)
	v_and_b32_e32 v23, 0x180, v23
	v_lshlrev_b32_e32 v41, 16, v41
	s_delay_alu instid0(VALU_DEP_2) | instskip(SKIP_1) | instid1(VALU_DEP_2)
	v_lshrrev_b16 v29, 8, v23
	v_lshrrev_b16 v23, 7, v23
	v_cmp_ne_u16_e32 vcc_lo, 0, v29
	s_delay_alu instid0(VALU_DEP_2) | instskip(SKIP_2) | instid1(VALU_DEP_2)
	v_bfe_i32 v29, v23, 0, 1
	s_wait_alu 0xfffd
	v_cndmask_b32_e64 v35, 0, -1, vcc_lo
	v_and_b32_e32 v23, 0xff, v29
	v_lshlrev_b16 v29, 8, v29
	s_delay_alu instid0(VALU_DEP_3) | instskip(NEXT) | instid1(VALU_DEP_1)
	v_lshlrev_b16 v35, 8, v35
	v_or_b32_e32 v23, v23, v35
	s_delay_alu instid0(VALU_DEP_1) | instskip(NEXT) | instid1(VALU_DEP_1)
	v_and_b32_e32 v23, 0xffff, v23
	v_or_b32_e32 v36, v23, v36
	v_lshrrev_b32_e32 v23, 5, v28
	s_delay_alu instid0(VALU_DEP_1) | instskip(NEXT) | instid1(VALU_DEP_1)
	v_and_b32_e32 v23, 0x180, v23
	v_lshrrev_b16 v37, 8, v23
	v_lshrrev_b16 v23, 7, v23
	s_delay_alu instid0(VALU_DEP_2) | instskip(NEXT) | instid1(VALU_DEP_2)
	v_cmp_ne_u16_e32 vcc_lo, 0, v37
	v_bfe_i32 v37, v23, 0, 1
	s_wait_alu 0xfffd
	v_cndmask_b32_e64 v40, 0, -1, vcc_lo
	s_delay_alu instid0(VALU_DEP_2) | instskip(NEXT) | instid1(VALU_DEP_2)
	v_and_b32_e32 v23, 0xff, v37
	v_lshlrev_b16 v40, 8, v40
	s_delay_alu instid0(VALU_DEP_1) | instskip(NEXT) | instid1(VALU_DEP_1)
	v_or_b32_e32 v23, v23, v40
	v_and_b32_e32 v23, 0xffff, v23
	s_delay_alu instid0(VALU_DEP_1) | instskip(SKIP_4) | instid1(VALU_DEP_2)
	v_or_b32_e32 v41, v23, v41
	global_load_b64 v[22:23], v22, s[4:5]
	s_wait_loadcnt 0x0
	v_xor_b32_e32 v22, v22, v36
	v_xor_b32_e32 v23, v23, v41
	v_lshrrev_b32_e32 v36, 16, v22
	v_and_b32_e32 v42, 0xffffff00, v22
	v_lshlrev_b16 v22, 8, v22
	s_delay_alu instid0(VALU_DEP_2) | instskip(NEXT) | instid1(VALU_DEP_2)
	v_sub_nc_i16 v35, v42, v35 clamp
	v_sub_nc_i16 v22, v22, v29 clamp
	v_and_b32_e32 v29, 0xffffff00, v36
	s_delay_alu instid0(VALU_DEP_2) | instskip(NEXT) | instid1(VALU_DEP_2)
	v_perm_b32 v22, v22, v35, 0xc0c0105
	v_sub_nc_i16 v29, v29, v33 clamp
	v_lshlrev_b16 v33, 8, v36
	s_delay_alu instid0(VALU_DEP_1) | instskip(SKIP_1) | instid1(VALU_DEP_2)
	v_sub_nc_i16 v33, v33, v34 clamp
	v_lshlrev_b16 v34, 8, v37
	v_perm_b32 v29, v33, v29, 0xc0c0105
	v_and_b32_e32 v33, 0xffffff00, v23
	s_delay_alu instid0(VALU_DEP_2) | instskip(SKIP_2) | instid1(VALU_DEP_4)
	v_lshl_or_b32 v22, v29, 16, v22
	v_lshrrev_b32_e32 v29, 16, v23
	v_lshlrev_b16 v23, 8, v23
	v_sub_nc_i16 v33, v33, v40 clamp
	s_delay_alu instid0(VALU_DEP_2) | instskip(SKIP_1) | instid1(VALU_DEP_2)
	v_sub_nc_i16 v23, v23, v34 clamp
	v_lshlrev_b16 v34, 8, v39
	v_perm_b32 v23, v23, v33, 0xc0c0105
	v_and_b32_e32 v33, 0xffffff00, v29
	v_lshlrev_b16 v29, 8, v29
	s_delay_alu instid0(VALU_DEP_2) | instskip(NEXT) | instid1(VALU_DEP_2)
	v_sub_nc_i16 v33, v33, v38 clamp
	v_sub_nc_i16 v29, v29, v34 clamp
	s_delay_alu instid0(VALU_DEP_1) | instskip(NEXT) | instid1(VALU_DEP_1)
	v_perm_b32 v29, v29, v33, 0xc0c0105
	v_lshl_or_b32 v23, v29, 16, v23
	v_lshlrev_b32_e32 v29, 4, v27
	v_lshlrev_b32_e32 v27, 2, v27
	s_delay_alu instid0(VALU_DEP_2) | instskip(SKIP_1) | instid1(VALU_DEP_3)
	v_and_or_b32 v24, 0x300, v29, v24
	v_lshrrev_b32_e32 v29, 9, v28
	v_and_or_b32 v26, 0x300, v27, v26
	v_lshrrev_b32_e32 v27, 17, v28
	s_delay_alu instid0(VALU_DEP_4) | instskip(NEXT) | instid1(VALU_DEP_4)
	v_lshlrev_b32_e32 v24, 3, v24
	v_lshl_or_b32 v29, v25, 21, v29
	s_delay_alu instid0(VALU_DEP_4) | instskip(NEXT) | instid1(VALU_DEP_2)
	v_lshlrev_b32_e32 v26, 3, v26
	v_and_b32_e32 v33, 0x1800180, v29
	v_bfe_u32 v29, v29, 24, 1
	s_delay_alu instid0(VALU_DEP_2) | instskip(NEXT) | instid1(VALU_DEP_2)
	v_lshrrev_b16 v34, 8, v33
	v_cmp_ne_u16_e32 vcc_lo, 0, v29
	v_lshrrev_b16 v29, 7, v33
	v_lshrrev_b32_e32 v33, 18, v28
	s_delay_alu instid0(VALU_DEP_4)
	v_cmp_ne_u16_e64 s2, 0, v34
	s_wait_alu 0xfffd
	v_cndmask_b32_e64 v36, 0, -1, vcc_lo
	v_bfe_i32 v29, v29, 0, 1
	v_bfe_i32 v33, v33, 0, 1
	s_wait_alu 0xf1ff
	v_cndmask_b32_e64 v35, 0, -1, s2
	v_lshlrev_b16 v36, 8, v36
	v_and_b32_e32 v34, 0xff, v29
	v_and_b32_e32 v37, 0xff, v33
	v_lshlrev_b16 v29, 8, v29
	v_lshlrev_b16 v35, 8, v35
	v_lshlrev_b16 v33, 8, v33
	s_delay_alu instid0(VALU_DEP_4) | instskip(NEXT) | instid1(VALU_DEP_3)
	v_or_b32_e32 v37, v37, v36
	v_or_b32_e32 v34, v34, v35
	s_delay_alu instid0(VALU_DEP_2) | instskip(NEXT) | instid1(VALU_DEP_2)
	v_lshlrev_b32_e32 v37, 16, v37
	v_and_b32_e32 v34, 0xffff, v34
	s_delay_alu instid0(VALU_DEP_1) | instskip(SKIP_1) | instid1(VALU_DEP_1)
	v_or_b32_e32 v34, v34, v37
	v_lshrrev_b32_e32 v37, 13, v28
	v_lshl_or_b32 v25, v25, 17, v37
	s_delay_alu instid0(VALU_DEP_1) | instskip(SKIP_1) | instid1(VALU_DEP_2)
	v_and_b32_e32 v37, 0x1800180, v25
	v_bfe_u32 v25, v25, 24, 1
	v_lshrrev_b16 v38, 8, v37
	s_delay_alu instid0(VALU_DEP_2) | instskip(SKIP_2) | instid1(VALU_DEP_4)
	v_cmp_ne_u16_e32 vcc_lo, 0, v25
	v_lshrrev_b16 v25, 7, v37
	v_lshrrev_b32_e32 v37, 22, v28
	v_cmp_ne_u16_e64 s2, 0, v38
	s_wait_alu 0xfffd
	v_cndmask_b32_e64 v40, 0, -1, vcc_lo
	v_bfe_i32 v38, v25, 0, 1
	v_bfe_i32 v37, v37, 0, 1
	s_wait_alu 0xf1ff
	v_cndmask_b32_e64 v39, 0, -1, s2
	v_lshlrev_b16 v40, 8, v40
	v_and_b32_e32 v25, 0xff, v38
	v_and_b32_e32 v41, 0xff, v37
	s_delay_alu instid0(VALU_DEP_4) | instskip(NEXT) | instid1(VALU_DEP_2)
	v_lshlrev_b16 v39, 8, v39
	v_or_b32_e32 v41, v41, v40
	s_delay_alu instid0(VALU_DEP_2) | instskip(NEXT) | instid1(VALU_DEP_2)
	v_or_b32_e32 v25, v25, v39
	v_lshlrev_b32_e32 v41, 16, v41
	s_delay_alu instid0(VALU_DEP_2) | instskip(NEXT) | instid1(VALU_DEP_1)
	v_and_b32_e32 v25, 0xffff, v25
	v_or_b32_e32 v41, v25, v41
	global_load_b64 v[24:25], v24, s[4:5]
	s_wait_loadcnt 0x0
	v_xor_b32_e32 v24, v24, v34
	v_xor_b32_e32 v25, v25, v41
	s_delay_alu instid0(VALU_DEP_2) | instskip(SKIP_2) | instid1(VALU_DEP_2)
	v_lshrrev_b32_e32 v34, 16, v24
	v_and_b32_e32 v42, 0xffffff00, v24
	v_lshlrev_b16 v24, 8, v24
	v_sub_nc_i16 v35, v42, v35 clamp
	s_delay_alu instid0(VALU_DEP_2) | instskip(SKIP_2) | instid1(VALU_DEP_3)
	v_sub_nc_i16 v24, v24, v29 clamp
	v_and_b32_e32 v29, 0xffffff00, v34
	v_lshlrev_b16 v34, 8, v34
	v_perm_b32 v24, v24, v35, 0xc0c0105
	s_delay_alu instid0(VALU_DEP_3) | instskip(NEXT) | instid1(VALU_DEP_3)
	v_sub_nc_i16 v29, v29, v36 clamp
	v_sub_nc_i16 v33, v34, v33 clamp
	v_lshlrev_b16 v34, 8, v38
	v_lshrrev_b32_e32 v38, 31, v28
	s_delay_alu instid0(VALU_DEP_3) | instskip(SKIP_1) | instid1(VALU_DEP_2)
	v_perm_b32 v29, v33, v29, 0xc0c0105
	v_and_b32_e32 v33, 0xffffff00, v25
	v_lshl_or_b32 v24, v29, 16, v24
	v_lshrrev_b32_e32 v29, 16, v25
	v_lshlrev_b16 v25, 8, v25
	s_delay_alu instid0(VALU_DEP_4) | instskip(NEXT) | instid1(VALU_DEP_2)
	v_sub_nc_i16 v33, v33, v39 clamp
	v_sub_nc_i16 v25, v25, v34 clamp
	v_lshlrev_b16 v34, 8, v37
	s_delay_alu instid0(VALU_DEP_2) | instskip(SKIP_2) | instid1(VALU_DEP_2)
	v_perm_b32 v25, v25, v33, 0xc0c0105
	v_and_b32_e32 v33, 0xffffff00, v29
	v_lshlrev_b16 v29, 8, v29
	v_sub_nc_i16 v33, v33, v40 clamp
	s_delay_alu instid0(VALU_DEP_2) | instskip(NEXT) | instid1(VALU_DEP_1)
	v_sub_nc_i16 v29, v29, v34 clamp
	v_perm_b32 v29, v29, v33, 0xc0c0105
	s_delay_alu instid0(VALU_DEP_1) | instskip(SKIP_1) | instid1(VALU_DEP_1)
	v_lshl_or_b32 v25, v29, 16, v25
	v_lshrrev_b32_e32 v29, 3, v28
	v_and_or_b32 v27, 0x1fe00000, v29, v27
	s_delay_alu instid0(VALU_DEP_1) | instskip(SKIP_1) | instid1(VALU_DEP_2)
	v_and_b32_e32 v29, 0x1800180, v27
	v_bfe_u32 v27, v27, 24, 1
	v_lshrrev_b16 v33, 8, v29
	s_delay_alu instid0(VALU_DEP_2) | instskip(SKIP_2) | instid1(VALU_DEP_4)
	v_cmp_ne_u16_e32 vcc_lo, 0, v27
	v_lshrrev_b16 v27, 7, v29
	v_lshrrev_b32_e32 v29, 26, v28
	v_cmp_ne_u16_e64 s2, 0, v33
	s_wait_alu 0xfffd
	v_cndmask_b32_e64 v35, 0, -1, vcc_lo
	v_bfe_i32 v33, v27, 0, 1
	v_bfe_i32 v29, v29, 0, 1
	v_cmp_ne_u16_e32 vcc_lo, 0, v38
	s_wait_alu 0xf1ff
	v_cndmask_b32_e64 v34, 0, -1, s2
	v_lshlrev_b16 v35, 8, v35
	v_and_b32_e32 v27, 0xff, v33
	v_and_b32_e32 v36, 0xff, v29
	s_wait_alu 0xfffd
	v_cndmask_b32_e64 v40, 0, -1, vcc_lo
	v_lshlrev_b16 v34, 8, v34
	v_lshlrev_b16 v33, 8, v33
	;; [unrolled: 1-line block ×3, first 2 shown]
	v_or_b32_e32 v36, v36, v35
	v_lshlrev_b16 v40, 8, v40
	v_or_b32_e32 v27, v27, v34
	s_delay_alu instid0(VALU_DEP_3) | instskip(NEXT) | instid1(VALU_DEP_2)
	v_lshlrev_b32_e32 v36, 16, v36
	v_and_b32_e32 v27, 0xffff, v27
	s_delay_alu instid0(VALU_DEP_1) | instskip(SKIP_2) | instid1(VALU_DEP_2)
	v_or_b32_e32 v36, v27, v36
	v_lshrrev_b32_e32 v27, 21, v28
	v_lshrrev_b32_e32 v28, 30, v28
	v_lshrrev_b16 v37, 8, v27
	v_lshrrev_b16 v27, 7, v27
	s_delay_alu instid0(VALU_DEP_3) | instskip(NEXT) | instid1(VALU_DEP_3)
	v_bfe_i32 v39, v28, 0, 1
	v_bfe_i32 v37, v37, 0, 1
	s_delay_alu instid0(VALU_DEP_3) | instskip(NEXT) | instid1(VALU_DEP_3)
	v_bfe_i32 v38, v27, 0, 1
	v_and_b32_e32 v28, 0xff, v39
	s_delay_alu instid0(VALU_DEP_3) | instskip(NEXT) | instid1(VALU_DEP_3)
	v_lshlrev_b16 v37, 8, v37
	v_and_b32_e32 v27, 0xff, v38
	s_delay_alu instid0(VALU_DEP_3) | instskip(NEXT) | instid1(VALU_DEP_2)
	v_or_b32_e32 v28, v28, v40
	v_or_b32_e32 v27, v27, v37
	s_delay_alu instid0(VALU_DEP_2) | instskip(NEXT) | instid1(VALU_DEP_2)
	v_lshlrev_b32_e32 v28, 16, v28
	v_and_b32_e32 v27, 0xffff, v27
	s_delay_alu instid0(VALU_DEP_1) | instskip(SKIP_3) | instid1(VALU_DEP_1)
	v_or_b32_e32 v41, v27, v28
	global_load_b64 v[27:28], v26, s[4:5]
	s_wait_loadcnt 0x0
	v_xor_b32_e32 v26, v27, v36
	v_lshrrev_b32_e32 v27, 16, v26
	v_and_b32_e32 v36, 0xffffff00, v26
	v_lshlrev_b16 v26, 8, v26
	s_delay_alu instid0(VALU_DEP_2) | instskip(NEXT) | instid1(VALU_DEP_2)
	v_sub_nc_i16 v34, v36, v34 clamp
	v_sub_nc_i16 v26, v26, v33 clamp
	v_and_b32_e32 v33, 0xffffff00, v27
	v_lshlrev_b16 v27, 8, v27
	s_delay_alu instid0(VALU_DEP_3) | instskip(NEXT) | instid1(VALU_DEP_3)
	v_perm_b32 v26, v26, v34, 0xc0c0105
	v_sub_nc_i16 v33, v33, v35 clamp
	s_delay_alu instid0(VALU_DEP_3) | instskip(NEXT) | instid1(VALU_DEP_1)
	v_sub_nc_i16 v27, v27, v29 clamp
	v_perm_b32 v27, v27, v33, 0xc0c0105
	v_lshlrev_b16 v33, 8, v38
	s_delay_alu instid0(VALU_DEP_2) | instskip(SKIP_1) | instid1(VALU_DEP_1)
	v_lshl_or_b32 v27, v27, 16, v26
	v_xor_b32_e32 v26, v28, v41
	v_lshrrev_b32_e32 v28, 16, v26
	v_and_b32_e32 v29, 0xffffff00, v26
	v_lshlrev_b16 v26, 8, v26
	s_delay_alu instid0(VALU_DEP_2) | instskip(NEXT) | instid1(VALU_DEP_2)
	v_sub_nc_i16 v29, v29, v37 clamp
	v_sub_nc_i16 v26, v26, v33 clamp
	v_lshlrev_b16 v33, 8, v39
	s_delay_alu instid0(VALU_DEP_2) | instskip(SKIP_2) | instid1(VALU_DEP_2)
	v_perm_b32 v26, v26, v29, 0xc0c0105
	v_and_b32_e32 v29, 0xffffff00, v28
	v_lshlrev_b16 v28, 8, v28
	v_sub_nc_i16 v29, v29, v40 clamp
	s_delay_alu instid0(VALU_DEP_2) | instskip(NEXT) | instid1(VALU_DEP_1)
	v_sub_nc_i16 v28, v28, v33 clamp
	v_perm_b32 v28, v28, v29, 0xc0c0105
	s_delay_alu instid0(VALU_DEP_1)
	v_lshl_or_b32 v29, v28, 16, v26
	global_load_u16 v26, v[31:32], off
	s_clause 0x2
	global_load_b128 v[31:34], v[4:5], off offset:-16
	global_load_b32 v39, v[4:5], off offset:16
	global_load_b128 v[35:38], v[4:5], off
	v_lshrrev_b32_e32 v28, 4, v30
	v_and_b32_e32 v30, 15, v30
	v_add_co_u32 v4, vcc_lo, 0x480, v4
	s_wait_alu 0xfffd
	v_add_co_ci_u32_e64 v5, null, 0, v5, vcc_lo
	v_cmp_le_u32_e32 vcc_lo, s22, v13
	s_or_b32 s3, vcc_lo, s3
	s_wait_loadcnt 0x2
	v_dot4_i32_iu8 v32, v20, v32, 0 neg_lo:[1,1,0]
	v_cvt_f32_f16_e32 v26, v26
	v_cvt_f32_f16_e32 v31, v31
	s_delay_alu instid0(VALU_DEP_3) | instskip(SKIP_2) | instid1(VALU_DEP_3)
	v_dot4_i32_iu8 v32, v21, v33, v32 neg_lo:[1,1,0]
	s_wait_loadcnt 0x0
	v_dot4_i32_iu8 v33, v24, v36, 0 neg_lo:[1,1,0]
	v_mul_f32_e32 v31, v26, v31
	s_delay_alu instid0(VALU_DEP_3) | instskip(NEXT) | instid1(VALU_DEP_3)
	v_dot4_i32_iu8 v32, v22, v34, v32 neg_lo:[1,1,0]
	v_dot4_i32_iu8 v33, v25, v37, v33 neg_lo:[1,1,0]
	s_delay_alu instid0(VALU_DEP_2) | instskip(NEXT) | instid1(VALU_DEP_2)
	v_dot4_i32_iu8 v32, v23, v35, v32 neg_lo:[1,1,0]
	v_dot4_i32_iu8 v33, v27, v38, v33 neg_lo:[1,1,0]
	s_delay_alu instid0(VALU_DEP_2) | instskip(NEXT) | instid1(VALU_DEP_2)
	v_mul_lo_u32 v34, v32, v30
	v_dot4_i32_iu8 v33, v29, v39, v33 neg_lo:[1,1,0]
	s_delay_alu instid0(VALU_DEP_1) | instskip(SKIP_1) | instid1(VALU_DEP_2)
	v_add_nc_u32_e32 v32, v33, v32
	v_mul_lo_u32 v35, v33, v28
	v_lshrrev_b32_e32 v33, 31, v32
	s_delay_alu instid0(VALU_DEP_1) | instskip(NEXT) | instid1(VALU_DEP_1)
	v_add_nc_u32_e32 v32, v32, v33
	v_ashrrev_i32_e32 v32, 1, v32
	s_delay_alu instid0(VALU_DEP_1) | instskip(SKIP_2) | instid1(VALU_DEP_3)
	v_add3_u32 v32, v35, v34, v32
	v_mad_co_u64_u32 v[35:36], null, v16, 36, v[0:1]
	v_add_nc_u32_e32 v16, 32, v16
	v_ashrrev_i32_e32 v33, 31, v32
	s_delay_alu instid0(VALU_DEP_1) | instskip(NEXT) | instid1(VALU_DEP_1)
	v_lshrrev_b32_e32 v33, 30, v33
	v_add_nc_u32_e32 v32, v32, v33
	s_delay_alu instid0(VALU_DEP_1) | instskip(NEXT) | instid1(VALU_DEP_1)
	v_ashrrev_i32_e32 v32, 2, v32
	v_cvt_f32_i32_e32 v32, v32
	s_delay_alu instid0(VALU_DEP_1)
	v_fmac_f32_e32 v14, v31, v32
	s_clause 0x2
	global_load_b128 v[31:34], v[35:36], off
	global_load_b32 v39, v[35:36], off offset:32
	global_load_b128 v[35:38], v[35:36], off offset:16
	s_wait_loadcnt 0x2
	v_dot4_i32_iu8 v32, v20, v32, 0 neg_lo:[1,1,0]
	v_cvt_f32_f16_e32 v31, v31
	s_delay_alu instid0(VALU_DEP_2) | instskip(SKIP_2) | instid1(VALU_DEP_3)
	v_dot4_i32_iu8 v32, v21, v33, v32 neg_lo:[1,1,0]
	s_wait_loadcnt 0x0
	v_dot4_i32_iu8 v33, v24, v36, 0 neg_lo:[1,1,0]
	v_mul_f32_e32 v31, v26, v31
	s_delay_alu instid0(VALU_DEP_3) | instskip(NEXT) | instid1(VALU_DEP_3)
	v_dot4_i32_iu8 v32, v22, v34, v32 neg_lo:[1,1,0]
	v_dot4_i32_iu8 v33, v25, v37, v33 neg_lo:[1,1,0]
	s_delay_alu instid0(VALU_DEP_2) | instskip(NEXT) | instid1(VALU_DEP_2)
	v_dot4_i32_iu8 v32, v23, v35, v32 neg_lo:[1,1,0]
	v_dot4_i32_iu8 v33, v27, v38, v33 neg_lo:[1,1,0]
	s_delay_alu instid0(VALU_DEP_2) | instskip(NEXT) | instid1(VALU_DEP_2)
	v_mul_lo_u32 v34, v32, v30
	v_dot4_i32_iu8 v33, v29, v39, v33 neg_lo:[1,1,0]
	s_delay_alu instid0(VALU_DEP_1) | instskip(SKIP_1) | instid1(VALU_DEP_2)
	v_add_nc_u32_e32 v32, v33, v32
	v_mul_lo_u32 v35, v33, v28
	v_lshrrev_b32_e32 v33, 31, v32
	s_delay_alu instid0(VALU_DEP_1) | instskip(NEXT) | instid1(VALU_DEP_1)
	v_add_nc_u32_e32 v32, v32, v33
	v_ashrrev_i32_e32 v32, 1, v32
	s_delay_alu instid0(VALU_DEP_1) | instskip(SKIP_2) | instid1(VALU_DEP_3)
	v_add3_u32 v32, v35, v34, v32
	v_mad_co_u64_u32 v[35:36], null, v18, 36, v[0:1]
	v_add_nc_u32_e32 v18, 32, v18
	v_ashrrev_i32_e32 v33, 31, v32
	s_delay_alu instid0(VALU_DEP_1) | instskip(NEXT) | instid1(VALU_DEP_1)
	v_lshrrev_b32_e32 v33, 30, v33
	v_add_nc_u32_e32 v32, v32, v33
	s_delay_alu instid0(VALU_DEP_1) | instskip(NEXT) | instid1(VALU_DEP_1)
	v_ashrrev_i32_e32 v32, 2, v32
	v_cvt_f32_i32_e32 v32, v32
	s_delay_alu instid0(VALU_DEP_1)
	v_fmac_f32_e32 v12, v31, v32
	s_clause 0x2
	global_load_b128 v[31:34], v[35:36], off
	global_load_b32 v39, v[35:36], off offset:32
	global_load_b128 v[35:38], v[35:36], off offset:16
	s_wait_loadcnt 0x2
	v_dot4_i32_iu8 v32, v20, v32, 0 neg_lo:[1,1,0]
	v_cvt_f32_f16_e32 v31, v31
	s_delay_alu instid0(VALU_DEP_2) | instskip(SKIP_2) | instid1(VALU_DEP_3)
	;; [unrolled: 41-line block ×4, first 2 shown]
	v_dot4_i32_iu8 v32, v21, v33, v32 neg_lo:[1,1,0]
	s_wait_loadcnt 0x0
	v_dot4_i32_iu8 v33, v24, v36, 0 neg_lo:[1,1,0]
	v_mul_f32_e32 v31, v26, v31
	s_delay_alu instid0(VALU_DEP_3) | instskip(NEXT) | instid1(VALU_DEP_3)
	v_dot4_i32_iu8 v32, v22, v34, v32 neg_lo:[1,1,0]
	v_dot4_i32_iu8 v33, v25, v37, v33 neg_lo:[1,1,0]
	s_delay_alu instid0(VALU_DEP_2) | instskip(NEXT) | instid1(VALU_DEP_2)
	v_dot4_i32_iu8 v32, v23, v35, v32 neg_lo:[1,1,0]
	v_dot4_i32_iu8 v33, v27, v38, v33 neg_lo:[1,1,0]
	s_delay_alu instid0(VALU_DEP_2) | instskip(NEXT) | instid1(VALU_DEP_2)
	v_mul_lo_u32 v34, v32, v30
	v_dot4_i32_iu8 v33, v29, v39, v33 neg_lo:[1,1,0]
	s_delay_alu instid0(VALU_DEP_1) | instskip(SKIP_1) | instid1(VALU_DEP_2)
	v_add_nc_u32_e32 v32, v33, v32
	v_mul_lo_u32 v35, v33, v28
	v_lshrrev_b32_e32 v33, 31, v32
	s_delay_alu instid0(VALU_DEP_1) | instskip(NEXT) | instid1(VALU_DEP_1)
	v_add_nc_u32_e32 v32, v32, v33
	v_ashrrev_i32_e32 v32, 1, v32
	s_delay_alu instid0(VALU_DEP_1) | instskip(SKIP_2) | instid1(VALU_DEP_3)
	v_add3_u32 v32, v35, v34, v32
	v_mad_co_u64_u32 v[35:36], null, v2, 36, v[0:1]
	v_add_nc_u32_e32 v2, 32, v2
	v_ashrrev_i32_e32 v33, 31, v32
	s_delay_alu instid0(VALU_DEP_1) | instskip(NEXT) | instid1(VALU_DEP_1)
	v_lshrrev_b32_e32 v33, 30, v33
	v_add_nc_u32_e32 v32, v32, v33
	s_delay_alu instid0(VALU_DEP_1) | instskip(NEXT) | instid1(VALU_DEP_1)
	v_ashrrev_i32_e32 v32, 2, v32
	v_cvt_f32_i32_e32 v32, v32
	s_delay_alu instid0(VALU_DEP_1)
	v_fmac_f32_e32 v7, v31, v32
	s_clause 0x2
	global_load_b128 v[31:34], v[35:36], off
	global_load_b32 v39, v[35:36], off offset:32
	global_load_b128 v[35:38], v[35:36], off offset:16
	s_wait_loadcnt 0x2
	v_dot4_i32_iu8 v20, v20, v32, 0 neg_lo:[1,1,0]
	s_delay_alu instid0(VALU_DEP_1) | instskip(SKIP_2) | instid1(VALU_DEP_2)
	v_dot4_i32_iu8 v20, v21, v33, v20 neg_lo:[1,1,0]
	s_wait_loadcnt 0x0
	v_dot4_i32_iu8 v21, v24, v36, 0 neg_lo:[1,1,0]
	v_dot4_i32_iu8 v20, v22, v34, v20 neg_lo:[1,1,0]
	s_delay_alu instid0(VALU_DEP_2) | instskip(NEXT) | instid1(VALU_DEP_2)
	v_dot4_i32_iu8 v21, v25, v37, v21 neg_lo:[1,1,0]
	v_dot4_i32_iu8 v20, v23, v35, v20 neg_lo:[1,1,0]
	s_delay_alu instid0(VALU_DEP_2) | instskip(NEXT) | instid1(VALU_DEP_2)
	v_dot4_i32_iu8 v21, v27, v38, v21 neg_lo:[1,1,0]
	v_mul_lo_u32 v22, v20, v30
	s_delay_alu instid0(VALU_DEP_2) | instskip(NEXT) | instid1(VALU_DEP_1)
	v_dot4_i32_iu8 v21, v29, v39, v21 neg_lo:[1,1,0]
	v_add_nc_u32_e32 v20, v21, v20
	v_mul_lo_u32 v23, v21, v28
	s_delay_alu instid0(VALU_DEP_2) | instskip(NEXT) | instid1(VALU_DEP_1)
	v_lshrrev_b32_e32 v21, 31, v20
	v_add_nc_u32_e32 v20, v20, v21
	s_delay_alu instid0(VALU_DEP_1) | instskip(NEXT) | instid1(VALU_DEP_1)
	v_ashrrev_i32_e32 v20, 1, v20
	v_add3_u32 v20, v23, v22, v20
	s_delay_alu instid0(VALU_DEP_1) | instskip(NEXT) | instid1(VALU_DEP_1)
	v_ashrrev_i32_e32 v21, 31, v20
	v_lshrrev_b32_e32 v21, 30, v21
	s_delay_alu instid0(VALU_DEP_1) | instskip(SKIP_1) | instid1(VALU_DEP_2)
	v_add_nc_u32_e32 v20, v20, v21
	v_cvt_f32_f16_e32 v21, v31
	v_ashrrev_i32_e32 v20, 2, v20
	s_delay_alu instid0(VALU_DEP_2) | instskip(NEXT) | instid1(VALU_DEP_2)
	v_mul_f32_e32 v21, v26, v21
	v_cvt_f32_i32_e32 v20, v20
	s_delay_alu instid0(VALU_DEP_1)
	v_fmac_f32_e32 v6, v21, v20
	s_wait_alu 0xfffe
	s_and_not1_b32 exec_lo, exec_lo, s3
	s_cbranch_execnz .LBB189_2
; %bb.3:
	s_or_b32 exec_lo, exec_lo, s3
.LBB189_4:
	s_delay_alu instid0(SALU_CYCLE_1)
	s_or_b32 exec_lo, exec_lo, s21
	s_mov_b32 s3, 0
	; wave barrier
	global_inv scope:SCOPE_SE
	s_mov_b32 s2, exec_lo
	v_cmpx_eq_u32_e32 0, v11
	s_cbranch_execz .LBB189_17
; %bb.5:
	v_mbcnt_lo_u32_b32 v4, -1, 0
	s_load_b64 s[0:1], s[0:1], 0x38
	s_mul_i32 s2, s10, s19
	s_mul_i32 s4, s18, s20
	s_wait_alu 0xfffe
	s_add_co_i32 s2, s2, ttmp9
	v_xor_b32_e32 v0, 16, v4
	v_xor_b32_e32 v1, 8, v4
	;; [unrolled: 1-line block ×3, first 2 shown]
	s_wait_alu 0xfffe
	s_add_co_i32 s2, s2, s4
	s_wait_alu 0xfffe
	s_lshl_b64 s[2:3], s[2:3], 2
	v_cmp_gt_i32_e32 vcc_lo, 32, v0
	s_wait_alu 0xfffd
	v_cndmask_b32_e32 v0, v4, v0, vcc_lo
	v_cmp_gt_i32_e32 vcc_lo, 32, v1
	s_wait_kmcnt 0x0
	s_wait_alu 0xfffe
	s_add_nc_u64 s[0:1], s[0:1], s[2:3]
	s_wait_alu 0xfffd
	v_cndmask_b32_e32 v1, v4, v1, vcc_lo
	s_delay_alu instid0(VALU_DEP_1)
	v_lshlrev_b32_e32 v1, 2, v1
	v_lshlrev_b32_e32 v0, 2, v0
	ds_bpermute_b32 v2, v0, v14
	s_wait_dscnt 0x0
	v_add_f32_e32 v3, v14, v2
	v_xor_b32_e32 v2, 4, v4
	ds_bpermute_b32 v5, v1, v3
	v_cmp_gt_i32_e32 vcc_lo, 32, v2
	s_wait_dscnt 0x0
	s_wait_alu 0xfffd
	v_dual_cndmask_b32 v2, v4, v2 :: v_dual_add_f32 v5, v3, v5
	s_delay_alu instid0(VALU_DEP_1)
	v_lshlrev_b32_e32 v2, 2, v2
	v_xor_b32_e32 v3, 2, v4
	ds_bpermute_b32 v11, v2, v5
	v_cmp_gt_i32_e32 vcc_lo, 32, v3
	s_wait_alu 0xfffd
	v_cndmask_b32_e32 v3, v4, v3, vcc_lo
	v_cmp_gt_i32_e32 vcc_lo, 32, v13
	s_wait_alu 0xfffd
	v_cndmask_b32_e32 v4, v4, v13, vcc_lo
	v_cmp_eq_u32_e32 vcc_lo, 0, v8
	s_delay_alu instid0(VALU_DEP_2)
	v_lshlrev_b32_e32 v4, 2, v4
	v_lshlrev_b32_e32 v3, 2, v3
	s_wait_dscnt 0x0
	v_add_f32_e32 v5, v5, v11
	ds_bpermute_b32 v11, v3, v5
	s_wait_dscnt 0x0
	v_add_f32_e32 v5, v5, v11
	ds_bpermute_b32 v11, v4, v5
	s_and_saveexec_b32 s2, vcc_lo
	s_cbranch_execz .LBB189_7
; %bb.6:
	s_wait_dscnt 0x0
	v_dual_add_f32 v5, v5, v11 :: v_dual_mov_b32 v8, 0
	global_store_b32 v8, v5, s[0:1]
.LBB189_7:
	s_wait_alu 0xfffe
	s_or_b32 exec_lo, exec_lo, s2
	ds_bpermute_b32 v5, v0, v12
	s_wait_dscnt 0x0
	v_add_f32_e32 v5, v12, v5
	ds_bpermute_b32 v8, v1, v5
	s_wait_dscnt 0x0
	v_add_f32_e32 v5, v5, v8
	;; [unrolled: 3-line block ×4, first 2 shown]
	ds_bpermute_b32 v8, v4, v5
	s_and_saveexec_b32 s2, vcc_lo
	s_cbranch_execz .LBB189_9
; %bb.8:
	s_mov_b32 s7, 0
	s_wait_dscnt 0x0
	v_dual_add_f32 v5, v5, v8 :: v_dual_mov_b32 v8, 0
	s_wait_alu 0xfffe
	s_lshl_b64 s[4:5], s[6:7], 2
	s_wait_alu 0xfffe
	s_add_nc_u64 s[4:5], s[0:1], s[4:5]
	global_store_b32 v8, v5, s[4:5]
.LBB189_9:
	s_wait_alu 0xfffe
	s_or_b32 exec_lo, exec_lo, s2
	ds_bpermute_b32 v5, v0, v10
	s_wait_dscnt 0x0
	v_add_f32_e32 v5, v10, v5
	ds_bpermute_b32 v8, v1, v5
	s_wait_dscnt 0x0
	v_add_f32_e32 v5, v5, v8
	;; [unrolled: 3-line block ×4, first 2 shown]
	ds_bpermute_b32 v8, v4, v5
	s_and_saveexec_b32 s2, vcc_lo
	s_cbranch_execz .LBB189_11
; %bb.10:
	s_lshl_b32 s4, s6, 1
	s_mov_b32 s5, 0
	s_wait_dscnt 0x0
	v_dual_add_f32 v5, v5, v8 :: v_dual_mov_b32 v8, 0
	s_wait_alu 0xfffe
	s_lshl_b64 s[4:5], s[4:5], 2
	s_wait_alu 0xfffe
	s_add_nc_u64 s[4:5], s[0:1], s[4:5]
	global_store_b32 v8, v5, s[4:5]
.LBB189_11:
	s_wait_alu 0xfffe
	s_or_b32 exec_lo, exec_lo, s2
	ds_bpermute_b32 v5, v0, v9
	s_wait_dscnt 0x0
	v_add_f32_e32 v5, v9, v5
	ds_bpermute_b32 v8, v1, v5
	s_wait_dscnt 0x0
	v_add_f32_e32 v5, v5, v8
	;; [unrolled: 3-line block ×4, first 2 shown]
	ds_bpermute_b32 v8, v4, v5
	s_and_saveexec_b32 s2, vcc_lo
	s_cbranch_execz .LBB189_13
; %bb.12:
	s_mul_i32 s4, s6, 3
	s_mov_b32 s5, 0
	s_wait_dscnt 0x0
	v_dual_add_f32 v5, v5, v8 :: v_dual_mov_b32 v8, 0
	s_wait_alu 0xfffe
	s_lshl_b64 s[4:5], s[4:5], 2
	s_wait_alu 0xfffe
	s_add_nc_u64 s[4:5], s[0:1], s[4:5]
	global_store_b32 v8, v5, s[4:5]
.LBB189_13:
	s_wait_alu 0xfffe
	s_or_b32 exec_lo, exec_lo, s2
	ds_bpermute_b32 v5, v0, v7
	s_wait_dscnt 0x0
	v_add_f32_e32 v5, v7, v5
	ds_bpermute_b32 v7, v1, v5
	s_wait_dscnt 0x0
	v_add_f32_e32 v5, v5, v7
	ds_bpermute_b32 v7, v2, v5
	s_wait_dscnt 0x0
	v_add_f32_e32 v5, v5, v7
	ds_bpermute_b32 v7, v3, v5
	s_wait_dscnt 0x0
	v_add_f32_e32 v5, v5, v7
	ds_bpermute_b32 v7, v4, v5
	s_and_saveexec_b32 s2, vcc_lo
	s_cbranch_execz .LBB189_15
; %bb.14:
	s_lshl_b32 s4, s6, 2
	s_mov_b32 s5, 0
	s_wait_dscnt 0x0
	v_add_f32_e32 v5, v5, v7
	v_mov_b32_e32 v7, 0
	s_wait_alu 0xfffe
	s_lshl_b64 s[4:5], s[4:5], 2
	s_wait_alu 0xfffe
	s_add_nc_u64 s[4:5], s[0:1], s[4:5]
	global_store_b32 v7, v5, s[4:5]
.LBB189_15:
	s_wait_alu 0xfffe
	s_or_b32 exec_lo, exec_lo, s2
	ds_bpermute_b32 v0, v0, v6
	s_wait_dscnt 0x0
	v_add_f32_e32 v0, v6, v0
	ds_bpermute_b32 v1, v1, v0
	s_wait_dscnt 0x0
	v_add_f32_e32 v0, v0, v1
	;; [unrolled: 3-line block ×4, first 2 shown]
	ds_bpermute_b32 v1, v4, v0
	s_and_b32 exec_lo, exec_lo, vcc_lo
	s_cbranch_execz .LBB189_17
; %bb.16:
	s_mul_i32 s2, s6, 5
	s_mov_b32 s3, 0
	s_wait_dscnt 0x0
	v_dual_add_f32 v0, v0, v1 :: v_dual_mov_b32 v1, 0
	s_wait_alu 0xfffe
	s_lshl_b64 s[2:3], s[2:3], 2
	s_wait_alu 0xfffe
	s_add_nc_u64 s[0:1], s[0:1], s[2:3]
	global_store_b32 v1, v0, s[0:1]
.LBB189_17:
	s_endpgm
	.section	.rodata,"a",@progbits
	.p2align	6, 0x0
	.amdhsa_kernel _ZL13mul_mat_vec_qIL9ggml_type22ELi6ELb0ELb0EEvPKvS2_PKi31ggml_cuda_mm_fusion_args_devicePfj15HIP_vector_typeIjLj3EEjjjS8_jjjS8_jjjj
		.amdhsa_group_segment_fixed_size 0
		.amdhsa_private_segment_fixed_size 0
		.amdhsa_kernarg_size 144
		.amdhsa_user_sgpr_count 2
		.amdhsa_user_sgpr_dispatch_ptr 0
		.amdhsa_user_sgpr_queue_ptr 0
		.amdhsa_user_sgpr_kernarg_segment_ptr 1
		.amdhsa_user_sgpr_dispatch_id 0
		.amdhsa_user_sgpr_private_segment_size 0
		.amdhsa_wavefront_size32 1
		.amdhsa_uses_dynamic_stack 0
		.amdhsa_enable_private_segment 0
		.amdhsa_system_sgpr_workgroup_id_x 1
		.amdhsa_system_sgpr_workgroup_id_y 1
		.amdhsa_system_sgpr_workgroup_id_z 1
		.amdhsa_system_sgpr_workgroup_info 0
		.amdhsa_system_vgpr_workitem_id 1
		.amdhsa_next_free_vgpr 43
		.amdhsa_next_free_sgpr 28
		.amdhsa_reserve_vcc 1
		.amdhsa_float_round_mode_32 0
		.amdhsa_float_round_mode_16_64 0
		.amdhsa_float_denorm_mode_32 3
		.amdhsa_float_denorm_mode_16_64 3
		.amdhsa_fp16_overflow 0
		.amdhsa_workgroup_processor_mode 1
		.amdhsa_memory_ordered 1
		.amdhsa_forward_progress 1
		.amdhsa_inst_pref_size 45
		.amdhsa_round_robin_scheduling 0
		.amdhsa_exception_fp_ieee_invalid_op 0
		.amdhsa_exception_fp_denorm_src 0
		.amdhsa_exception_fp_ieee_div_zero 0
		.amdhsa_exception_fp_ieee_overflow 0
		.amdhsa_exception_fp_ieee_underflow 0
		.amdhsa_exception_fp_ieee_inexact 0
		.amdhsa_exception_int_div_zero 0
	.end_amdhsa_kernel
	.section	.text._ZL13mul_mat_vec_qIL9ggml_type22ELi6ELb0ELb0EEvPKvS2_PKi31ggml_cuda_mm_fusion_args_devicePfj15HIP_vector_typeIjLj3EEjjjS8_jjjS8_jjjj,"axG",@progbits,_ZL13mul_mat_vec_qIL9ggml_type22ELi6ELb0ELb0EEvPKvS2_PKi31ggml_cuda_mm_fusion_args_devicePfj15HIP_vector_typeIjLj3EEjjjS8_jjjS8_jjjj,comdat
.Lfunc_end189:
	.size	_ZL13mul_mat_vec_qIL9ggml_type22ELi6ELb0ELb0EEvPKvS2_PKi31ggml_cuda_mm_fusion_args_devicePfj15HIP_vector_typeIjLj3EEjjjS8_jjjS8_jjjj, .Lfunc_end189-_ZL13mul_mat_vec_qIL9ggml_type22ELi6ELb0ELb0EEvPKvS2_PKi31ggml_cuda_mm_fusion_args_devicePfj15HIP_vector_typeIjLj3EEjjjS8_jjjS8_jjjj
                                        ; -- End function
	.set _ZL13mul_mat_vec_qIL9ggml_type22ELi6ELb0ELb0EEvPKvS2_PKi31ggml_cuda_mm_fusion_args_devicePfj15HIP_vector_typeIjLj3EEjjjS8_jjjS8_jjjj.num_vgpr, 43
	.set _ZL13mul_mat_vec_qIL9ggml_type22ELi6ELb0ELb0EEvPKvS2_PKi31ggml_cuda_mm_fusion_args_devicePfj15HIP_vector_typeIjLj3EEjjjS8_jjjS8_jjjj.num_agpr, 0
	.set _ZL13mul_mat_vec_qIL9ggml_type22ELi6ELb0ELb0EEvPKvS2_PKi31ggml_cuda_mm_fusion_args_devicePfj15HIP_vector_typeIjLj3EEjjjS8_jjjS8_jjjj.numbered_sgpr, 28
	.set _ZL13mul_mat_vec_qIL9ggml_type22ELi6ELb0ELb0EEvPKvS2_PKi31ggml_cuda_mm_fusion_args_devicePfj15HIP_vector_typeIjLj3EEjjjS8_jjjS8_jjjj.num_named_barrier, 0
	.set _ZL13mul_mat_vec_qIL9ggml_type22ELi6ELb0ELb0EEvPKvS2_PKi31ggml_cuda_mm_fusion_args_devicePfj15HIP_vector_typeIjLj3EEjjjS8_jjjS8_jjjj.private_seg_size, 0
	.set _ZL13mul_mat_vec_qIL9ggml_type22ELi6ELb0ELb0EEvPKvS2_PKi31ggml_cuda_mm_fusion_args_devicePfj15HIP_vector_typeIjLj3EEjjjS8_jjjS8_jjjj.uses_vcc, 1
	.set _ZL13mul_mat_vec_qIL9ggml_type22ELi6ELb0ELb0EEvPKvS2_PKi31ggml_cuda_mm_fusion_args_devicePfj15HIP_vector_typeIjLj3EEjjjS8_jjjS8_jjjj.uses_flat_scratch, 0
	.set _ZL13mul_mat_vec_qIL9ggml_type22ELi6ELb0ELb0EEvPKvS2_PKi31ggml_cuda_mm_fusion_args_devicePfj15HIP_vector_typeIjLj3EEjjjS8_jjjS8_jjjj.has_dyn_sized_stack, 0
	.set _ZL13mul_mat_vec_qIL9ggml_type22ELi6ELb0ELb0EEvPKvS2_PKi31ggml_cuda_mm_fusion_args_devicePfj15HIP_vector_typeIjLj3EEjjjS8_jjjS8_jjjj.has_recursion, 0
	.set _ZL13mul_mat_vec_qIL9ggml_type22ELi6ELb0ELb0EEvPKvS2_PKi31ggml_cuda_mm_fusion_args_devicePfj15HIP_vector_typeIjLj3EEjjjS8_jjjS8_jjjj.has_indirect_call, 0
	.section	.AMDGPU.csdata,"",@progbits
; Kernel info:
; codeLenInByte = 5684
; TotalNumSgprs: 30
; NumVgprs: 43
; ScratchSize: 0
; MemoryBound: 0
; FloatMode: 240
; IeeeMode: 1
; LDSByteSize: 0 bytes/workgroup (compile time only)
; SGPRBlocks: 0
; VGPRBlocks: 5
; NumSGPRsForWavesPerEU: 30
; NumVGPRsForWavesPerEU: 43
; Occupancy: 16
; WaveLimiterHint : 0
; COMPUTE_PGM_RSRC2:SCRATCH_EN: 0
; COMPUTE_PGM_RSRC2:USER_SGPR: 2
; COMPUTE_PGM_RSRC2:TRAP_HANDLER: 0
; COMPUTE_PGM_RSRC2:TGID_X_EN: 1
; COMPUTE_PGM_RSRC2:TGID_Y_EN: 1
; COMPUTE_PGM_RSRC2:TGID_Z_EN: 1
; COMPUTE_PGM_RSRC2:TIDIG_COMP_CNT: 1
	.section	.text._ZL13mul_mat_vec_qIL9ggml_type22ELi7ELb0ELb0EEvPKvS2_PKi31ggml_cuda_mm_fusion_args_devicePfj15HIP_vector_typeIjLj3EEjjjS8_jjjS8_jjjj,"axG",@progbits,_ZL13mul_mat_vec_qIL9ggml_type22ELi7ELb0ELb0EEvPKvS2_PKi31ggml_cuda_mm_fusion_args_devicePfj15HIP_vector_typeIjLj3EEjjjS8_jjjS8_jjjj,comdat
	.globl	_ZL13mul_mat_vec_qIL9ggml_type22ELi7ELb0ELb0EEvPKvS2_PKi31ggml_cuda_mm_fusion_args_devicePfj15HIP_vector_typeIjLj3EEjjjS8_jjjS8_jjjj ; -- Begin function _ZL13mul_mat_vec_qIL9ggml_type22ELi7ELb0ELb0EEvPKvS2_PKi31ggml_cuda_mm_fusion_args_devicePfj15HIP_vector_typeIjLj3EEjjjS8_jjjS8_jjjj
	.p2align	8
	.type	_ZL13mul_mat_vec_qIL9ggml_type22ELi7ELb0ELb0EEvPKvS2_PKi31ggml_cuda_mm_fusion_args_devicePfj15HIP_vector_typeIjLj3EEjjjS8_jjjS8_jjjj,@function
_ZL13mul_mat_vec_qIL9ggml_type22ELi7ELb0ELb0EEvPKvS2_PKi31ggml_cuda_mm_fusion_args_devicePfj15HIP_vector_typeIjLj3EEjjjS8_jjjS8_jjjj: ; @_ZL13mul_mat_vec_qIL9ggml_type22ELi7ELb0ELb0EEvPKvS2_PKi31ggml_cuda_mm_fusion_args_devicePfj15HIP_vector_typeIjLj3EEjjjS8_jjjS8_jjjj
; %bb.0:
	s_clause 0x5
	s_load_b96 s[16:18], s[0:1], 0x80
	s_load_b32 s2, s[0:1], 0x40
	s_load_b128 s[4:7], s[0:1], 0x50
	s_load_b32 s23, s[0:1], 0x60
	s_load_b128 s[8:11], s[0:1], 0x68
	s_load_b32 s24, s[0:1], 0x78
	v_bfe_u32 v13, v0, 10, 10
	v_dual_mov_b32 v8, 0 :: v_dual_and_b32 v9, 0x3ff, v0
	v_dual_mov_b32 v7, 0 :: v_dual_mov_b32 v10, 0
	v_dual_mov_b32 v11, 0 :: v_dual_mov_b32 v12, 0
	s_delay_alu instid0(VALU_DEP_3)
	v_lshl_or_b32 v0, v13, 5, v9
	v_mov_b32_e32 v14, 0
	v_mov_b32_e32 v16, 0
	s_and_b32 s19, ttmp7, 0xffff
	s_lshr_b32 s20, ttmp7, 16
	v_lshrrev_b32_e32 v15, 3, v0
	s_mov_b32 s21, exec_lo
	s_wait_kmcnt 0x0
	s_lshr_b32 s22, s2, 8
	s_delay_alu instid0(VALU_DEP_1) | instid1(SALU_CYCLE_1)
	v_cmpx_gt_u32_e64 s22, v15
	s_cbranch_execz .LBB190_4
; %bb.1:
	v_lshl_add_u32 v0, v13, 5, v9
	s_mov_b32 s3, 0
	s_mul_i32 s26, s9, s19
	s_mov_b32 s27, s3
	s_load_b128 s[12:15], s[0:1], 0x0
	v_lshrrev_b32_e32 v0, 3, v0
	s_mul_u64 s[26:27], s[26:27], 36
	s_mul_i32 s2, s17, s20
	v_and_b32_e32 v17, 7, v9
	v_dual_mov_b32 v7, 0 :: v_dual_lshlrev_b32 v6, 3, v15
	v_mad_co_u64_u32 v[0:1], null, 0x120, v0, s[26:27]
	s_delay_alu instid0(VALU_DEP_3)
	v_lshlrev_b32_e32 v8, 1, v17
	s_mul_hi_u32 s7, s7, s19
	s_mul_hi_u32 s11, s11, s20
	s_add_co_i32 s7, s19, s7
	s_add_co_i32 s9, s20, s11
	v_lshlrev_b32_e32 v21, 1, v8
	s_delay_alu instid0(VALU_DEP_3)
	v_mad_co_u64_u32 v[2:3], null, s2, 36, v[0:1]
	v_mov_b32_e32 v8, 0
	s_mul_u64 s[28:29], s[2:3], 36
	s_lshr_b32 s7, s7, s23
	s_lshr_b32 s11, s9, s24
	s_mul_i32 s7, s7, s8
	s_wait_kmcnt 0x0
	s_add_nc_u64 s[8:9], s[14:15], s[28:29]
	v_mad_co_u64_u32 v[10:11], null, v17, 36, v[2:3]
	v_mad_co_u64_u32 v[2:3], null, s5, 6, v[6:7]
	;; [unrolled: 1-line block ×4, first 2 shown]
	s_delay_alu instid0(VALU_DEP_4)
	v_add_co_u32 v5, vcc_lo, s14, v10
	s_add_nc_u64 s[8:9], s[8:9], s[26:27]
	v_add_co_ci_u32_e64 v10, null, s15, v11, vcc_lo
	v_mad_co_u64_u32 v[0:1], null, v17, 36, s[8:9]
	v_add_co_u32 v5, vcc_lo, v5, 16
	s_mul_i32 s4, s4, ttmp9
	v_add_nc_u32_e32 v18, s5, v6
	v_lshl_add_u32 v19, s5, 2, v6
	v_lshl_add_u32 v20, s5, 1, v6
	s_wait_alu 0xfffd
	v_add_co_ci_u32_e64 v6, null, 0, v10, vcc_lo
	v_dual_mov_b32 v10, 0 :: v_dual_mov_b32 v11, 0
	v_mov_b32_e32 v12, 0
	v_mov_b32_e32 v14, 0
	;; [unrolled: 1-line block ×3, first 2 shown]
	s_mul_i32 s11, s11, s16
	s_wait_alu 0xfffe
	s_add_co_i32 s7, s7, s4
	s_delay_alu instid0(SALU_CYCLE_1)
	s_add_co_i32 s7, s11, s7
.LBB190_2:                              ; =>This Inner Loop Header: Depth=1
	s_delay_alu instid0(SALU_CYCLE_1)
	v_add_nc_u32_e32 v22, s7, v15
	s_getpc_b64 s[4:5]
	s_wait_alu 0xfffe
	s_sext_i32_i16 s5, s5
	s_add_co_u32 s4, s4, _ZL9iq2s_grid@rel32@lo+12
	s_wait_alu 0xfffe
	s_add_co_ci_u32 s5, s5, _ZL9iq2s_grid@rel32@hi+24
	v_add_nc_u32_e32 v15, 4, v15
	v_mad_co_i64_i32 v[33:34], null, 0x52, v22, s[12:13]
	s_delay_alu instid0(VALU_DEP_1) | instskip(SKIP_1) | instid1(VALU_DEP_2)
	v_add_co_u32 v22, vcc_lo, v33, v21
	s_wait_alu 0xfffd
	v_add_co_ci_u32_e64 v23, null, 0, v34, vcc_lo
	v_add_co_u32 v24, vcc_lo, v33, v17
	s_wait_alu 0xfffd
	v_add_co_ci_u32_e64 v25, null, 0, v34, vcc_lo
	s_clause 0x3
	global_load_b32 v26, v[22:23], off offset:2
	global_load_u8 v29, v[24:25], off offset:66
	global_load_b32 v30, v[22:23], off offset:34
	global_load_u8 v32, v[24:25], off offset:74
	s_wait_loadcnt 0x3
	v_and_b32_e32 v22, 0xff, v26
	v_lshrrev_b32_e32 v28, 24, v26
	s_wait_loadcnt 0x2
	v_lshlrev_b32_e32 v23, 8, v29
	s_wait_loadcnt 0x1
	v_lshlrev_b32_e32 v24, 21, v30
	v_lshrrev_b32_e32 v27, 16, v30
	s_delay_alu instid0(VALU_DEP_3) | instskip(SKIP_1) | instid1(VALU_DEP_2)
	v_and_or_b32 v22, 0x300, v23, v22
	v_and_b32_e32 v23, 0xff, v30
	v_lshlrev_b32_e32 v22, 3, v22
	s_delay_alu instid0(VALU_DEP_2) | instskip(NEXT) | instid1(VALU_DEP_1)
	v_lshl_or_b32 v24, v23, 7, v24
	v_and_b32_e32 v25, 0x1800180, v24
	v_bfe_u32 v24, v24, 24, 1
	s_delay_alu instid0(VALU_DEP_2) | instskip(NEXT) | instid1(VALU_DEP_2)
	v_lshrrev_b16 v31, 8, v25
	v_cmp_ne_u16_e32 vcc_lo, 0, v24
	v_lshrrev_b16 v24, 7, v25
	v_lshrrev_b32_e32 v25, 2, v30
	s_delay_alu instid0(VALU_DEP_4)
	v_cmp_ne_u16_e64 s2, 0, v31
	s_wait_alu 0xfffd
	v_cndmask_b32_e64 v36, 0, -1, vcc_lo
	v_bfe_i32 v24, v24, 0, 1
	v_bfe_i32 v25, v25, 0, 1
	s_wait_alu 0xf1ff
	v_cndmask_b32_e64 v35, 0, -1, s2
	v_lshlrev_b16 v36, 8, v36
	v_and_b32_e32 v31, 0xff, v24
	v_and_b32_e32 v37, 0xff, v25
	v_lshlrev_b16 v24, 8, v24
	v_lshlrev_b16 v35, 8, v35
	;; [unrolled: 1-line block ×3, first 2 shown]
	s_delay_alu instid0(VALU_DEP_4) | instskip(NEXT) | instid1(VALU_DEP_3)
	v_or_b32_e32 v37, v37, v36
	v_or_b32_e32 v31, v31, v35
	s_delay_alu instid0(VALU_DEP_2) | instskip(NEXT) | instid1(VALU_DEP_2)
	v_lshlrev_b32_e32 v37, 16, v37
	v_and_b32_e32 v31, 0xffff, v31
	s_delay_alu instid0(VALU_DEP_1) | instskip(SKIP_1) | instid1(VALU_DEP_1)
	v_or_b32_e32 v31, v31, v37
	v_lshlrev_b32_e32 v37, 17, v30
	v_lshl_or_b32 v23, v23, 3, v37
	s_delay_alu instid0(VALU_DEP_1) | instskip(SKIP_1) | instid1(VALU_DEP_2)
	v_and_b32_e32 v37, 0x1800180, v23
	v_bfe_u32 v23, v23, 24, 1
	v_lshrrev_b16 v38, 8, v37
	s_delay_alu instid0(VALU_DEP_2) | instskip(SKIP_2) | instid1(VALU_DEP_4)
	v_cmp_ne_u16_e32 vcc_lo, 0, v23
	v_lshrrev_b16 v23, 7, v37
	v_lshrrev_b32_e32 v37, 6, v30
	v_cmp_ne_u16_e64 s2, 0, v38
	s_wait_alu 0xfffd
	v_cndmask_b32_e64 v40, 0, -1, vcc_lo
	v_bfe_i32 v38, v23, 0, 1
	v_bfe_i32 v37, v37, 0, 1
	s_wait_alu 0xf1ff
	v_cndmask_b32_e64 v39, 0, -1, s2
	v_lshlrev_b16 v40, 8, v40
	v_and_b32_e32 v23, 0xff, v38
	v_and_b32_e32 v41, 0xff, v37
	s_delay_alu instid0(VALU_DEP_4) | instskip(NEXT) | instid1(VALU_DEP_2)
	v_lshlrev_b16 v39, 8, v39
	v_or_b32_e32 v41, v41, v40
	s_delay_alu instid0(VALU_DEP_2) | instskip(NEXT) | instid1(VALU_DEP_2)
	v_or_b32_e32 v23, v23, v39
	v_lshlrev_b32_e32 v41, 16, v41
	s_delay_alu instid0(VALU_DEP_2) | instskip(NEXT) | instid1(VALU_DEP_1)
	v_and_b32_e32 v23, 0xffff, v23
	v_or_b32_e32 v41, v23, v41
	global_load_b64 v[22:23], v22, s[4:5]
	s_wait_loadcnt 0x0
	v_xor_b32_e32 v22, v22, v31
	v_xor_b32_e32 v23, v23, v41
	v_lshrrev_b32_e32 v41, 14, v30
	s_delay_alu instid0(VALU_DEP_3) | instskip(SKIP_2) | instid1(VALU_DEP_4)
	v_lshrrev_b32_e32 v31, 16, v22
	v_and_b32_e32 v42, 0xffffff00, v22
	v_lshlrev_b16 v22, 8, v22
	v_bfe_i32 v41, v41, 0, 1
	s_delay_alu instid0(VALU_DEP_3) | instskip(NEXT) | instid1(VALU_DEP_3)
	v_sub_nc_i16 v35, v42, v35 clamp
	v_sub_nc_i16 v22, v22, v24 clamp
	v_and_b32_e32 v24, 0xffffff00, v31
	v_lshlrev_b16 v31, 8, v31
	v_and_b32_e32 v43, 0xff, v41
	s_delay_alu instid0(VALU_DEP_4) | instskip(NEXT) | instid1(VALU_DEP_4)
	v_perm_b32 v22, v22, v35, 0xc0c0105
	v_sub_nc_i16 v24, v24, v36 clamp
	s_delay_alu instid0(VALU_DEP_4) | instskip(SKIP_3) | instid1(VALU_DEP_4)
	v_sub_nc_i16 v25, v31, v25 clamp
	v_lshlrev_b16 v31, 8, v38
	v_lshrrev_b32_e32 v35, 11, v30
	v_lshrrev_b32_e32 v36, 10, v30
	v_perm_b32 v24, v25, v24, 0xc0c0105
	v_and_b32_e32 v25, 0xffffff00, v23
	s_delay_alu instid0(VALU_DEP_4) | instskip(NEXT) | instid1(VALU_DEP_4)
	v_bfe_i32 v35, v35, 0, 1
	v_bfe_i32 v36, v36, 0, 1
	s_delay_alu instid0(VALU_DEP_4)
	v_lshl_or_b32 v22, v24, 16, v22
	v_lshrrev_b32_e32 v24, 16, v23
	v_lshlrev_b16 v23, 8, v23
	v_sub_nc_i16 v25, v25, v39 clamp
	v_lshlrev_b16 v35, 8, v35
	v_and_b32_e32 v38, 0xff, v36
	v_lshlrev_b16 v36, 8, v36
	v_sub_nc_i16 v23, v23, v31 clamp
	v_lshlrev_b16 v31, 8, v37
	s_delay_alu instid0(VALU_DEP_4) | instskip(NEXT) | instid1(VALU_DEP_3)
	v_or_b32_e32 v38, v38, v35
	v_perm_b32 v23, v23, v25, 0xc0c0105
	v_and_b32_e32 v25, 0xffffff00, v24
	v_lshlrev_b16 v24, 8, v24
	s_delay_alu instid0(VALU_DEP_4) | instskip(NEXT) | instid1(VALU_DEP_3)
	v_lshlrev_b32_e32 v38, 16, v38
	v_sub_nc_i16 v25, v25, v40 clamp
	s_delay_alu instid0(VALU_DEP_3) | instskip(SKIP_1) | instid1(VALU_DEP_2)
	v_sub_nc_i16 v24, v24, v31 clamp
	v_lshrrev_b32_e32 v40, 15, v30
	v_perm_b32 v24, v24, v25, 0xc0c0105
	v_lshlrev_b32_e32 v25, 6, v29
	s_delay_alu instid0(VALU_DEP_3) | instskip(NEXT) | instid1(VALU_DEP_3)
	v_bfe_i32 v40, v40, 0, 1
	v_lshl_or_b32 v23, v24, 16, v23
	v_bfe_u32 v24, v26, 8, 8
	s_delay_alu instid0(VALU_DEP_3) | instskip(SKIP_1) | instid1(VALU_DEP_3)
	v_lshlrev_b16 v40, 8, v40
	v_bfe_u32 v26, v26, 16, 8
	v_and_or_b32 v24, 0x300, v25, v24
	v_lshrrev_b32_e32 v25, 1, v30
	s_delay_alu instid0(VALU_DEP_4) | instskip(NEXT) | instid1(VALU_DEP_3)
	v_or_b32_e32 v43, v43, v40
	v_lshlrev_b32_e32 v24, 3, v24
	s_delay_alu instid0(VALU_DEP_3) | instskip(NEXT) | instid1(VALU_DEP_3)
	v_and_b32_e32 v25, 0x180, v25
	v_lshlrev_b32_e32 v43, 16, v43
	s_delay_alu instid0(VALU_DEP_2) | instskip(SKIP_1) | instid1(VALU_DEP_2)
	v_lshrrev_b16 v31, 8, v25
	v_lshrrev_b16 v25, 7, v25
	v_cmp_ne_u16_e32 vcc_lo, 0, v31
	s_delay_alu instid0(VALU_DEP_2) | instskip(SKIP_2) | instid1(VALU_DEP_2)
	v_bfe_i32 v31, v25, 0, 1
	s_wait_alu 0xfffd
	v_cndmask_b32_e64 v37, 0, -1, vcc_lo
	v_and_b32_e32 v25, 0xff, v31
	v_lshlrev_b16 v31, 8, v31
	s_delay_alu instid0(VALU_DEP_3) | instskip(NEXT) | instid1(VALU_DEP_1)
	v_lshlrev_b16 v37, 8, v37
	v_or_b32_e32 v25, v25, v37
	s_delay_alu instid0(VALU_DEP_1) | instskip(NEXT) | instid1(VALU_DEP_1)
	v_and_b32_e32 v25, 0xffff, v25
	v_or_b32_e32 v38, v25, v38
	v_lshrrev_b32_e32 v25, 5, v30
	s_delay_alu instid0(VALU_DEP_1) | instskip(NEXT) | instid1(VALU_DEP_1)
	v_and_b32_e32 v25, 0x180, v25
	v_lshrrev_b16 v39, 8, v25
	v_lshrrev_b16 v25, 7, v25
	s_delay_alu instid0(VALU_DEP_2) | instskip(NEXT) | instid1(VALU_DEP_2)
	v_cmp_ne_u16_e32 vcc_lo, 0, v39
	v_bfe_i32 v39, v25, 0, 1
	s_wait_alu 0xfffd
	v_cndmask_b32_e64 v42, 0, -1, vcc_lo
	s_delay_alu instid0(VALU_DEP_2) | instskip(NEXT) | instid1(VALU_DEP_2)
	v_and_b32_e32 v25, 0xff, v39
	v_lshlrev_b16 v42, 8, v42
	s_delay_alu instid0(VALU_DEP_1) | instskip(NEXT) | instid1(VALU_DEP_1)
	v_or_b32_e32 v25, v25, v42
	v_and_b32_e32 v25, 0xffff, v25
	s_delay_alu instid0(VALU_DEP_1) | instskip(SKIP_4) | instid1(VALU_DEP_2)
	v_or_b32_e32 v43, v25, v43
	global_load_b64 v[24:25], v24, s[4:5]
	s_wait_loadcnt 0x0
	v_xor_b32_e32 v24, v24, v38
	v_xor_b32_e32 v25, v25, v43
	v_lshrrev_b32_e32 v38, 16, v24
	v_and_b32_e32 v44, 0xffffff00, v24
	v_lshlrev_b16 v24, 8, v24
	s_delay_alu instid0(VALU_DEP_2) | instskip(NEXT) | instid1(VALU_DEP_2)
	v_sub_nc_i16 v37, v44, v37 clamp
	v_sub_nc_i16 v24, v24, v31 clamp
	v_and_b32_e32 v31, 0xffffff00, v38
	s_delay_alu instid0(VALU_DEP_2) | instskip(NEXT) | instid1(VALU_DEP_2)
	v_perm_b32 v24, v24, v37, 0xc0c0105
	v_sub_nc_i16 v31, v31, v35 clamp
	v_lshlrev_b16 v35, 8, v38
	s_delay_alu instid0(VALU_DEP_1) | instskip(SKIP_1) | instid1(VALU_DEP_2)
	v_sub_nc_i16 v35, v35, v36 clamp
	v_lshlrev_b16 v36, 8, v39
	v_perm_b32 v31, v35, v31, 0xc0c0105
	v_and_b32_e32 v35, 0xffffff00, v25
	s_delay_alu instid0(VALU_DEP_2) | instskip(SKIP_2) | instid1(VALU_DEP_4)
	v_lshl_or_b32 v24, v31, 16, v24
	v_lshrrev_b32_e32 v31, 16, v25
	v_lshlrev_b16 v25, 8, v25
	v_sub_nc_i16 v35, v35, v42 clamp
	s_delay_alu instid0(VALU_DEP_2) | instskip(SKIP_1) | instid1(VALU_DEP_2)
	v_sub_nc_i16 v25, v25, v36 clamp
	v_lshlrev_b16 v36, 8, v41
	v_perm_b32 v25, v25, v35, 0xc0c0105
	v_and_b32_e32 v35, 0xffffff00, v31
	v_lshlrev_b16 v31, 8, v31
	s_delay_alu instid0(VALU_DEP_2) | instskip(NEXT) | instid1(VALU_DEP_2)
	v_sub_nc_i16 v35, v35, v40 clamp
	v_sub_nc_i16 v31, v31, v36 clamp
	s_delay_alu instid0(VALU_DEP_1) | instskip(NEXT) | instid1(VALU_DEP_1)
	v_perm_b32 v31, v31, v35, 0xc0c0105
	v_lshl_or_b32 v25, v31, 16, v25
	v_lshlrev_b32_e32 v31, 4, v29
	v_lshlrev_b32_e32 v29, 2, v29
	s_delay_alu instid0(VALU_DEP_2) | instskip(SKIP_1) | instid1(VALU_DEP_3)
	v_and_or_b32 v26, 0x300, v31, v26
	v_lshrrev_b32_e32 v31, 9, v30
	v_and_or_b32 v28, 0x300, v29, v28
	v_lshrrev_b32_e32 v29, 17, v30
	s_delay_alu instid0(VALU_DEP_4) | instskip(NEXT) | instid1(VALU_DEP_4)
	v_lshlrev_b32_e32 v26, 3, v26
	v_lshl_or_b32 v31, v27, 21, v31
	s_delay_alu instid0(VALU_DEP_4) | instskip(NEXT) | instid1(VALU_DEP_2)
	v_lshlrev_b32_e32 v28, 3, v28
	v_and_b32_e32 v35, 0x1800180, v31
	v_bfe_u32 v31, v31, 24, 1
	s_delay_alu instid0(VALU_DEP_2) | instskip(NEXT) | instid1(VALU_DEP_2)
	v_lshrrev_b16 v36, 8, v35
	v_cmp_ne_u16_e32 vcc_lo, 0, v31
	v_lshrrev_b16 v31, 7, v35
	v_lshrrev_b32_e32 v35, 18, v30
	s_delay_alu instid0(VALU_DEP_4)
	v_cmp_ne_u16_e64 s2, 0, v36
	s_wait_alu 0xfffd
	v_cndmask_b32_e64 v38, 0, -1, vcc_lo
	v_bfe_i32 v31, v31, 0, 1
	v_bfe_i32 v35, v35, 0, 1
	s_wait_alu 0xf1ff
	v_cndmask_b32_e64 v37, 0, -1, s2
	v_lshlrev_b16 v38, 8, v38
	v_and_b32_e32 v36, 0xff, v31
	v_and_b32_e32 v39, 0xff, v35
	v_lshlrev_b16 v31, 8, v31
	v_lshlrev_b16 v37, 8, v37
	;; [unrolled: 1-line block ×3, first 2 shown]
	s_delay_alu instid0(VALU_DEP_4) | instskip(NEXT) | instid1(VALU_DEP_3)
	v_or_b32_e32 v39, v39, v38
	v_or_b32_e32 v36, v36, v37
	s_delay_alu instid0(VALU_DEP_2) | instskip(NEXT) | instid1(VALU_DEP_2)
	v_lshlrev_b32_e32 v39, 16, v39
	v_and_b32_e32 v36, 0xffff, v36
	s_delay_alu instid0(VALU_DEP_1) | instskip(SKIP_1) | instid1(VALU_DEP_1)
	v_or_b32_e32 v36, v36, v39
	v_lshrrev_b32_e32 v39, 13, v30
	v_lshl_or_b32 v27, v27, 17, v39
	s_delay_alu instid0(VALU_DEP_1) | instskip(SKIP_1) | instid1(VALU_DEP_2)
	v_and_b32_e32 v39, 0x1800180, v27
	v_bfe_u32 v27, v27, 24, 1
	v_lshrrev_b16 v40, 8, v39
	s_delay_alu instid0(VALU_DEP_2) | instskip(SKIP_2) | instid1(VALU_DEP_4)
	v_cmp_ne_u16_e32 vcc_lo, 0, v27
	v_lshrrev_b16 v27, 7, v39
	v_lshrrev_b32_e32 v39, 22, v30
	v_cmp_ne_u16_e64 s2, 0, v40
	s_wait_alu 0xfffd
	v_cndmask_b32_e64 v42, 0, -1, vcc_lo
	v_bfe_i32 v40, v27, 0, 1
	v_bfe_i32 v39, v39, 0, 1
	s_wait_alu 0xf1ff
	v_cndmask_b32_e64 v41, 0, -1, s2
	v_lshlrev_b16 v42, 8, v42
	v_and_b32_e32 v27, 0xff, v40
	v_and_b32_e32 v43, 0xff, v39
	s_delay_alu instid0(VALU_DEP_4) | instskip(NEXT) | instid1(VALU_DEP_2)
	v_lshlrev_b16 v41, 8, v41
	v_or_b32_e32 v43, v43, v42
	s_delay_alu instid0(VALU_DEP_2) | instskip(NEXT) | instid1(VALU_DEP_2)
	v_or_b32_e32 v27, v27, v41
	v_lshlrev_b32_e32 v43, 16, v43
	s_delay_alu instid0(VALU_DEP_2) | instskip(NEXT) | instid1(VALU_DEP_1)
	v_and_b32_e32 v27, 0xffff, v27
	v_or_b32_e32 v43, v27, v43
	global_load_b64 v[26:27], v26, s[4:5]
	s_wait_loadcnt 0x0
	v_xor_b32_e32 v26, v26, v36
	v_xor_b32_e32 v27, v27, v43
	s_delay_alu instid0(VALU_DEP_2) | instskip(SKIP_2) | instid1(VALU_DEP_2)
	v_lshrrev_b32_e32 v36, 16, v26
	v_and_b32_e32 v44, 0xffffff00, v26
	v_lshlrev_b16 v26, 8, v26
	v_sub_nc_i16 v37, v44, v37 clamp
	s_delay_alu instid0(VALU_DEP_2) | instskip(SKIP_2) | instid1(VALU_DEP_3)
	v_sub_nc_i16 v26, v26, v31 clamp
	v_and_b32_e32 v31, 0xffffff00, v36
	v_lshlrev_b16 v36, 8, v36
	v_perm_b32 v26, v26, v37, 0xc0c0105
	s_delay_alu instid0(VALU_DEP_3) | instskip(NEXT) | instid1(VALU_DEP_3)
	v_sub_nc_i16 v31, v31, v38 clamp
	v_sub_nc_i16 v35, v36, v35 clamp
	v_lshlrev_b16 v36, 8, v40
	v_lshrrev_b32_e32 v40, 31, v30
	s_delay_alu instid0(VALU_DEP_3) | instskip(SKIP_1) | instid1(VALU_DEP_2)
	v_perm_b32 v31, v35, v31, 0xc0c0105
	v_and_b32_e32 v35, 0xffffff00, v27
	v_lshl_or_b32 v26, v31, 16, v26
	v_lshrrev_b32_e32 v31, 16, v27
	v_lshlrev_b16 v27, 8, v27
	s_delay_alu instid0(VALU_DEP_4) | instskip(NEXT) | instid1(VALU_DEP_2)
	v_sub_nc_i16 v35, v35, v41 clamp
	v_sub_nc_i16 v27, v27, v36 clamp
	v_lshlrev_b16 v36, 8, v39
	s_delay_alu instid0(VALU_DEP_2) | instskip(SKIP_2) | instid1(VALU_DEP_2)
	v_perm_b32 v27, v27, v35, 0xc0c0105
	v_and_b32_e32 v35, 0xffffff00, v31
	v_lshlrev_b16 v31, 8, v31
	v_sub_nc_i16 v35, v35, v42 clamp
	s_delay_alu instid0(VALU_DEP_2) | instskip(NEXT) | instid1(VALU_DEP_1)
	v_sub_nc_i16 v31, v31, v36 clamp
	v_perm_b32 v31, v31, v35, 0xc0c0105
	s_delay_alu instid0(VALU_DEP_1) | instskip(SKIP_1) | instid1(VALU_DEP_1)
	v_lshl_or_b32 v27, v31, 16, v27
	v_lshrrev_b32_e32 v31, 3, v30
	v_and_or_b32 v29, 0x1fe00000, v31, v29
	s_delay_alu instid0(VALU_DEP_1) | instskip(SKIP_1) | instid1(VALU_DEP_2)
	v_and_b32_e32 v31, 0x1800180, v29
	v_bfe_u32 v29, v29, 24, 1
	v_lshrrev_b16 v35, 8, v31
	s_delay_alu instid0(VALU_DEP_2) | instskip(SKIP_2) | instid1(VALU_DEP_4)
	v_cmp_ne_u16_e32 vcc_lo, 0, v29
	v_lshrrev_b16 v29, 7, v31
	v_lshrrev_b32_e32 v31, 26, v30
	v_cmp_ne_u16_e64 s2, 0, v35
	s_wait_alu 0xfffd
	v_cndmask_b32_e64 v37, 0, -1, vcc_lo
	v_bfe_i32 v35, v29, 0, 1
	v_bfe_i32 v31, v31, 0, 1
	v_cmp_ne_u16_e32 vcc_lo, 0, v40
	s_wait_alu 0xf1ff
	v_cndmask_b32_e64 v36, 0, -1, s2
	v_lshlrev_b16 v37, 8, v37
	v_and_b32_e32 v29, 0xff, v35
	v_and_b32_e32 v38, 0xff, v31
	s_wait_alu 0xfffd
	v_cndmask_b32_e64 v42, 0, -1, vcc_lo
	v_lshlrev_b16 v36, 8, v36
	v_lshlrev_b16 v35, 8, v35
	;; [unrolled: 1-line block ×3, first 2 shown]
	v_or_b32_e32 v38, v38, v37
	v_lshlrev_b16 v42, 8, v42
	v_or_b32_e32 v29, v29, v36
	s_delay_alu instid0(VALU_DEP_3) | instskip(NEXT) | instid1(VALU_DEP_2)
	v_lshlrev_b32_e32 v38, 16, v38
	v_and_b32_e32 v29, 0xffff, v29
	s_delay_alu instid0(VALU_DEP_1) | instskip(SKIP_2) | instid1(VALU_DEP_2)
	v_or_b32_e32 v38, v29, v38
	v_lshrrev_b32_e32 v29, 21, v30
	v_lshrrev_b32_e32 v30, 30, v30
	v_lshrrev_b16 v39, 8, v29
	v_lshrrev_b16 v29, 7, v29
	s_delay_alu instid0(VALU_DEP_3) | instskip(NEXT) | instid1(VALU_DEP_3)
	v_bfe_i32 v41, v30, 0, 1
	v_bfe_i32 v39, v39, 0, 1
	s_delay_alu instid0(VALU_DEP_3) | instskip(NEXT) | instid1(VALU_DEP_3)
	v_bfe_i32 v40, v29, 0, 1
	v_and_b32_e32 v30, 0xff, v41
	s_delay_alu instid0(VALU_DEP_3) | instskip(NEXT) | instid1(VALU_DEP_3)
	v_lshlrev_b16 v39, 8, v39
	v_and_b32_e32 v29, 0xff, v40
	s_delay_alu instid0(VALU_DEP_3) | instskip(NEXT) | instid1(VALU_DEP_2)
	v_or_b32_e32 v30, v30, v42
	v_or_b32_e32 v29, v29, v39
	s_delay_alu instid0(VALU_DEP_2) | instskip(NEXT) | instid1(VALU_DEP_2)
	v_lshlrev_b32_e32 v30, 16, v30
	v_and_b32_e32 v29, 0xffff, v29
	s_delay_alu instid0(VALU_DEP_1) | instskip(SKIP_3) | instid1(VALU_DEP_1)
	v_or_b32_e32 v43, v29, v30
	global_load_b64 v[29:30], v28, s[4:5]
	s_wait_loadcnt 0x0
	v_xor_b32_e32 v28, v29, v38
	v_lshrrev_b32_e32 v29, 16, v28
	v_and_b32_e32 v38, 0xffffff00, v28
	v_lshlrev_b16 v28, 8, v28
	s_delay_alu instid0(VALU_DEP_2) | instskip(NEXT) | instid1(VALU_DEP_2)
	v_sub_nc_i16 v36, v38, v36 clamp
	v_sub_nc_i16 v28, v28, v35 clamp
	v_and_b32_e32 v35, 0xffffff00, v29
	v_lshlrev_b16 v29, 8, v29
	s_delay_alu instid0(VALU_DEP_3) | instskip(NEXT) | instid1(VALU_DEP_3)
	v_perm_b32 v28, v28, v36, 0xc0c0105
	v_sub_nc_i16 v35, v35, v37 clamp
	s_delay_alu instid0(VALU_DEP_3) | instskip(NEXT) | instid1(VALU_DEP_1)
	v_sub_nc_i16 v29, v29, v31 clamp
	v_perm_b32 v29, v29, v35, 0xc0c0105
	v_lshlrev_b16 v35, 8, v40
	s_delay_alu instid0(VALU_DEP_2) | instskip(SKIP_1) | instid1(VALU_DEP_1)
	v_lshl_or_b32 v29, v29, 16, v28
	v_xor_b32_e32 v28, v30, v43
	v_lshrrev_b32_e32 v30, 16, v28
	v_and_b32_e32 v31, 0xffffff00, v28
	v_lshlrev_b16 v28, 8, v28
	s_delay_alu instid0(VALU_DEP_2) | instskip(NEXT) | instid1(VALU_DEP_2)
	v_sub_nc_i16 v31, v31, v39 clamp
	v_sub_nc_i16 v28, v28, v35 clamp
	v_lshlrev_b16 v35, 8, v41
	s_delay_alu instid0(VALU_DEP_2) | instskip(SKIP_2) | instid1(VALU_DEP_2)
	v_perm_b32 v28, v28, v31, 0xc0c0105
	v_and_b32_e32 v31, 0xffffff00, v30
	v_lshlrev_b16 v30, 8, v30
	v_sub_nc_i16 v31, v31, v42 clamp
	s_delay_alu instid0(VALU_DEP_2) | instskip(NEXT) | instid1(VALU_DEP_1)
	v_sub_nc_i16 v30, v30, v35 clamp
	v_perm_b32 v30, v30, v31, 0xc0c0105
	s_delay_alu instid0(VALU_DEP_1)
	v_lshl_or_b32 v31, v30, 16, v28
	global_load_u16 v28, v[33:34], off
	s_clause 0x2
	global_load_b128 v[33:36], v[5:6], off offset:-16
	global_load_b32 v41, v[5:6], off offset:16
	global_load_b128 v[37:40], v[5:6], off
	v_lshrrev_b32_e32 v30, 4, v32
	v_and_b32_e32 v32, 15, v32
	v_add_co_u32 v5, vcc_lo, 0x480, v5
	s_wait_alu 0xfffd
	v_add_co_ci_u32_e64 v6, null, 0, v6, vcc_lo
	v_cmp_le_u32_e32 vcc_lo, s22, v15
	s_or_b32 s3, vcc_lo, s3
	s_wait_loadcnt 0x2
	v_dot4_i32_iu8 v34, v22, v34, 0 neg_lo:[1,1,0]
	v_cvt_f32_f16_e32 v28, v28
	v_cvt_f32_f16_e32 v33, v33
	s_delay_alu instid0(VALU_DEP_3) | instskip(SKIP_2) | instid1(VALU_DEP_3)
	v_dot4_i32_iu8 v34, v23, v35, v34 neg_lo:[1,1,0]
	s_wait_loadcnt 0x0
	v_dot4_i32_iu8 v35, v26, v38, 0 neg_lo:[1,1,0]
	v_mul_f32_e32 v33, v28, v33
	s_delay_alu instid0(VALU_DEP_3) | instskip(NEXT) | instid1(VALU_DEP_3)
	v_dot4_i32_iu8 v34, v24, v36, v34 neg_lo:[1,1,0]
	v_dot4_i32_iu8 v35, v27, v39, v35 neg_lo:[1,1,0]
	s_delay_alu instid0(VALU_DEP_2) | instskip(NEXT) | instid1(VALU_DEP_2)
	v_dot4_i32_iu8 v34, v25, v37, v34 neg_lo:[1,1,0]
	v_dot4_i32_iu8 v35, v29, v40, v35 neg_lo:[1,1,0]
	s_delay_alu instid0(VALU_DEP_2) | instskip(NEXT) | instid1(VALU_DEP_2)
	v_mul_lo_u32 v36, v34, v32
	v_dot4_i32_iu8 v35, v31, v41, v35 neg_lo:[1,1,0]
	s_delay_alu instid0(VALU_DEP_1) | instskip(SKIP_1) | instid1(VALU_DEP_2)
	v_add_nc_u32_e32 v34, v35, v34
	v_mul_lo_u32 v37, v35, v30
	v_lshrrev_b32_e32 v35, 31, v34
	s_delay_alu instid0(VALU_DEP_1) | instskip(NEXT) | instid1(VALU_DEP_1)
	v_add_nc_u32_e32 v34, v34, v35
	v_ashrrev_i32_e32 v34, 1, v34
	s_delay_alu instid0(VALU_DEP_1) | instskip(SKIP_2) | instid1(VALU_DEP_3)
	v_add3_u32 v34, v37, v36, v34
	v_mad_co_u64_u32 v[37:38], null, v18, 36, v[0:1]
	v_add_nc_u32_e32 v18, 32, v18
	v_ashrrev_i32_e32 v35, 31, v34
	s_delay_alu instid0(VALU_DEP_1) | instskip(NEXT) | instid1(VALU_DEP_1)
	v_lshrrev_b32_e32 v35, 30, v35
	v_add_nc_u32_e32 v34, v34, v35
	s_delay_alu instid0(VALU_DEP_1) | instskip(NEXT) | instid1(VALU_DEP_1)
	v_ashrrev_i32_e32 v34, 2, v34
	v_cvt_f32_i32_e32 v34, v34
	s_delay_alu instid0(VALU_DEP_1)
	v_fmac_f32_e32 v16, v33, v34
	s_clause 0x2
	global_load_b128 v[33:36], v[37:38], off
	global_load_b32 v41, v[37:38], off offset:32
	global_load_b128 v[37:40], v[37:38], off offset:16
	s_wait_loadcnt 0x2
	v_dot4_i32_iu8 v34, v22, v34, 0 neg_lo:[1,1,0]
	v_cvt_f32_f16_e32 v33, v33
	s_delay_alu instid0(VALU_DEP_2) | instskip(SKIP_2) | instid1(VALU_DEP_3)
	v_dot4_i32_iu8 v34, v23, v35, v34 neg_lo:[1,1,0]
	s_wait_loadcnt 0x0
	v_dot4_i32_iu8 v35, v26, v38, 0 neg_lo:[1,1,0]
	v_mul_f32_e32 v33, v28, v33
	s_delay_alu instid0(VALU_DEP_3) | instskip(NEXT) | instid1(VALU_DEP_3)
	v_dot4_i32_iu8 v34, v24, v36, v34 neg_lo:[1,1,0]
	v_dot4_i32_iu8 v35, v27, v39, v35 neg_lo:[1,1,0]
	s_delay_alu instid0(VALU_DEP_2) | instskip(NEXT) | instid1(VALU_DEP_2)
	v_dot4_i32_iu8 v34, v25, v37, v34 neg_lo:[1,1,0]
	v_dot4_i32_iu8 v35, v29, v40, v35 neg_lo:[1,1,0]
	s_delay_alu instid0(VALU_DEP_2) | instskip(NEXT) | instid1(VALU_DEP_2)
	v_mul_lo_u32 v36, v34, v32
	v_dot4_i32_iu8 v35, v31, v41, v35 neg_lo:[1,1,0]
	s_delay_alu instid0(VALU_DEP_1) | instskip(SKIP_1) | instid1(VALU_DEP_2)
	v_add_nc_u32_e32 v34, v35, v34
	v_mul_lo_u32 v37, v35, v30
	v_lshrrev_b32_e32 v35, 31, v34
	s_delay_alu instid0(VALU_DEP_1) | instskip(NEXT) | instid1(VALU_DEP_1)
	v_add_nc_u32_e32 v34, v34, v35
	v_ashrrev_i32_e32 v34, 1, v34
	s_delay_alu instid0(VALU_DEP_1) | instskip(SKIP_2) | instid1(VALU_DEP_3)
	v_add3_u32 v34, v37, v36, v34
	v_mad_co_u64_u32 v[37:38], null, v20, 36, v[0:1]
	v_add_nc_u32_e32 v20, 32, v20
	v_ashrrev_i32_e32 v35, 31, v34
	s_delay_alu instid0(VALU_DEP_1) | instskip(NEXT) | instid1(VALU_DEP_1)
	v_lshrrev_b32_e32 v35, 30, v35
	v_add_nc_u32_e32 v34, v34, v35
	s_delay_alu instid0(VALU_DEP_1) | instskip(NEXT) | instid1(VALU_DEP_1)
	v_ashrrev_i32_e32 v34, 2, v34
	v_cvt_f32_i32_e32 v34, v34
	s_delay_alu instid0(VALU_DEP_1)
	v_fmac_f32_e32 v14, v33, v34
	s_clause 0x2
	global_load_b128 v[33:36], v[37:38], off
	global_load_b32 v41, v[37:38], off offset:32
	global_load_b128 v[37:40], v[37:38], off offset:16
	s_wait_loadcnt 0x2
	v_dot4_i32_iu8 v34, v22, v34, 0 neg_lo:[1,1,0]
	v_cvt_f32_f16_e32 v33, v33
	s_delay_alu instid0(VALU_DEP_2) | instskip(SKIP_2) | instid1(VALU_DEP_3)
	;; [unrolled: 41-line block ×5, first 2 shown]
	v_dot4_i32_iu8 v34, v23, v35, v34 neg_lo:[1,1,0]
	s_wait_loadcnt 0x0
	v_dot4_i32_iu8 v35, v26, v38, 0 neg_lo:[1,1,0]
	v_mul_f32_e32 v33, v28, v33
	s_delay_alu instid0(VALU_DEP_3) | instskip(NEXT) | instid1(VALU_DEP_3)
	v_dot4_i32_iu8 v34, v24, v36, v34 neg_lo:[1,1,0]
	v_dot4_i32_iu8 v35, v27, v39, v35 neg_lo:[1,1,0]
	s_delay_alu instid0(VALU_DEP_2) | instskip(NEXT) | instid1(VALU_DEP_2)
	v_dot4_i32_iu8 v34, v25, v37, v34 neg_lo:[1,1,0]
	v_dot4_i32_iu8 v35, v29, v40, v35 neg_lo:[1,1,0]
	s_delay_alu instid0(VALU_DEP_2) | instskip(NEXT) | instid1(VALU_DEP_2)
	v_mul_lo_u32 v36, v34, v32
	v_dot4_i32_iu8 v35, v31, v41, v35 neg_lo:[1,1,0]
	s_delay_alu instid0(VALU_DEP_1) | instskip(SKIP_1) | instid1(VALU_DEP_2)
	v_add_nc_u32_e32 v34, v35, v34
	v_mul_lo_u32 v37, v35, v30
	v_lshrrev_b32_e32 v35, 31, v34
	s_delay_alu instid0(VALU_DEP_1) | instskip(NEXT) | instid1(VALU_DEP_1)
	v_add_nc_u32_e32 v34, v34, v35
	v_ashrrev_i32_e32 v34, 1, v34
	s_delay_alu instid0(VALU_DEP_1) | instskip(SKIP_2) | instid1(VALU_DEP_3)
	v_add3_u32 v34, v37, v36, v34
	v_mad_co_u64_u32 v[37:38], null, v2, 36, v[0:1]
	v_add_nc_u32_e32 v2, 32, v2
	v_ashrrev_i32_e32 v35, 31, v34
	s_delay_alu instid0(VALU_DEP_1) | instskip(NEXT) | instid1(VALU_DEP_1)
	v_lshrrev_b32_e32 v35, 30, v35
	v_add_nc_u32_e32 v34, v34, v35
	s_delay_alu instid0(VALU_DEP_1) | instskip(NEXT) | instid1(VALU_DEP_1)
	v_ashrrev_i32_e32 v34, 2, v34
	v_cvt_f32_i32_e32 v34, v34
	s_delay_alu instid0(VALU_DEP_1)
	v_fmac_f32_e32 v8, v33, v34
	s_clause 0x2
	global_load_b128 v[33:36], v[37:38], off
	global_load_b32 v41, v[37:38], off offset:32
	global_load_b128 v[37:40], v[37:38], off offset:16
	s_wait_loadcnt 0x2
	v_dot4_i32_iu8 v22, v22, v34, 0 neg_lo:[1,1,0]
	s_delay_alu instid0(VALU_DEP_1) | instskip(SKIP_2) | instid1(VALU_DEP_2)
	v_dot4_i32_iu8 v22, v23, v35, v22 neg_lo:[1,1,0]
	s_wait_loadcnt 0x0
	v_dot4_i32_iu8 v23, v26, v38, 0 neg_lo:[1,1,0]
	v_dot4_i32_iu8 v22, v24, v36, v22 neg_lo:[1,1,0]
	s_delay_alu instid0(VALU_DEP_2) | instskip(NEXT) | instid1(VALU_DEP_2)
	v_dot4_i32_iu8 v23, v27, v39, v23 neg_lo:[1,1,0]
	v_dot4_i32_iu8 v22, v25, v37, v22 neg_lo:[1,1,0]
	s_delay_alu instid0(VALU_DEP_2) | instskip(NEXT) | instid1(VALU_DEP_2)
	v_dot4_i32_iu8 v23, v29, v40, v23 neg_lo:[1,1,0]
	v_mul_lo_u32 v24, v22, v32
	s_delay_alu instid0(VALU_DEP_2) | instskip(NEXT) | instid1(VALU_DEP_1)
	v_dot4_i32_iu8 v23, v31, v41, v23 neg_lo:[1,1,0]
	v_add_nc_u32_e32 v22, v23, v22
	v_mul_lo_u32 v25, v23, v30
	s_delay_alu instid0(VALU_DEP_2) | instskip(NEXT) | instid1(VALU_DEP_1)
	v_lshrrev_b32_e32 v23, 31, v22
	v_add_nc_u32_e32 v22, v22, v23
	s_delay_alu instid0(VALU_DEP_1) | instskip(NEXT) | instid1(VALU_DEP_1)
	v_ashrrev_i32_e32 v22, 1, v22
	v_add3_u32 v22, v25, v24, v22
	s_delay_alu instid0(VALU_DEP_1) | instskip(NEXT) | instid1(VALU_DEP_1)
	v_ashrrev_i32_e32 v23, 31, v22
	v_lshrrev_b32_e32 v23, 30, v23
	s_delay_alu instid0(VALU_DEP_1) | instskip(SKIP_1) | instid1(VALU_DEP_2)
	v_add_nc_u32_e32 v22, v22, v23
	v_cvt_f32_f16_e32 v23, v33
	v_ashrrev_i32_e32 v22, 2, v22
	s_delay_alu instid0(VALU_DEP_2) | instskip(NEXT) | instid1(VALU_DEP_2)
	v_mul_f32_e32 v23, v28, v23
	v_cvt_f32_i32_e32 v22, v22
	s_delay_alu instid0(VALU_DEP_1)
	v_fmac_f32_e32 v7, v23, v22
	s_wait_alu 0xfffe
	s_and_not1_b32 exec_lo, exec_lo, s3
	s_cbranch_execnz .LBB190_2
; %bb.3:
	s_or_b32 exec_lo, exec_lo, s3
.LBB190_4:
	s_delay_alu instid0(SALU_CYCLE_1)
	s_or_b32 exec_lo, exec_lo, s21
	s_mov_b32 s3, 0
	; wave barrier
	global_inv scope:SCOPE_SE
	s_mov_b32 s2, exec_lo
	v_cmpx_eq_u32_e32 0, v13
	s_cbranch_execz .LBB190_19
; %bb.5:
	v_mbcnt_lo_u32_b32 v4, -1, 0
	s_load_b64 s[0:1], s[0:1], 0x38
	s_mul_i32 s2, s10, s19
	s_mul_i32 s4, s18, s20
	s_wait_alu 0xfffe
	s_add_co_i32 s2, s2, ttmp9
	v_xor_b32_e32 v0, 16, v4
	v_xor_b32_e32 v1, 8, v4
	;; [unrolled: 1-line block ×3, first 2 shown]
	s_wait_alu 0xfffe
	s_add_co_i32 s2, s2, s4
	s_wait_alu 0xfffe
	s_lshl_b64 s[2:3], s[2:3], 2
	v_cmp_gt_i32_e32 vcc_lo, 32, v0
	s_wait_alu 0xfffd
	v_cndmask_b32_e32 v0, v4, v0, vcc_lo
	v_cmp_gt_i32_e32 vcc_lo, 32, v1
	s_wait_kmcnt 0x0
	s_wait_alu 0xfffe
	s_add_nc_u64 s[0:1], s[0:1], s[2:3]
	s_wait_alu 0xfffd
	v_cndmask_b32_e32 v1, v4, v1, vcc_lo
	s_delay_alu instid0(VALU_DEP_1)
	v_lshlrev_b32_e32 v1, 2, v1
	v_lshlrev_b32_e32 v0, 2, v0
	ds_bpermute_b32 v2, v0, v16
	s_wait_dscnt 0x0
	v_add_f32_e32 v3, v16, v2
	v_xor_b32_e32 v2, 4, v4
	ds_bpermute_b32 v5, v1, v3
	v_cmp_gt_i32_e32 vcc_lo, 32, v2
	s_wait_dscnt 0x0
	s_wait_alu 0xfffd
	v_dual_cndmask_b32 v2, v4, v2 :: v_dual_add_f32 v5, v3, v5
	s_delay_alu instid0(VALU_DEP_1)
	v_lshlrev_b32_e32 v2, 2, v2
	v_xor_b32_e32 v3, 2, v4
	ds_bpermute_b32 v6, v2, v5
	v_cmp_gt_i32_e32 vcc_lo, 32, v3
	s_wait_alu 0xfffd
	v_cndmask_b32_e32 v3, v4, v3, vcc_lo
	v_cmp_gt_i32_e32 vcc_lo, 32, v13
	s_wait_alu 0xfffd
	v_cndmask_b32_e32 v4, v4, v13, vcc_lo
	v_cmp_eq_u32_e32 vcc_lo, 0, v9
	s_delay_alu instid0(VALU_DEP_2)
	v_lshlrev_b32_e32 v4, 2, v4
	v_lshlrev_b32_e32 v3, 2, v3
	s_wait_dscnt 0x0
	v_add_f32_e32 v5, v5, v6
	ds_bpermute_b32 v6, v3, v5
	s_wait_dscnt 0x0
	v_add_f32_e32 v5, v5, v6
	ds_bpermute_b32 v6, v4, v5
	s_and_saveexec_b32 s2, vcc_lo
	s_cbranch_execz .LBB190_7
; %bb.6:
	s_wait_dscnt 0x0
	v_dual_add_f32 v5, v5, v6 :: v_dual_mov_b32 v6, 0
	global_store_b32 v6, v5, s[0:1]
.LBB190_7:
	s_wait_alu 0xfffe
	s_or_b32 exec_lo, exec_lo, s2
	ds_bpermute_b32 v5, v0, v14
	s_wait_dscnt 0x0
	v_add_f32_e32 v5, v14, v5
	ds_bpermute_b32 v6, v1, v5
	s_wait_dscnt 0x0
	v_add_f32_e32 v5, v5, v6
	;; [unrolled: 3-line block ×4, first 2 shown]
	ds_bpermute_b32 v6, v4, v5
	s_and_saveexec_b32 s2, vcc_lo
	s_cbranch_execz .LBB190_9
; %bb.8:
	s_mov_b32 s7, 0
	s_wait_dscnt 0x0
	v_dual_add_f32 v5, v5, v6 :: v_dual_mov_b32 v6, 0
	s_wait_alu 0xfffe
	s_lshl_b64 s[4:5], s[6:7], 2
	s_wait_alu 0xfffe
	s_add_nc_u64 s[4:5], s[0:1], s[4:5]
	global_store_b32 v6, v5, s[4:5]
.LBB190_9:
	s_wait_alu 0xfffe
	s_or_b32 exec_lo, exec_lo, s2
	ds_bpermute_b32 v5, v0, v12
	s_wait_dscnt 0x0
	v_add_f32_e32 v5, v12, v5
	ds_bpermute_b32 v6, v1, v5
	s_wait_dscnt 0x0
	v_add_f32_e32 v5, v5, v6
	;; [unrolled: 3-line block ×4, first 2 shown]
	ds_bpermute_b32 v6, v4, v5
	s_and_saveexec_b32 s2, vcc_lo
	s_cbranch_execz .LBB190_11
; %bb.10:
	s_lshl_b32 s4, s6, 1
	s_mov_b32 s5, 0
	s_wait_dscnt 0x0
	v_dual_add_f32 v5, v5, v6 :: v_dual_mov_b32 v6, 0
	s_wait_alu 0xfffe
	s_lshl_b64 s[4:5], s[4:5], 2
	s_wait_alu 0xfffe
	s_add_nc_u64 s[4:5], s[0:1], s[4:5]
	global_store_b32 v6, v5, s[4:5]
.LBB190_11:
	s_wait_alu 0xfffe
	s_or_b32 exec_lo, exec_lo, s2
	ds_bpermute_b32 v5, v0, v11
	s_wait_dscnt 0x0
	v_add_f32_e32 v5, v11, v5
	ds_bpermute_b32 v6, v1, v5
	s_wait_dscnt 0x0
	v_add_f32_e32 v5, v5, v6
	;; [unrolled: 3-line block ×4, first 2 shown]
	ds_bpermute_b32 v6, v4, v5
	s_and_saveexec_b32 s2, vcc_lo
	s_cbranch_execz .LBB190_13
; %bb.12:
	s_mul_i32 s4, s6, 3
	s_mov_b32 s5, 0
	s_wait_dscnt 0x0
	v_dual_add_f32 v5, v5, v6 :: v_dual_mov_b32 v6, 0
	s_wait_alu 0xfffe
	s_lshl_b64 s[4:5], s[4:5], 2
	s_wait_alu 0xfffe
	s_add_nc_u64 s[4:5], s[0:1], s[4:5]
	global_store_b32 v6, v5, s[4:5]
.LBB190_13:
	s_wait_alu 0xfffe
	s_or_b32 exec_lo, exec_lo, s2
	ds_bpermute_b32 v5, v0, v10
	s_wait_dscnt 0x0
	v_add_f32_e32 v5, v10, v5
	ds_bpermute_b32 v6, v1, v5
	s_wait_dscnt 0x0
	v_add_f32_e32 v5, v5, v6
	;; [unrolled: 3-line block ×4, first 2 shown]
	ds_bpermute_b32 v6, v4, v5
	s_and_saveexec_b32 s2, vcc_lo
	s_cbranch_execz .LBB190_15
; %bb.14:
	s_lshl_b32 s4, s6, 2
	s_mov_b32 s5, 0
	s_wait_dscnt 0x0
	v_dual_add_f32 v5, v5, v6 :: v_dual_mov_b32 v6, 0
	s_wait_alu 0xfffe
	s_lshl_b64 s[4:5], s[4:5], 2
	s_wait_alu 0xfffe
	s_add_nc_u64 s[4:5], s[0:1], s[4:5]
	global_store_b32 v6, v5, s[4:5]
.LBB190_15:
	s_wait_alu 0xfffe
	s_or_b32 exec_lo, exec_lo, s2
	ds_bpermute_b32 v5, v0, v8
	s_wait_dscnt 0x0
	v_add_f32_e32 v5, v8, v5
	ds_bpermute_b32 v6, v1, v5
	s_wait_dscnt 0x0
	v_add_f32_e32 v5, v5, v6
	;; [unrolled: 3-line block ×4, first 2 shown]
	ds_bpermute_b32 v6, v4, v5
	s_and_saveexec_b32 s2, vcc_lo
	s_cbranch_execz .LBB190_17
; %bb.16:
	s_mul_i32 s4, s6, 5
	s_mov_b32 s5, 0
	s_wait_dscnt 0x0
	v_dual_add_f32 v5, v5, v6 :: v_dual_mov_b32 v6, 0
	s_wait_alu 0xfffe
	s_lshl_b64 s[4:5], s[4:5], 2
	s_wait_alu 0xfffe
	s_add_nc_u64 s[4:5], s[0:1], s[4:5]
	global_store_b32 v6, v5, s[4:5]
.LBB190_17:
	s_wait_alu 0xfffe
	s_or_b32 exec_lo, exec_lo, s2
	ds_bpermute_b32 v0, v0, v7
	s_wait_dscnt 0x0
	v_add_f32_e32 v0, v7, v0
	ds_bpermute_b32 v1, v1, v0
	s_wait_dscnt 0x0
	v_add_f32_e32 v0, v0, v1
	;; [unrolled: 3-line block ×4, first 2 shown]
	ds_bpermute_b32 v1, v4, v0
	s_and_b32 exec_lo, exec_lo, vcc_lo
	s_cbranch_execz .LBB190_19
; %bb.18:
	s_mul_i32 s2, s6, 6
	s_mov_b32 s3, 0
	s_wait_dscnt 0x0
	v_dual_add_f32 v0, v0, v1 :: v_dual_mov_b32 v1, 0
	s_wait_alu 0xfffe
	s_lshl_b64 s[2:3], s[2:3], 2
	s_wait_alu 0xfffe
	s_add_nc_u64 s[0:1], s[0:1], s[2:3]
	global_store_b32 v1, v0, s[0:1]
.LBB190_19:
	s_endpgm
	.section	.rodata,"a",@progbits
	.p2align	6, 0x0
	.amdhsa_kernel _ZL13mul_mat_vec_qIL9ggml_type22ELi7ELb0ELb0EEvPKvS2_PKi31ggml_cuda_mm_fusion_args_devicePfj15HIP_vector_typeIjLj3EEjjjS8_jjjS8_jjjj
		.amdhsa_group_segment_fixed_size 0
		.amdhsa_private_segment_fixed_size 0
		.amdhsa_kernarg_size 144
		.amdhsa_user_sgpr_count 2
		.amdhsa_user_sgpr_dispatch_ptr 0
		.amdhsa_user_sgpr_queue_ptr 0
		.amdhsa_user_sgpr_kernarg_segment_ptr 1
		.amdhsa_user_sgpr_dispatch_id 0
		.amdhsa_user_sgpr_private_segment_size 0
		.amdhsa_wavefront_size32 1
		.amdhsa_uses_dynamic_stack 0
		.amdhsa_enable_private_segment 0
		.amdhsa_system_sgpr_workgroup_id_x 1
		.amdhsa_system_sgpr_workgroup_id_y 1
		.amdhsa_system_sgpr_workgroup_id_z 1
		.amdhsa_system_sgpr_workgroup_info 0
		.amdhsa_system_vgpr_workitem_id 1
		.amdhsa_next_free_vgpr 45
		.amdhsa_next_free_sgpr 30
		.amdhsa_reserve_vcc 1
		.amdhsa_float_round_mode_32 0
		.amdhsa_float_round_mode_16_64 0
		.amdhsa_float_denorm_mode_32 3
		.amdhsa_float_denorm_mode_16_64 3
		.amdhsa_fp16_overflow 0
		.amdhsa_workgroup_processor_mode 1
		.amdhsa_memory_ordered 1
		.amdhsa_forward_progress 1
		.amdhsa_inst_pref_size 48
		.amdhsa_round_robin_scheduling 0
		.amdhsa_exception_fp_ieee_invalid_op 0
		.amdhsa_exception_fp_denorm_src 0
		.amdhsa_exception_fp_ieee_div_zero 0
		.amdhsa_exception_fp_ieee_overflow 0
		.amdhsa_exception_fp_ieee_underflow 0
		.amdhsa_exception_fp_ieee_inexact 0
		.amdhsa_exception_int_div_zero 0
	.end_amdhsa_kernel
	.section	.text._ZL13mul_mat_vec_qIL9ggml_type22ELi7ELb0ELb0EEvPKvS2_PKi31ggml_cuda_mm_fusion_args_devicePfj15HIP_vector_typeIjLj3EEjjjS8_jjjS8_jjjj,"axG",@progbits,_ZL13mul_mat_vec_qIL9ggml_type22ELi7ELb0ELb0EEvPKvS2_PKi31ggml_cuda_mm_fusion_args_devicePfj15HIP_vector_typeIjLj3EEjjjS8_jjjS8_jjjj,comdat
.Lfunc_end190:
	.size	_ZL13mul_mat_vec_qIL9ggml_type22ELi7ELb0ELb0EEvPKvS2_PKi31ggml_cuda_mm_fusion_args_devicePfj15HIP_vector_typeIjLj3EEjjjS8_jjjS8_jjjj, .Lfunc_end190-_ZL13mul_mat_vec_qIL9ggml_type22ELi7ELb0ELb0EEvPKvS2_PKi31ggml_cuda_mm_fusion_args_devicePfj15HIP_vector_typeIjLj3EEjjjS8_jjjS8_jjjj
                                        ; -- End function
	.set _ZL13mul_mat_vec_qIL9ggml_type22ELi7ELb0ELb0EEvPKvS2_PKi31ggml_cuda_mm_fusion_args_devicePfj15HIP_vector_typeIjLj3EEjjjS8_jjjS8_jjjj.num_vgpr, 45
	.set _ZL13mul_mat_vec_qIL9ggml_type22ELi7ELb0ELb0EEvPKvS2_PKi31ggml_cuda_mm_fusion_args_devicePfj15HIP_vector_typeIjLj3EEjjjS8_jjjS8_jjjj.num_agpr, 0
	.set _ZL13mul_mat_vec_qIL9ggml_type22ELi7ELb0ELb0EEvPKvS2_PKi31ggml_cuda_mm_fusion_args_devicePfj15HIP_vector_typeIjLj3EEjjjS8_jjjS8_jjjj.numbered_sgpr, 30
	.set _ZL13mul_mat_vec_qIL9ggml_type22ELi7ELb0ELb0EEvPKvS2_PKi31ggml_cuda_mm_fusion_args_devicePfj15HIP_vector_typeIjLj3EEjjjS8_jjjS8_jjjj.num_named_barrier, 0
	.set _ZL13mul_mat_vec_qIL9ggml_type22ELi7ELb0ELb0EEvPKvS2_PKi31ggml_cuda_mm_fusion_args_devicePfj15HIP_vector_typeIjLj3EEjjjS8_jjjS8_jjjj.private_seg_size, 0
	.set _ZL13mul_mat_vec_qIL9ggml_type22ELi7ELb0ELb0EEvPKvS2_PKi31ggml_cuda_mm_fusion_args_devicePfj15HIP_vector_typeIjLj3EEjjjS8_jjjS8_jjjj.uses_vcc, 1
	.set _ZL13mul_mat_vec_qIL9ggml_type22ELi7ELb0ELb0EEvPKvS2_PKi31ggml_cuda_mm_fusion_args_devicePfj15HIP_vector_typeIjLj3EEjjjS8_jjjS8_jjjj.uses_flat_scratch, 0
	.set _ZL13mul_mat_vec_qIL9ggml_type22ELi7ELb0ELb0EEvPKvS2_PKi31ggml_cuda_mm_fusion_args_devicePfj15HIP_vector_typeIjLj3EEjjjS8_jjjS8_jjjj.has_dyn_sized_stack, 0
	.set _ZL13mul_mat_vec_qIL9ggml_type22ELi7ELb0ELb0EEvPKvS2_PKi31ggml_cuda_mm_fusion_args_devicePfj15HIP_vector_typeIjLj3EEjjjS8_jjjS8_jjjj.has_recursion, 0
	.set _ZL13mul_mat_vec_qIL9ggml_type22ELi7ELb0ELb0EEvPKvS2_PKi31ggml_cuda_mm_fusion_args_devicePfj15HIP_vector_typeIjLj3EEjjjS8_jjjS8_jjjj.has_indirect_call, 0
	.section	.AMDGPU.csdata,"",@progbits
; Kernel info:
; codeLenInByte = 6080
; TotalNumSgprs: 32
; NumVgprs: 45
; ScratchSize: 0
; MemoryBound: 0
; FloatMode: 240
; IeeeMode: 1
; LDSByteSize: 0 bytes/workgroup (compile time only)
; SGPRBlocks: 0
; VGPRBlocks: 5
; NumSGPRsForWavesPerEU: 32
; NumVGPRsForWavesPerEU: 45
; Occupancy: 16
; WaveLimiterHint : 0
; COMPUTE_PGM_RSRC2:SCRATCH_EN: 0
; COMPUTE_PGM_RSRC2:USER_SGPR: 2
; COMPUTE_PGM_RSRC2:TRAP_HANDLER: 0
; COMPUTE_PGM_RSRC2:TGID_X_EN: 1
; COMPUTE_PGM_RSRC2:TGID_Y_EN: 1
; COMPUTE_PGM_RSRC2:TGID_Z_EN: 1
; COMPUTE_PGM_RSRC2:TIDIG_COMP_CNT: 1
	.section	.text._ZL13mul_mat_vec_qIL9ggml_type22ELi8ELb0ELb0EEvPKvS2_PKi31ggml_cuda_mm_fusion_args_devicePfj15HIP_vector_typeIjLj3EEjjjS8_jjjS8_jjjj,"axG",@progbits,_ZL13mul_mat_vec_qIL9ggml_type22ELi8ELb0ELb0EEvPKvS2_PKi31ggml_cuda_mm_fusion_args_devicePfj15HIP_vector_typeIjLj3EEjjjS8_jjjS8_jjjj,comdat
	.globl	_ZL13mul_mat_vec_qIL9ggml_type22ELi8ELb0ELb0EEvPKvS2_PKi31ggml_cuda_mm_fusion_args_devicePfj15HIP_vector_typeIjLj3EEjjjS8_jjjS8_jjjj ; -- Begin function _ZL13mul_mat_vec_qIL9ggml_type22ELi8ELb0ELb0EEvPKvS2_PKi31ggml_cuda_mm_fusion_args_devicePfj15HIP_vector_typeIjLj3EEjjjS8_jjjS8_jjjj
	.p2align	8
	.type	_ZL13mul_mat_vec_qIL9ggml_type22ELi8ELb0ELb0EEvPKvS2_PKi31ggml_cuda_mm_fusion_args_devicePfj15HIP_vector_typeIjLj3EEjjjS8_jjjS8_jjjj,@function
_ZL13mul_mat_vec_qIL9ggml_type22ELi8ELb0ELb0EEvPKvS2_PKi31ggml_cuda_mm_fusion_args_devicePfj15HIP_vector_typeIjLj3EEjjjS8_jjjS8_jjjj: ; @_ZL13mul_mat_vec_qIL9ggml_type22ELi8ELb0ELb0EEvPKvS2_PKi31ggml_cuda_mm_fusion_args_devicePfj15HIP_vector_typeIjLj3EEjjjS8_jjjS8_jjjj
; %bb.0:
	s_clause 0x5
	s_load_b96 s[16:18], s[0:1], 0x80
	s_load_b32 s3, s[0:1], 0x40
	s_load_b128 s[4:7], s[0:1], 0x50
	s_load_b32 s2, s[0:1], 0x60
	s_load_b128 s[8:11], s[0:1], 0x68
	s_load_b32 s23, s[0:1], 0x78
	v_bfe_u32 v11, v0, 10, 10
	v_dual_mov_b32 v5, 0 :: v_dual_and_b32 v8, 0x3ff, v0
	v_dual_mov_b32 v4, 0 :: v_dual_mov_b32 v7, 0
	v_dual_mov_b32 v6, 0 :: v_dual_mov_b32 v9, 0
	s_delay_alu instid0(VALU_DEP_3)
	v_lshl_or_b32 v0, v11, 5, v8
	v_mov_b32_e32 v10, 0
	v_mov_b32_e32 v12, 0
	;; [unrolled: 1-line block ×3, first 2 shown]
	s_and_b32 s19, ttmp7, 0xffff
	v_lshrrev_b32_e32 v13, 3, v0
	s_lshr_b32 s20, ttmp7, 16
	s_mov_b32 s21, exec_lo
	s_wait_kmcnt 0x0
	s_lshr_b32 s22, s3, 8
	s_delay_alu instid0(SALU_CYCLE_1)
	v_cmpx_gt_u32_e64 s22, v13
	s_cbranch_execz .LBB191_4
; %bb.1:
	v_lshl_add_u32 v0, v11, 5, v8
	s_mov_b32 s3, 0
	s_mul_i32 s24, s9, s19
	s_mov_b32 s25, s3
	s_mul_hi_u32 s7, s7, s19
	v_lshrrev_b32_e32 v0, 3, v0
	s_mul_u64 s[24:25], s[24:25], 36
	s_add_co_i32 s7, s19, s7
	s_load_b128 s[12:15], s[0:1], 0x0
	s_lshr_b32 s2, s7, s2
	v_mad_co_u64_u32 v[0:1], null, 0x120, v0, s[24:25]
	s_mul_hi_u32 s7, s11, s20
	s_mul_i32 s11, s2, s8
	s_mul_i32 s2, s17, s20
	v_dual_mov_b32 v4, 0 :: v_dual_and_b32 v15, 7, v8
	s_mul_u64 s[8:9], s[2:3], 36
	v_mad_co_u64_u32 v[0:1], null, s2, 36, v[0:1]
	s_delay_alu instid0(VALU_DEP_2) | instskip(SKIP_4) | instid1(VALU_DEP_3)
	v_dual_mov_b32 v6, 0 :: v_dual_lshlrev_b32 v5, 1, v15
	s_add_co_i32 s7, s20, s7
	s_mul_i32 s4, s4, ttmp9
	s_lshr_b32 s7, s7, s23
	v_lshlrev_b32_e32 v16, 3, v13
	v_mad_co_u64_u32 v[2:3], null, v15, 36, v[0:1]
	s_wait_kmcnt 0x0
	s_add_nc_u64 s[8:9], s[14:15], s[8:9]
	v_dual_mov_b32 v10, 0 :: v_dual_lshlrev_b32 v17, 1, v5
	s_add_nc_u64 s[8:9], s[8:9], s[24:25]
	v_mov_b32_e32 v5, 0
	v_mad_co_u64_u32 v[0:1], null, v15, 36, s[8:9]
	s_delay_alu instid0(VALU_DEP_4) | instskip(NEXT) | instid1(VALU_DEP_1)
	v_add_co_u32 v2, vcc_lo, s14, v2
	v_add_co_ci_u32_e64 v3, null, s15, v3, vcc_lo
	v_dual_mov_b32 v7, 0 :: v_dual_mov_b32 v12, 0
	s_delay_alu instid0(VALU_DEP_3) | instskip(SKIP_1) | instid1(VALU_DEP_3)
	v_add_co_u32 v2, vcc_lo, v2, 16
	s_wait_alu 0xfffd
	v_add_co_ci_u32_e64 v3, null, 0, v3, vcc_lo
	v_dual_mov_b32 v9, 0 :: v_dual_mov_b32 v14, 0
	s_mul_i32 s7, s7, s16
	s_add_co_i32 s11, s11, s4
	s_mul_i32 s14, s5, 5
	s_add_co_i32 s4, s7, s11
	s_mul_i32 s7, s5, 7
	s_mul_i32 s11, s5, 6
	s_lshl_b32 s15, s5, 2
	s_mul_i32 s16, s5, 3
	s_lshl_b32 s17, s5, 1
.LBB191_2:                              ; =>This Inner Loop Header: Depth=1
	v_add_nc_u32_e32 v18, s4, v13
	s_getpc_b64 s[8:9]
	s_wait_alu 0xfffe
	s_sext_i32_i16 s9, s9
	s_add_co_u32 s8, s8, _ZL9iq2s_grid@rel32@lo+12
	s_wait_alu 0xfffe
	s_add_co_ci_u32 s9, s9, _ZL9iq2s_grid@rel32@hi+24
	v_add_nc_u32_e32 v13, 4, v13
	v_mad_co_i64_i32 v[29:30], null, 0x52, v18, s[12:13]
	s_delay_alu instid0(VALU_DEP_1) | instskip(SKIP_1) | instid1(VALU_DEP_2)
	v_add_co_u32 v18, vcc_lo, v29, v17
	s_wait_alu 0xfffd
	v_add_co_ci_u32_e64 v19, null, 0, v30, vcc_lo
	v_add_co_u32 v20, vcc_lo, v29, v15
	s_wait_alu 0xfffd
	v_add_co_ci_u32_e64 v21, null, 0, v30, vcc_lo
	s_clause 0x3
	global_load_b32 v22, v[18:19], off offset:2
	global_load_u8 v25, v[20:21], off offset:66
	global_load_b32 v26, v[18:19], off offset:34
	global_load_u8 v28, v[20:21], off offset:74
	s_wait_loadcnt 0x3
	v_and_b32_e32 v18, 0xff, v22
	v_lshrrev_b32_e32 v24, 24, v22
	s_wait_loadcnt 0x2
	v_lshlrev_b32_e32 v19, 8, v25
	s_wait_loadcnt 0x1
	v_lshlrev_b32_e32 v20, 21, v26
	v_lshrrev_b32_e32 v23, 16, v26
	s_delay_alu instid0(VALU_DEP_3) | instskip(SKIP_1) | instid1(VALU_DEP_2)
	v_and_or_b32 v18, 0x300, v19, v18
	v_and_b32_e32 v19, 0xff, v26
	v_lshlrev_b32_e32 v18, 3, v18
	s_delay_alu instid0(VALU_DEP_2) | instskip(NEXT) | instid1(VALU_DEP_1)
	v_lshl_or_b32 v20, v19, 7, v20
	v_and_b32_e32 v21, 0x1800180, v20
	v_bfe_u32 v20, v20, 24, 1
	s_delay_alu instid0(VALU_DEP_2) | instskip(NEXT) | instid1(VALU_DEP_2)
	v_lshrrev_b16 v27, 8, v21
	v_cmp_ne_u16_e32 vcc_lo, 0, v20
	v_lshrrev_b16 v20, 7, v21
	v_lshrrev_b32_e32 v21, 2, v26
	s_delay_alu instid0(VALU_DEP_4)
	v_cmp_ne_u16_e64 s2, 0, v27
	s_wait_alu 0xfffd
	v_cndmask_b32_e64 v32, 0, -1, vcc_lo
	v_bfe_i32 v20, v20, 0, 1
	v_bfe_i32 v21, v21, 0, 1
	s_wait_alu 0xf1ff
	v_cndmask_b32_e64 v31, 0, -1, s2
	v_lshlrev_b16 v32, 8, v32
	v_and_b32_e32 v27, 0xff, v20
	v_and_b32_e32 v33, 0xff, v21
	v_lshlrev_b16 v20, 8, v20
	v_lshlrev_b16 v31, 8, v31
	;; [unrolled: 1-line block ×3, first 2 shown]
	s_delay_alu instid0(VALU_DEP_4) | instskip(NEXT) | instid1(VALU_DEP_3)
	v_or_b32_e32 v33, v33, v32
	v_or_b32_e32 v27, v27, v31
	s_delay_alu instid0(VALU_DEP_2) | instskip(NEXT) | instid1(VALU_DEP_2)
	v_lshlrev_b32_e32 v33, 16, v33
	v_and_b32_e32 v27, 0xffff, v27
	s_delay_alu instid0(VALU_DEP_1) | instskip(SKIP_1) | instid1(VALU_DEP_1)
	v_or_b32_e32 v27, v27, v33
	v_lshlrev_b32_e32 v33, 17, v26
	v_lshl_or_b32 v19, v19, 3, v33
	s_delay_alu instid0(VALU_DEP_1) | instskip(SKIP_1) | instid1(VALU_DEP_2)
	v_and_b32_e32 v33, 0x1800180, v19
	v_bfe_u32 v19, v19, 24, 1
	v_lshrrev_b16 v34, 8, v33
	s_delay_alu instid0(VALU_DEP_2) | instskip(SKIP_2) | instid1(VALU_DEP_4)
	v_cmp_ne_u16_e32 vcc_lo, 0, v19
	v_lshrrev_b16 v19, 7, v33
	v_lshrrev_b32_e32 v33, 6, v26
	v_cmp_ne_u16_e64 s2, 0, v34
	s_wait_alu 0xfffd
	v_cndmask_b32_e64 v36, 0, -1, vcc_lo
	v_bfe_i32 v34, v19, 0, 1
	v_bfe_i32 v33, v33, 0, 1
	s_wait_alu 0xf1ff
	v_cndmask_b32_e64 v35, 0, -1, s2
	v_lshlrev_b16 v36, 8, v36
	v_and_b32_e32 v19, 0xff, v34
	v_and_b32_e32 v37, 0xff, v33
	s_delay_alu instid0(VALU_DEP_4) | instskip(NEXT) | instid1(VALU_DEP_2)
	v_lshlrev_b16 v35, 8, v35
	v_or_b32_e32 v37, v37, v36
	s_delay_alu instid0(VALU_DEP_2) | instskip(NEXT) | instid1(VALU_DEP_2)
	v_or_b32_e32 v19, v19, v35
	v_lshlrev_b32_e32 v37, 16, v37
	s_delay_alu instid0(VALU_DEP_2) | instskip(NEXT) | instid1(VALU_DEP_1)
	v_and_b32_e32 v19, 0xffff, v19
	v_or_b32_e32 v37, v19, v37
	global_load_b64 v[18:19], v18, s[8:9]
	s_wait_loadcnt 0x0
	v_xor_b32_e32 v18, v18, v27
	v_xor_b32_e32 v19, v19, v37
	v_lshrrev_b32_e32 v37, 14, v26
	s_delay_alu instid0(VALU_DEP_3) | instskip(SKIP_2) | instid1(VALU_DEP_4)
	v_lshrrev_b32_e32 v27, 16, v18
	v_and_b32_e32 v38, 0xffffff00, v18
	v_lshlrev_b16 v18, 8, v18
	v_bfe_i32 v37, v37, 0, 1
	s_delay_alu instid0(VALU_DEP_3) | instskip(NEXT) | instid1(VALU_DEP_3)
	v_sub_nc_i16 v31, v38, v31 clamp
	v_sub_nc_i16 v18, v18, v20 clamp
	v_and_b32_e32 v20, 0xffffff00, v27
	v_lshlrev_b16 v27, 8, v27
	v_and_b32_e32 v39, 0xff, v37
	s_delay_alu instid0(VALU_DEP_4) | instskip(NEXT) | instid1(VALU_DEP_4)
	v_perm_b32 v18, v18, v31, 0xc0c0105
	v_sub_nc_i16 v20, v20, v32 clamp
	s_delay_alu instid0(VALU_DEP_4) | instskip(SKIP_3) | instid1(VALU_DEP_4)
	v_sub_nc_i16 v21, v27, v21 clamp
	v_lshlrev_b16 v27, 8, v34
	v_lshrrev_b32_e32 v31, 11, v26
	v_lshrrev_b32_e32 v32, 10, v26
	v_perm_b32 v20, v21, v20, 0xc0c0105
	v_and_b32_e32 v21, 0xffffff00, v19
	s_delay_alu instid0(VALU_DEP_4) | instskip(NEXT) | instid1(VALU_DEP_4)
	v_bfe_i32 v31, v31, 0, 1
	v_bfe_i32 v32, v32, 0, 1
	s_delay_alu instid0(VALU_DEP_4)
	v_lshl_or_b32 v18, v20, 16, v18
	v_lshrrev_b32_e32 v20, 16, v19
	v_lshlrev_b16 v19, 8, v19
	v_sub_nc_i16 v21, v21, v35 clamp
	v_lshlrev_b16 v31, 8, v31
	v_and_b32_e32 v34, 0xff, v32
	v_lshlrev_b16 v32, 8, v32
	v_sub_nc_i16 v19, v19, v27 clamp
	v_lshlrev_b16 v27, 8, v33
	s_delay_alu instid0(VALU_DEP_4) | instskip(NEXT) | instid1(VALU_DEP_3)
	v_or_b32_e32 v34, v34, v31
	v_perm_b32 v19, v19, v21, 0xc0c0105
	v_and_b32_e32 v21, 0xffffff00, v20
	v_lshlrev_b16 v20, 8, v20
	s_delay_alu instid0(VALU_DEP_4) | instskip(NEXT) | instid1(VALU_DEP_3)
	v_lshlrev_b32_e32 v34, 16, v34
	v_sub_nc_i16 v21, v21, v36 clamp
	s_delay_alu instid0(VALU_DEP_3) | instskip(SKIP_1) | instid1(VALU_DEP_2)
	v_sub_nc_i16 v20, v20, v27 clamp
	v_lshrrev_b32_e32 v36, 15, v26
	v_perm_b32 v20, v20, v21, 0xc0c0105
	v_lshlrev_b32_e32 v21, 6, v25
	s_delay_alu instid0(VALU_DEP_3) | instskip(NEXT) | instid1(VALU_DEP_3)
	v_bfe_i32 v36, v36, 0, 1
	v_lshl_or_b32 v19, v20, 16, v19
	v_bfe_u32 v20, v22, 8, 8
	s_delay_alu instid0(VALU_DEP_3) | instskip(SKIP_1) | instid1(VALU_DEP_3)
	v_lshlrev_b16 v36, 8, v36
	v_bfe_u32 v22, v22, 16, 8
	v_and_or_b32 v20, 0x300, v21, v20
	v_lshrrev_b32_e32 v21, 1, v26
	s_delay_alu instid0(VALU_DEP_4) | instskip(NEXT) | instid1(VALU_DEP_3)
	v_or_b32_e32 v39, v39, v36
	v_lshlrev_b32_e32 v20, 3, v20
	s_delay_alu instid0(VALU_DEP_3) | instskip(NEXT) | instid1(VALU_DEP_3)
	v_and_b32_e32 v21, 0x180, v21
	v_lshlrev_b32_e32 v39, 16, v39
	s_delay_alu instid0(VALU_DEP_2) | instskip(SKIP_1) | instid1(VALU_DEP_2)
	v_lshrrev_b16 v27, 8, v21
	v_lshrrev_b16 v21, 7, v21
	v_cmp_ne_u16_e32 vcc_lo, 0, v27
	s_delay_alu instid0(VALU_DEP_2) | instskip(SKIP_2) | instid1(VALU_DEP_2)
	v_bfe_i32 v27, v21, 0, 1
	s_wait_alu 0xfffd
	v_cndmask_b32_e64 v33, 0, -1, vcc_lo
	v_and_b32_e32 v21, 0xff, v27
	v_lshlrev_b16 v27, 8, v27
	s_delay_alu instid0(VALU_DEP_3) | instskip(NEXT) | instid1(VALU_DEP_1)
	v_lshlrev_b16 v33, 8, v33
	v_or_b32_e32 v21, v21, v33
	s_delay_alu instid0(VALU_DEP_1) | instskip(NEXT) | instid1(VALU_DEP_1)
	v_and_b32_e32 v21, 0xffff, v21
	v_or_b32_e32 v34, v21, v34
	v_lshrrev_b32_e32 v21, 5, v26
	s_delay_alu instid0(VALU_DEP_1) | instskip(NEXT) | instid1(VALU_DEP_1)
	v_and_b32_e32 v21, 0x180, v21
	v_lshrrev_b16 v35, 8, v21
	v_lshrrev_b16 v21, 7, v21
	s_delay_alu instid0(VALU_DEP_2) | instskip(NEXT) | instid1(VALU_DEP_2)
	v_cmp_ne_u16_e32 vcc_lo, 0, v35
	v_bfe_i32 v35, v21, 0, 1
	s_wait_alu 0xfffd
	v_cndmask_b32_e64 v38, 0, -1, vcc_lo
	s_delay_alu instid0(VALU_DEP_2) | instskip(NEXT) | instid1(VALU_DEP_2)
	v_and_b32_e32 v21, 0xff, v35
	v_lshlrev_b16 v38, 8, v38
	s_delay_alu instid0(VALU_DEP_1) | instskip(NEXT) | instid1(VALU_DEP_1)
	v_or_b32_e32 v21, v21, v38
	v_and_b32_e32 v21, 0xffff, v21
	s_delay_alu instid0(VALU_DEP_1) | instskip(SKIP_4) | instid1(VALU_DEP_2)
	v_or_b32_e32 v39, v21, v39
	global_load_b64 v[20:21], v20, s[8:9]
	s_wait_loadcnt 0x0
	v_xor_b32_e32 v20, v20, v34
	v_xor_b32_e32 v21, v21, v39
	v_lshrrev_b32_e32 v34, 16, v20
	v_and_b32_e32 v40, 0xffffff00, v20
	v_lshlrev_b16 v20, 8, v20
	s_delay_alu instid0(VALU_DEP_2) | instskip(NEXT) | instid1(VALU_DEP_2)
	v_sub_nc_i16 v33, v40, v33 clamp
	v_sub_nc_i16 v20, v20, v27 clamp
	v_and_b32_e32 v27, 0xffffff00, v34
	s_delay_alu instid0(VALU_DEP_2) | instskip(NEXT) | instid1(VALU_DEP_2)
	v_perm_b32 v20, v20, v33, 0xc0c0105
	v_sub_nc_i16 v27, v27, v31 clamp
	v_lshlrev_b16 v31, 8, v34
	s_delay_alu instid0(VALU_DEP_1) | instskip(SKIP_1) | instid1(VALU_DEP_2)
	v_sub_nc_i16 v31, v31, v32 clamp
	v_lshlrev_b16 v32, 8, v35
	v_perm_b32 v27, v31, v27, 0xc0c0105
	v_and_b32_e32 v31, 0xffffff00, v21
	s_delay_alu instid0(VALU_DEP_2) | instskip(SKIP_2) | instid1(VALU_DEP_4)
	v_lshl_or_b32 v20, v27, 16, v20
	v_lshrrev_b32_e32 v27, 16, v21
	v_lshlrev_b16 v21, 8, v21
	v_sub_nc_i16 v31, v31, v38 clamp
	s_delay_alu instid0(VALU_DEP_2) | instskip(SKIP_1) | instid1(VALU_DEP_2)
	v_sub_nc_i16 v21, v21, v32 clamp
	v_lshlrev_b16 v32, 8, v37
	v_perm_b32 v21, v21, v31, 0xc0c0105
	v_and_b32_e32 v31, 0xffffff00, v27
	v_lshlrev_b16 v27, 8, v27
	s_delay_alu instid0(VALU_DEP_2) | instskip(NEXT) | instid1(VALU_DEP_2)
	v_sub_nc_i16 v31, v31, v36 clamp
	v_sub_nc_i16 v27, v27, v32 clamp
	s_delay_alu instid0(VALU_DEP_1) | instskip(NEXT) | instid1(VALU_DEP_1)
	v_perm_b32 v27, v27, v31, 0xc0c0105
	v_lshl_or_b32 v21, v27, 16, v21
	v_lshlrev_b32_e32 v27, 4, v25
	v_lshlrev_b32_e32 v25, 2, v25
	s_delay_alu instid0(VALU_DEP_2) | instskip(SKIP_1) | instid1(VALU_DEP_3)
	v_and_or_b32 v22, 0x300, v27, v22
	v_lshrrev_b32_e32 v27, 9, v26
	v_and_or_b32 v24, 0x300, v25, v24
	v_lshrrev_b32_e32 v25, 17, v26
	s_delay_alu instid0(VALU_DEP_4) | instskip(NEXT) | instid1(VALU_DEP_4)
	v_lshlrev_b32_e32 v22, 3, v22
	v_lshl_or_b32 v27, v23, 21, v27
	s_delay_alu instid0(VALU_DEP_4) | instskip(NEXT) | instid1(VALU_DEP_2)
	v_lshlrev_b32_e32 v24, 3, v24
	v_and_b32_e32 v31, 0x1800180, v27
	v_bfe_u32 v27, v27, 24, 1
	s_delay_alu instid0(VALU_DEP_2) | instskip(NEXT) | instid1(VALU_DEP_2)
	v_lshrrev_b16 v32, 8, v31
	v_cmp_ne_u16_e32 vcc_lo, 0, v27
	v_lshrrev_b16 v27, 7, v31
	v_lshrrev_b32_e32 v31, 18, v26
	s_delay_alu instid0(VALU_DEP_4)
	v_cmp_ne_u16_e64 s2, 0, v32
	s_wait_alu 0xfffd
	v_cndmask_b32_e64 v34, 0, -1, vcc_lo
	v_bfe_i32 v27, v27, 0, 1
	v_bfe_i32 v31, v31, 0, 1
	s_wait_alu 0xf1ff
	v_cndmask_b32_e64 v33, 0, -1, s2
	v_lshlrev_b16 v34, 8, v34
	v_and_b32_e32 v32, 0xff, v27
	v_and_b32_e32 v35, 0xff, v31
	v_lshlrev_b16 v27, 8, v27
	v_lshlrev_b16 v33, 8, v33
	;; [unrolled: 1-line block ×3, first 2 shown]
	s_delay_alu instid0(VALU_DEP_4) | instskip(NEXT) | instid1(VALU_DEP_3)
	v_or_b32_e32 v35, v35, v34
	v_or_b32_e32 v32, v32, v33
	s_delay_alu instid0(VALU_DEP_2) | instskip(NEXT) | instid1(VALU_DEP_2)
	v_lshlrev_b32_e32 v35, 16, v35
	v_and_b32_e32 v32, 0xffff, v32
	s_delay_alu instid0(VALU_DEP_1) | instskip(SKIP_1) | instid1(VALU_DEP_1)
	v_or_b32_e32 v32, v32, v35
	v_lshrrev_b32_e32 v35, 13, v26
	v_lshl_or_b32 v23, v23, 17, v35
	s_delay_alu instid0(VALU_DEP_1) | instskip(SKIP_1) | instid1(VALU_DEP_2)
	v_and_b32_e32 v35, 0x1800180, v23
	v_bfe_u32 v23, v23, 24, 1
	v_lshrrev_b16 v36, 8, v35
	s_delay_alu instid0(VALU_DEP_2) | instskip(SKIP_2) | instid1(VALU_DEP_4)
	v_cmp_ne_u16_e32 vcc_lo, 0, v23
	v_lshrrev_b16 v23, 7, v35
	v_lshrrev_b32_e32 v35, 22, v26
	v_cmp_ne_u16_e64 s2, 0, v36
	s_wait_alu 0xfffd
	v_cndmask_b32_e64 v38, 0, -1, vcc_lo
	v_bfe_i32 v36, v23, 0, 1
	v_bfe_i32 v35, v35, 0, 1
	s_wait_alu 0xf1ff
	v_cndmask_b32_e64 v37, 0, -1, s2
	v_lshlrev_b16 v38, 8, v38
	v_and_b32_e32 v23, 0xff, v36
	v_and_b32_e32 v39, 0xff, v35
	s_delay_alu instid0(VALU_DEP_4) | instskip(NEXT) | instid1(VALU_DEP_2)
	v_lshlrev_b16 v37, 8, v37
	v_or_b32_e32 v39, v39, v38
	s_delay_alu instid0(VALU_DEP_2) | instskip(NEXT) | instid1(VALU_DEP_2)
	v_or_b32_e32 v23, v23, v37
	v_lshlrev_b32_e32 v39, 16, v39
	s_delay_alu instid0(VALU_DEP_2) | instskip(NEXT) | instid1(VALU_DEP_1)
	v_and_b32_e32 v23, 0xffff, v23
	v_or_b32_e32 v39, v23, v39
	global_load_b64 v[22:23], v22, s[8:9]
	s_wait_loadcnt 0x0
	v_xor_b32_e32 v22, v22, v32
	v_xor_b32_e32 v23, v23, v39
	s_delay_alu instid0(VALU_DEP_2) | instskip(SKIP_2) | instid1(VALU_DEP_2)
	v_lshrrev_b32_e32 v32, 16, v22
	v_and_b32_e32 v40, 0xffffff00, v22
	v_lshlrev_b16 v22, 8, v22
	v_sub_nc_i16 v33, v40, v33 clamp
	s_delay_alu instid0(VALU_DEP_2) | instskip(SKIP_2) | instid1(VALU_DEP_3)
	v_sub_nc_i16 v22, v22, v27 clamp
	v_and_b32_e32 v27, 0xffffff00, v32
	v_lshlrev_b16 v32, 8, v32
	v_perm_b32 v22, v22, v33, 0xc0c0105
	s_delay_alu instid0(VALU_DEP_3) | instskip(NEXT) | instid1(VALU_DEP_3)
	v_sub_nc_i16 v27, v27, v34 clamp
	v_sub_nc_i16 v31, v32, v31 clamp
	v_lshlrev_b16 v32, 8, v36
	v_lshrrev_b32_e32 v36, 31, v26
	s_delay_alu instid0(VALU_DEP_3) | instskip(SKIP_1) | instid1(VALU_DEP_2)
	v_perm_b32 v27, v31, v27, 0xc0c0105
	v_and_b32_e32 v31, 0xffffff00, v23
	v_lshl_or_b32 v22, v27, 16, v22
	v_lshrrev_b32_e32 v27, 16, v23
	v_lshlrev_b16 v23, 8, v23
	s_delay_alu instid0(VALU_DEP_4) | instskip(NEXT) | instid1(VALU_DEP_2)
	v_sub_nc_i16 v31, v31, v37 clamp
	v_sub_nc_i16 v23, v23, v32 clamp
	v_lshlrev_b16 v32, 8, v35
	s_delay_alu instid0(VALU_DEP_2) | instskip(SKIP_2) | instid1(VALU_DEP_2)
	v_perm_b32 v23, v23, v31, 0xc0c0105
	v_and_b32_e32 v31, 0xffffff00, v27
	v_lshlrev_b16 v27, 8, v27
	v_sub_nc_i16 v31, v31, v38 clamp
	s_delay_alu instid0(VALU_DEP_2) | instskip(NEXT) | instid1(VALU_DEP_1)
	v_sub_nc_i16 v27, v27, v32 clamp
	v_perm_b32 v27, v27, v31, 0xc0c0105
	s_delay_alu instid0(VALU_DEP_1) | instskip(SKIP_1) | instid1(VALU_DEP_1)
	v_lshl_or_b32 v23, v27, 16, v23
	v_lshrrev_b32_e32 v27, 3, v26
	v_and_or_b32 v25, 0x1fe00000, v27, v25
	s_delay_alu instid0(VALU_DEP_1) | instskip(SKIP_1) | instid1(VALU_DEP_2)
	v_and_b32_e32 v27, 0x1800180, v25
	v_bfe_u32 v25, v25, 24, 1
	v_lshrrev_b16 v31, 8, v27
	s_delay_alu instid0(VALU_DEP_2) | instskip(SKIP_2) | instid1(VALU_DEP_4)
	v_cmp_ne_u16_e32 vcc_lo, 0, v25
	v_lshrrev_b16 v25, 7, v27
	v_lshrrev_b32_e32 v27, 26, v26
	v_cmp_ne_u16_e64 s2, 0, v31
	s_wait_alu 0xfffd
	v_cndmask_b32_e64 v33, 0, -1, vcc_lo
	v_bfe_i32 v31, v25, 0, 1
	v_bfe_i32 v27, v27, 0, 1
	v_cmp_ne_u16_e32 vcc_lo, 0, v36
	s_wait_alu 0xf1ff
	v_cndmask_b32_e64 v32, 0, -1, s2
	v_lshlrev_b16 v33, 8, v33
	v_and_b32_e32 v25, 0xff, v31
	v_and_b32_e32 v34, 0xff, v27
	s_wait_alu 0xfffd
	v_cndmask_b32_e64 v38, 0, -1, vcc_lo
	v_lshlrev_b16 v32, 8, v32
	v_lshlrev_b16 v31, 8, v31
	;; [unrolled: 1-line block ×3, first 2 shown]
	v_or_b32_e32 v34, v34, v33
	v_lshlrev_b16 v38, 8, v38
	v_or_b32_e32 v25, v25, v32
	s_delay_alu instid0(VALU_DEP_3) | instskip(NEXT) | instid1(VALU_DEP_2)
	v_lshlrev_b32_e32 v34, 16, v34
	v_and_b32_e32 v25, 0xffff, v25
	s_delay_alu instid0(VALU_DEP_1) | instskip(SKIP_2) | instid1(VALU_DEP_2)
	v_or_b32_e32 v34, v25, v34
	v_lshrrev_b32_e32 v25, 21, v26
	v_lshrrev_b32_e32 v26, 30, v26
	v_lshrrev_b16 v35, 8, v25
	v_lshrrev_b16 v25, 7, v25
	s_delay_alu instid0(VALU_DEP_3) | instskip(NEXT) | instid1(VALU_DEP_3)
	v_bfe_i32 v37, v26, 0, 1
	v_bfe_i32 v35, v35, 0, 1
	s_delay_alu instid0(VALU_DEP_3) | instskip(NEXT) | instid1(VALU_DEP_3)
	v_bfe_i32 v36, v25, 0, 1
	v_and_b32_e32 v26, 0xff, v37
	s_delay_alu instid0(VALU_DEP_3) | instskip(NEXT) | instid1(VALU_DEP_3)
	v_lshlrev_b16 v35, 8, v35
	v_and_b32_e32 v25, 0xff, v36
	s_delay_alu instid0(VALU_DEP_3) | instskip(NEXT) | instid1(VALU_DEP_2)
	v_or_b32_e32 v26, v26, v38
	v_or_b32_e32 v25, v25, v35
	s_delay_alu instid0(VALU_DEP_2) | instskip(NEXT) | instid1(VALU_DEP_2)
	v_lshlrev_b32_e32 v26, 16, v26
	v_and_b32_e32 v25, 0xffff, v25
	s_delay_alu instid0(VALU_DEP_1) | instskip(SKIP_3) | instid1(VALU_DEP_1)
	v_or_b32_e32 v39, v25, v26
	global_load_b64 v[25:26], v24, s[8:9]
	s_wait_loadcnt 0x0
	v_xor_b32_e32 v24, v25, v34
	v_lshrrev_b32_e32 v25, 16, v24
	v_and_b32_e32 v34, 0xffffff00, v24
	v_lshlrev_b16 v24, 8, v24
	s_delay_alu instid0(VALU_DEP_2) | instskip(NEXT) | instid1(VALU_DEP_2)
	v_sub_nc_i16 v32, v34, v32 clamp
	v_sub_nc_i16 v24, v24, v31 clamp
	v_and_b32_e32 v31, 0xffffff00, v25
	v_lshlrev_b16 v25, 8, v25
	s_delay_alu instid0(VALU_DEP_3) | instskip(NEXT) | instid1(VALU_DEP_3)
	v_perm_b32 v24, v24, v32, 0xc0c0105
	v_sub_nc_i16 v31, v31, v33 clamp
	s_delay_alu instid0(VALU_DEP_3) | instskip(NEXT) | instid1(VALU_DEP_1)
	v_sub_nc_i16 v25, v25, v27 clamp
	v_perm_b32 v25, v25, v31, 0xc0c0105
	v_lshlrev_b16 v31, 8, v36
	s_delay_alu instid0(VALU_DEP_2) | instskip(SKIP_1) | instid1(VALU_DEP_1)
	v_lshl_or_b32 v25, v25, 16, v24
	v_xor_b32_e32 v24, v26, v39
	v_lshrrev_b32_e32 v26, 16, v24
	v_and_b32_e32 v27, 0xffffff00, v24
	v_lshlrev_b16 v24, 8, v24
	s_delay_alu instid0(VALU_DEP_2) | instskip(NEXT) | instid1(VALU_DEP_2)
	v_sub_nc_i16 v27, v27, v35 clamp
	v_sub_nc_i16 v24, v24, v31 clamp
	v_lshlrev_b16 v31, 8, v37
	s_delay_alu instid0(VALU_DEP_2) | instskip(SKIP_2) | instid1(VALU_DEP_2)
	v_perm_b32 v24, v24, v27, 0xc0c0105
	v_and_b32_e32 v27, 0xffffff00, v26
	v_lshlrev_b16 v26, 8, v26
	v_sub_nc_i16 v27, v27, v38 clamp
	s_delay_alu instid0(VALU_DEP_2) | instskip(NEXT) | instid1(VALU_DEP_1)
	v_sub_nc_i16 v26, v26, v31 clamp
	v_perm_b32 v26, v26, v27, 0xc0c0105
	s_delay_alu instid0(VALU_DEP_1)
	v_lshl_or_b32 v27, v26, 16, v24
	global_load_u16 v24, v[29:30], off
	s_clause 0x2
	global_load_b128 v[29:32], v[2:3], off offset:-16
	global_load_b32 v37, v[2:3], off offset:16
	global_load_b128 v[33:36], v[2:3], off
	v_lshrrev_b32_e32 v26, 4, v28
	v_and_b32_e32 v28, 15, v28
	v_add_co_u32 v2, vcc_lo, 0x480, v2
	s_wait_alu 0xfffd
	v_add_co_ci_u32_e64 v3, null, 0, v3, vcc_lo
	v_cmp_le_u32_e32 vcc_lo, s22, v13
	s_or_b32 s3, vcc_lo, s3
	s_wait_loadcnt 0x2
	v_dot4_i32_iu8 v30, v18, v30, 0 neg_lo:[1,1,0]
	v_cvt_f32_f16_e32 v24, v24
	v_cvt_f32_f16_e32 v29, v29
	s_delay_alu instid0(VALU_DEP_3) | instskip(SKIP_2) | instid1(VALU_DEP_3)
	v_dot4_i32_iu8 v30, v19, v31, v30 neg_lo:[1,1,0]
	s_wait_loadcnt 0x0
	v_dot4_i32_iu8 v31, v22, v34, 0 neg_lo:[1,1,0]
	v_mul_f32_e32 v29, v24, v29
	s_delay_alu instid0(VALU_DEP_3) | instskip(NEXT) | instid1(VALU_DEP_3)
	v_dot4_i32_iu8 v30, v20, v32, v30 neg_lo:[1,1,0]
	v_dot4_i32_iu8 v31, v23, v35, v31 neg_lo:[1,1,0]
	s_delay_alu instid0(VALU_DEP_2) | instskip(NEXT) | instid1(VALU_DEP_2)
	v_dot4_i32_iu8 v30, v21, v33, v30 neg_lo:[1,1,0]
	v_dot4_i32_iu8 v31, v25, v36, v31 neg_lo:[1,1,0]
	s_delay_alu instid0(VALU_DEP_2) | instskip(NEXT) | instid1(VALU_DEP_2)
	v_mul_lo_u32 v32, v30, v28
	v_dot4_i32_iu8 v31, v27, v37, v31 neg_lo:[1,1,0]
	s_delay_alu instid0(VALU_DEP_1) | instskip(SKIP_1) | instid1(VALU_DEP_2)
	v_add_nc_u32_e32 v30, v31, v30
	v_mul_lo_u32 v33, v31, v26
	v_lshrrev_b32_e32 v31, 31, v30
	s_delay_alu instid0(VALU_DEP_1) | instskip(NEXT) | instid1(VALU_DEP_1)
	v_add_nc_u32_e32 v30, v30, v31
	v_ashrrev_i32_e32 v30, 1, v30
	s_delay_alu instid0(VALU_DEP_1) | instskip(NEXT) | instid1(VALU_DEP_1)
	v_add3_u32 v30, v33, v32, v30
	v_ashrrev_i32_e32 v31, 31, v30
	s_delay_alu instid0(VALU_DEP_1) | instskip(NEXT) | instid1(VALU_DEP_1)
	v_lshrrev_b32_e32 v31, 30, v31
	v_add_nc_u32_e32 v30, v30, v31
	s_delay_alu instid0(VALU_DEP_1) | instskip(NEXT) | instid1(VALU_DEP_1)
	v_ashrrev_i32_e32 v30, 2, v30
	v_cvt_f32_i32_e32 v30, v30
	s_delay_alu instid0(VALU_DEP_1) | instskip(NEXT) | instid1(VALU_DEP_1)
	v_dual_fmac_f32 v14, v29, v30 :: v_dual_add_nc_u32 v29, s5, v16
	v_mad_co_u64_u32 v[33:34], null, v29, 36, v[0:1]
	s_clause 0x2
	global_load_b128 v[29:32], v[33:34], off
	global_load_b32 v37, v[33:34], off offset:32
	global_load_b128 v[33:36], v[33:34], off offset:16
	s_wait_loadcnt 0x2
	v_dot4_i32_iu8 v30, v18, v30, 0 neg_lo:[1,1,0]
	v_cvt_f32_f16_e32 v29, v29
	s_delay_alu instid0(VALU_DEP_2) | instskip(SKIP_2) | instid1(VALU_DEP_3)
	v_dot4_i32_iu8 v30, v19, v31, v30 neg_lo:[1,1,0]
	s_wait_loadcnt 0x0
	v_dot4_i32_iu8 v31, v22, v34, 0 neg_lo:[1,1,0]
	v_mul_f32_e32 v29, v24, v29
	s_delay_alu instid0(VALU_DEP_3) | instskip(NEXT) | instid1(VALU_DEP_3)
	v_dot4_i32_iu8 v30, v20, v32, v30 neg_lo:[1,1,0]
	v_dot4_i32_iu8 v31, v23, v35, v31 neg_lo:[1,1,0]
	s_delay_alu instid0(VALU_DEP_2) | instskip(NEXT) | instid1(VALU_DEP_2)
	v_dot4_i32_iu8 v30, v21, v33, v30 neg_lo:[1,1,0]
	v_dot4_i32_iu8 v31, v25, v36, v31 neg_lo:[1,1,0]
	s_delay_alu instid0(VALU_DEP_2) | instskip(NEXT) | instid1(VALU_DEP_2)
	v_mul_lo_u32 v32, v30, v28
	v_dot4_i32_iu8 v31, v27, v37, v31 neg_lo:[1,1,0]
	s_delay_alu instid0(VALU_DEP_1) | instskip(SKIP_1) | instid1(VALU_DEP_2)
	v_add_nc_u32_e32 v30, v31, v30
	v_mul_lo_u32 v33, v31, v26
	v_lshrrev_b32_e32 v31, 31, v30
	s_delay_alu instid0(VALU_DEP_1) | instskip(NEXT) | instid1(VALU_DEP_1)
	v_add_nc_u32_e32 v30, v30, v31
	v_ashrrev_i32_e32 v30, 1, v30
	s_delay_alu instid0(VALU_DEP_1) | instskip(NEXT) | instid1(VALU_DEP_1)
	v_add3_u32 v30, v33, v32, v30
	v_ashrrev_i32_e32 v31, 31, v30
	s_delay_alu instid0(VALU_DEP_1) | instskip(NEXT) | instid1(VALU_DEP_1)
	v_lshrrev_b32_e32 v31, 30, v31
	v_add_nc_u32_e32 v30, v30, v31
	s_delay_alu instid0(VALU_DEP_1) | instskip(NEXT) | instid1(VALU_DEP_1)
	v_ashrrev_i32_e32 v30, 2, v30
	v_cvt_f32_i32_e32 v30, v30
	s_delay_alu instid0(VALU_DEP_1) | instskip(NEXT) | instid1(VALU_DEP_1)
	v_dual_fmac_f32 v12, v29, v30 :: v_dual_add_nc_u32 v29, s17, v16
	v_mad_co_u64_u32 v[33:34], null, v29, 36, v[0:1]
	s_clause 0x2
	global_load_b128 v[29:32], v[33:34], off
	global_load_b32 v37, v[33:34], off offset:32
	global_load_b128 v[33:36], v[33:34], off offset:16
	s_wait_loadcnt 0x2
	v_dot4_i32_iu8 v30, v18, v30, 0 neg_lo:[1,1,0]
	v_cvt_f32_f16_e32 v29, v29
	s_delay_alu instid0(VALU_DEP_2) | instskip(SKIP_2) | instid1(VALU_DEP_3)
	;; [unrolled: 40-line block ×3, first 2 shown]
	v_dot4_i32_iu8 v30, v19, v31, v30 neg_lo:[1,1,0]
	s_wait_loadcnt 0x0
	v_dot4_i32_iu8 v31, v22, v34, 0 neg_lo:[1,1,0]
	v_mul_f32_e32 v29, v24, v29
	s_delay_alu instid0(VALU_DEP_3) | instskip(NEXT) | instid1(VALU_DEP_3)
	v_dot4_i32_iu8 v30, v20, v32, v30 neg_lo:[1,1,0]
	v_dot4_i32_iu8 v31, v23, v35, v31 neg_lo:[1,1,0]
	s_delay_alu instid0(VALU_DEP_2) | instskip(NEXT) | instid1(VALU_DEP_2)
	v_dot4_i32_iu8 v30, v21, v33, v30 neg_lo:[1,1,0]
	v_dot4_i32_iu8 v31, v25, v36, v31 neg_lo:[1,1,0]
	s_delay_alu instid0(VALU_DEP_2) | instskip(NEXT) | instid1(VALU_DEP_2)
	v_mul_lo_u32 v32, v30, v28
	v_dot4_i32_iu8 v31, v27, v37, v31 neg_lo:[1,1,0]
	s_delay_alu instid0(VALU_DEP_1) | instskip(SKIP_1) | instid1(VALU_DEP_2)
	v_add_nc_u32_e32 v30, v31, v30
	v_mul_lo_u32 v33, v31, v26
	v_lshrrev_b32_e32 v31, 31, v30
	s_delay_alu instid0(VALU_DEP_1) | instskip(NEXT) | instid1(VALU_DEP_1)
	v_add_nc_u32_e32 v30, v30, v31
	v_ashrrev_i32_e32 v30, 1, v30
	s_delay_alu instid0(VALU_DEP_1) | instskip(NEXT) | instid1(VALU_DEP_1)
	v_add3_u32 v30, v33, v32, v30
	v_ashrrev_i32_e32 v31, 31, v30
	s_delay_alu instid0(VALU_DEP_1) | instskip(NEXT) | instid1(VALU_DEP_1)
	v_lshrrev_b32_e32 v31, 30, v31
	v_add_nc_u32_e32 v30, v30, v31
	s_delay_alu instid0(VALU_DEP_1) | instskip(NEXT) | instid1(VALU_DEP_1)
	v_ashrrev_i32_e32 v30, 2, v30
	v_cvt_f32_i32_e32 v30, v30
	s_delay_alu instid0(VALU_DEP_1) | instskip(SKIP_1) | instid1(VALU_DEP_1)
	v_fmac_f32_e32 v9, v29, v30
	v_add_nc_u32_e32 v29, s15, v16
	v_mad_co_u64_u32 v[33:34], null, v29, 36, v[0:1]
	s_clause 0x2
	global_load_b128 v[29:32], v[33:34], off
	global_load_b32 v37, v[33:34], off offset:32
	global_load_b128 v[33:36], v[33:34], off offset:16
	s_wait_loadcnt 0x2
	v_dot4_i32_iu8 v30, v18, v30, 0 neg_lo:[1,1,0]
	v_cvt_f32_f16_e32 v29, v29
	s_delay_alu instid0(VALU_DEP_2) | instskip(SKIP_2) | instid1(VALU_DEP_3)
	v_dot4_i32_iu8 v30, v19, v31, v30 neg_lo:[1,1,0]
	s_wait_loadcnt 0x0
	v_dot4_i32_iu8 v31, v22, v34, 0 neg_lo:[1,1,0]
	v_mul_f32_e32 v29, v24, v29
	s_delay_alu instid0(VALU_DEP_3) | instskip(NEXT) | instid1(VALU_DEP_3)
	v_dot4_i32_iu8 v30, v20, v32, v30 neg_lo:[1,1,0]
	v_dot4_i32_iu8 v31, v23, v35, v31 neg_lo:[1,1,0]
	s_delay_alu instid0(VALU_DEP_2) | instskip(NEXT) | instid1(VALU_DEP_2)
	v_dot4_i32_iu8 v30, v21, v33, v30 neg_lo:[1,1,0]
	v_dot4_i32_iu8 v31, v25, v36, v31 neg_lo:[1,1,0]
	s_delay_alu instid0(VALU_DEP_2) | instskip(NEXT) | instid1(VALU_DEP_2)
	v_mul_lo_u32 v32, v30, v28
	v_dot4_i32_iu8 v31, v27, v37, v31 neg_lo:[1,1,0]
	s_delay_alu instid0(VALU_DEP_1) | instskip(SKIP_1) | instid1(VALU_DEP_2)
	v_add_nc_u32_e32 v30, v31, v30
	v_mul_lo_u32 v33, v31, v26
	v_lshrrev_b32_e32 v31, 31, v30
	s_delay_alu instid0(VALU_DEP_1) | instskip(NEXT) | instid1(VALU_DEP_1)
	v_add_nc_u32_e32 v30, v30, v31
	v_ashrrev_i32_e32 v30, 1, v30
	s_delay_alu instid0(VALU_DEP_1) | instskip(NEXT) | instid1(VALU_DEP_1)
	v_add3_u32 v30, v33, v32, v30
	v_ashrrev_i32_e32 v31, 31, v30
	s_delay_alu instid0(VALU_DEP_1) | instskip(NEXT) | instid1(VALU_DEP_1)
	v_lshrrev_b32_e32 v31, 30, v31
	v_add_nc_u32_e32 v30, v30, v31
	s_delay_alu instid0(VALU_DEP_1) | instskip(NEXT) | instid1(VALU_DEP_1)
	v_ashrrev_i32_e32 v30, 2, v30
	v_cvt_f32_i32_e32 v30, v30
	s_delay_alu instid0(VALU_DEP_1) | instskip(SKIP_1) | instid1(VALU_DEP_1)
	v_fmac_f32_e32 v7, v29, v30
	v_add_nc_u32_e32 v29, s14, v16
	v_mad_co_u64_u32 v[33:34], null, v29, 36, v[0:1]
	s_clause 0x2
	global_load_b128 v[29:32], v[33:34], off
	global_load_b32 v37, v[33:34], off offset:32
	global_load_b128 v[33:36], v[33:34], off offset:16
	s_wait_loadcnt 0x2
	v_dot4_i32_iu8 v30, v18, v30, 0 neg_lo:[1,1,0]
	v_cvt_f32_f16_e32 v29, v29
	s_delay_alu instid0(VALU_DEP_2) | instskip(SKIP_2) | instid1(VALU_DEP_3)
	v_dot4_i32_iu8 v30, v19, v31, v30 neg_lo:[1,1,0]
	s_wait_loadcnt 0x0
	v_dot4_i32_iu8 v31, v22, v34, 0 neg_lo:[1,1,0]
	v_mul_f32_e32 v29, v24, v29
	s_delay_alu instid0(VALU_DEP_3) | instskip(NEXT) | instid1(VALU_DEP_3)
	v_dot4_i32_iu8 v30, v20, v32, v30 neg_lo:[1,1,0]
	v_dot4_i32_iu8 v31, v23, v35, v31 neg_lo:[1,1,0]
	s_delay_alu instid0(VALU_DEP_2) | instskip(NEXT) | instid1(VALU_DEP_2)
	v_dot4_i32_iu8 v30, v21, v33, v30 neg_lo:[1,1,0]
	v_dot4_i32_iu8 v31, v25, v36, v31 neg_lo:[1,1,0]
	s_delay_alu instid0(VALU_DEP_2) | instskip(NEXT) | instid1(VALU_DEP_2)
	v_mul_lo_u32 v32, v30, v28
	v_dot4_i32_iu8 v31, v27, v37, v31 neg_lo:[1,1,0]
	s_delay_alu instid0(VALU_DEP_1) | instskip(SKIP_1) | instid1(VALU_DEP_2)
	v_add_nc_u32_e32 v30, v31, v30
	v_mul_lo_u32 v33, v31, v26
	v_lshrrev_b32_e32 v31, 31, v30
	s_delay_alu instid0(VALU_DEP_1) | instskip(NEXT) | instid1(VALU_DEP_1)
	v_add_nc_u32_e32 v30, v30, v31
	v_ashrrev_i32_e32 v30, 1, v30
	s_delay_alu instid0(VALU_DEP_1) | instskip(NEXT) | instid1(VALU_DEP_1)
	v_add3_u32 v30, v33, v32, v30
	v_ashrrev_i32_e32 v31, 31, v30
	s_delay_alu instid0(VALU_DEP_1) | instskip(NEXT) | instid1(VALU_DEP_1)
	v_lshrrev_b32_e32 v31, 30, v31
	v_add_nc_u32_e32 v30, v30, v31
	s_delay_alu instid0(VALU_DEP_1) | instskip(NEXT) | instid1(VALU_DEP_1)
	v_ashrrev_i32_e32 v30, 2, v30
	v_cvt_f32_i32_e32 v30, v30
	s_delay_alu instid0(VALU_DEP_1) | instskip(NEXT) | instid1(VALU_DEP_1)
	v_dual_fmac_f32 v6, v29, v30 :: v_dual_add_nc_u32 v29, s11, v16
	v_mad_co_u64_u32 v[33:34], null, v29, 36, v[0:1]
	s_clause 0x2
	global_load_b128 v[29:32], v[33:34], off
	global_load_b32 v37, v[33:34], off offset:32
	global_load_b128 v[33:36], v[33:34], off offset:16
	s_wait_loadcnt 0x2
	v_dot4_i32_iu8 v30, v18, v30, 0 neg_lo:[1,1,0]
	v_cvt_f32_f16_e32 v29, v29
	s_delay_alu instid0(VALU_DEP_2) | instskip(SKIP_2) | instid1(VALU_DEP_3)
	v_dot4_i32_iu8 v30, v19, v31, v30 neg_lo:[1,1,0]
	s_wait_loadcnt 0x0
	v_dot4_i32_iu8 v31, v22, v34, 0 neg_lo:[1,1,0]
	v_mul_f32_e32 v29, v24, v29
	s_delay_alu instid0(VALU_DEP_3) | instskip(NEXT) | instid1(VALU_DEP_3)
	v_dot4_i32_iu8 v30, v20, v32, v30 neg_lo:[1,1,0]
	v_dot4_i32_iu8 v31, v23, v35, v31 neg_lo:[1,1,0]
	s_delay_alu instid0(VALU_DEP_2) | instskip(NEXT) | instid1(VALU_DEP_2)
	v_dot4_i32_iu8 v30, v21, v33, v30 neg_lo:[1,1,0]
	v_dot4_i32_iu8 v31, v25, v36, v31 neg_lo:[1,1,0]
	s_delay_alu instid0(VALU_DEP_2) | instskip(NEXT) | instid1(VALU_DEP_2)
	v_mul_lo_u32 v32, v30, v28
	v_dot4_i32_iu8 v31, v27, v37, v31 neg_lo:[1,1,0]
	s_delay_alu instid0(VALU_DEP_1) | instskip(SKIP_1) | instid1(VALU_DEP_2)
	v_add_nc_u32_e32 v30, v31, v30
	v_mul_lo_u32 v33, v31, v26
	v_lshrrev_b32_e32 v31, 31, v30
	s_delay_alu instid0(VALU_DEP_1) | instskip(NEXT) | instid1(VALU_DEP_1)
	v_add_nc_u32_e32 v30, v30, v31
	v_ashrrev_i32_e32 v30, 1, v30
	s_delay_alu instid0(VALU_DEP_1) | instskip(NEXT) | instid1(VALU_DEP_1)
	v_add3_u32 v30, v33, v32, v30
	v_ashrrev_i32_e32 v31, 31, v30
	s_delay_alu instid0(VALU_DEP_1) | instskip(NEXT) | instid1(VALU_DEP_1)
	v_lshrrev_b32_e32 v31, 30, v31
	v_add_nc_u32_e32 v30, v30, v31
	s_delay_alu instid0(VALU_DEP_1) | instskip(NEXT) | instid1(VALU_DEP_1)
	v_ashrrev_i32_e32 v30, 2, v30
	v_cvt_f32_i32_e32 v30, v30
	s_delay_alu instid0(VALU_DEP_1) | instskip(SKIP_2) | instid1(VALU_DEP_2)
	v_fmac_f32_e32 v5, v29, v30
	v_add_nc_u32_e32 v29, s7, v16
	v_add_nc_u32_e32 v16, 32, v16
	v_mad_co_u64_u32 v[33:34], null, v29, 36, v[0:1]
	s_clause 0x2
	global_load_b128 v[29:32], v[33:34], off
	global_load_b32 v37, v[33:34], off offset:32
	global_load_b128 v[33:36], v[33:34], off offset:16
	s_wait_loadcnt 0x2
	v_dot4_i32_iu8 v18, v18, v30, 0 neg_lo:[1,1,0]
	s_delay_alu instid0(VALU_DEP_1) | instskip(SKIP_2) | instid1(VALU_DEP_2)
	v_dot4_i32_iu8 v18, v19, v31, v18 neg_lo:[1,1,0]
	s_wait_loadcnt 0x0
	v_dot4_i32_iu8 v19, v22, v34, 0 neg_lo:[1,1,0]
	v_dot4_i32_iu8 v18, v20, v32, v18 neg_lo:[1,1,0]
	s_delay_alu instid0(VALU_DEP_2) | instskip(NEXT) | instid1(VALU_DEP_2)
	v_dot4_i32_iu8 v19, v23, v35, v19 neg_lo:[1,1,0]
	v_dot4_i32_iu8 v18, v21, v33, v18 neg_lo:[1,1,0]
	s_delay_alu instid0(VALU_DEP_2) | instskip(NEXT) | instid1(VALU_DEP_2)
	v_dot4_i32_iu8 v19, v25, v36, v19 neg_lo:[1,1,0]
	v_mul_lo_u32 v20, v18, v28
	s_delay_alu instid0(VALU_DEP_2) | instskip(NEXT) | instid1(VALU_DEP_1)
	v_dot4_i32_iu8 v19, v27, v37, v19 neg_lo:[1,1,0]
	v_add_nc_u32_e32 v18, v19, v18
	v_mul_lo_u32 v21, v19, v26
	s_delay_alu instid0(VALU_DEP_2) | instskip(NEXT) | instid1(VALU_DEP_1)
	v_lshrrev_b32_e32 v19, 31, v18
	v_add_nc_u32_e32 v18, v18, v19
	s_delay_alu instid0(VALU_DEP_1) | instskip(NEXT) | instid1(VALU_DEP_1)
	v_ashrrev_i32_e32 v18, 1, v18
	v_add3_u32 v18, v21, v20, v18
	s_delay_alu instid0(VALU_DEP_1) | instskip(NEXT) | instid1(VALU_DEP_1)
	v_ashrrev_i32_e32 v19, 31, v18
	v_lshrrev_b32_e32 v19, 30, v19
	s_delay_alu instid0(VALU_DEP_1) | instskip(SKIP_1) | instid1(VALU_DEP_2)
	v_add_nc_u32_e32 v18, v18, v19
	v_cvt_f32_f16_e32 v19, v29
	v_ashrrev_i32_e32 v18, 2, v18
	s_delay_alu instid0(VALU_DEP_2) | instskip(NEXT) | instid1(VALU_DEP_2)
	v_mul_f32_e32 v19, v24, v19
	v_cvt_f32_i32_e32 v18, v18
	s_delay_alu instid0(VALU_DEP_1)
	v_fmac_f32_e32 v4, v19, v18
	s_wait_alu 0xfffe
	s_and_not1_b32 exec_lo, exec_lo, s3
	s_cbranch_execnz .LBB191_2
; %bb.3:
	s_or_b32 exec_lo, exec_lo, s3
.LBB191_4:
	s_delay_alu instid0(SALU_CYCLE_1)
	s_or_b32 exec_lo, exec_lo, s21
	s_mov_b32 s3, 0
	; wave barrier
	global_inv scope:SCOPE_SE
	s_mov_b32 s2, exec_lo
	v_cmpx_eq_u32_e32 0, v11
	s_cbranch_execz .LBB191_21
; %bb.5:
	v_mbcnt_lo_u32_b32 v11, -1, 0
	s_load_b64 s[0:1], s[0:1], 0x38
	s_mul_i32 s2, s10, s19
	s_mul_i32 s4, s18, s20
	s_wait_alu 0xfffe
	s_add_co_i32 s2, s2, ttmp9
	v_xor_b32_e32 v0, 16, v11
	v_xor_b32_e32 v1, 8, v11
	v_xor_b32_e32 v15, 1, v11
	s_wait_alu 0xfffe
	s_add_co_i32 s2, s2, s4
	s_wait_alu 0xfffe
	s_lshl_b64 s[2:3], s[2:3], 2
	v_cmp_gt_i32_e32 vcc_lo, 32, v0
	s_wait_alu 0xfffd
	v_cndmask_b32_e32 v0, v11, v0, vcc_lo
	v_cmp_gt_i32_e32 vcc_lo, 32, v1
	s_wait_kmcnt 0x0
	s_wait_alu 0xfffe
	s_add_nc_u64 s[0:1], s[0:1], s[2:3]
	s_wait_alu 0xfffd
	v_cndmask_b32_e32 v1, v11, v1, vcc_lo
	s_delay_alu instid0(VALU_DEP_1)
	v_lshlrev_b32_e32 v1, 2, v1
	v_lshlrev_b32_e32 v0, 2, v0
	ds_bpermute_b32 v2, v0, v14
	s_wait_dscnt 0x0
	v_add_f32_e32 v3, v14, v2
	v_xor_b32_e32 v2, 4, v11
	ds_bpermute_b32 v13, v1, v3
	v_cmp_gt_i32_e32 vcc_lo, 32, v2
	s_wait_alu 0xfffd
	v_cndmask_b32_e32 v2, v11, v2, vcc_lo
	s_wait_dscnt 0x0
	v_add_f32_e32 v13, v3, v13
	v_xor_b32_e32 v3, 2, v11
	s_delay_alu instid0(VALU_DEP_1) | instskip(SKIP_3) | instid1(VALU_DEP_2)
	v_cmp_gt_i32_e32 vcc_lo, 32, v3
	s_wait_alu 0xfffd
	v_cndmask_b32_e32 v3, v11, v3, vcc_lo
	v_cmp_gt_i32_e32 vcc_lo, 32, v15
	v_lshlrev_b32_e32 v3, 2, v3
	s_wait_alu 0xfffd
	v_dual_cndmask_b32 v11, v11, v15 :: v_dual_lshlrev_b32 v2, 2, v2
	v_cmp_eq_u32_e32 vcc_lo, 0, v8
	ds_bpermute_b32 v14, v2, v13
	v_lshlrev_b32_e32 v11, 2, v11
	s_wait_dscnt 0x0
	v_add_f32_e32 v13, v13, v14
	ds_bpermute_b32 v14, v3, v13
	s_wait_dscnt 0x0
	v_add_f32_e32 v13, v13, v14
	ds_bpermute_b32 v14, v11, v13
	s_and_saveexec_b32 s2, vcc_lo
	s_cbranch_execz .LBB191_7
; %bb.6:
	s_wait_dscnt 0x0
	v_dual_add_f32 v8, v13, v14 :: v_dual_mov_b32 v13, 0
	global_store_b32 v13, v8, s[0:1]
.LBB191_7:
	s_wait_alu 0xfffe
	s_or_b32 exec_lo, exec_lo, s2
	ds_bpermute_b32 v8, v0, v12
	s_wait_dscnt 0x0
	v_add_f32_e32 v8, v12, v8
	ds_bpermute_b32 v12, v1, v8
	s_wait_dscnt 0x0
	v_add_f32_e32 v8, v8, v12
	;; [unrolled: 3-line block ×4, first 2 shown]
	ds_bpermute_b32 v12, v11, v8
	s_and_saveexec_b32 s2, vcc_lo
	s_cbranch_execz .LBB191_9
; %bb.8:
	s_mov_b32 s7, 0
	s_wait_dscnt 0x0
	v_add_f32_e32 v8, v8, v12
	v_mov_b32_e32 v12, 0
	s_wait_alu 0xfffe
	s_lshl_b64 s[4:5], s[6:7], 2
	s_wait_alu 0xfffe
	s_add_nc_u64 s[4:5], s[0:1], s[4:5]
	global_store_b32 v12, v8, s[4:5]
.LBB191_9:
	s_wait_alu 0xfffe
	s_or_b32 exec_lo, exec_lo, s2
	ds_bpermute_b32 v8, v0, v10
	s_wait_dscnt 0x0
	v_add_f32_e32 v8, v10, v8
	ds_bpermute_b32 v10, v1, v8
	s_wait_dscnt 0x0
	v_add_f32_e32 v8, v8, v10
	;; [unrolled: 3-line block ×4, first 2 shown]
	ds_bpermute_b32 v10, v11, v8
	s_and_saveexec_b32 s2, vcc_lo
	s_cbranch_execz .LBB191_11
; %bb.10:
	s_lshl_b32 s4, s6, 1
	s_mov_b32 s5, 0
	s_wait_dscnt 0x0
	v_add_f32_e32 v8, v8, v10
	v_mov_b32_e32 v10, 0
	s_wait_alu 0xfffe
	s_lshl_b64 s[4:5], s[4:5], 2
	s_wait_alu 0xfffe
	s_add_nc_u64 s[4:5], s[0:1], s[4:5]
	global_store_b32 v10, v8, s[4:5]
.LBB191_11:
	s_wait_alu 0xfffe
	s_or_b32 exec_lo, exec_lo, s2
	ds_bpermute_b32 v8, v0, v9
	s_wait_dscnt 0x0
	v_add_f32_e32 v8, v9, v8
	ds_bpermute_b32 v9, v1, v8
	s_wait_dscnt 0x0
	v_add_f32_e32 v8, v8, v9
	;; [unrolled: 3-line block ×4, first 2 shown]
	ds_bpermute_b32 v9, v11, v8
	s_and_saveexec_b32 s2, vcc_lo
	s_cbranch_execz .LBB191_13
; %bb.12:
	s_mul_i32 s4, s6, 3
	s_mov_b32 s5, 0
	s_wait_dscnt 0x0
	v_dual_add_f32 v8, v8, v9 :: v_dual_mov_b32 v9, 0
	s_wait_alu 0xfffe
	s_lshl_b64 s[4:5], s[4:5], 2
	s_wait_alu 0xfffe
	s_add_nc_u64 s[4:5], s[0:1], s[4:5]
	global_store_b32 v9, v8, s[4:5]
.LBB191_13:
	s_wait_alu 0xfffe
	s_or_b32 exec_lo, exec_lo, s2
	ds_bpermute_b32 v8, v0, v7
	s_wait_dscnt 0x0
	v_add_f32_e32 v7, v7, v8
	ds_bpermute_b32 v8, v1, v7
	s_wait_dscnt 0x0
	v_add_f32_e32 v7, v7, v8
	;; [unrolled: 3-line block ×4, first 2 shown]
	ds_bpermute_b32 v8, v11, v7
	s_and_saveexec_b32 s2, vcc_lo
	s_cbranch_execz .LBB191_15
; %bb.14:
	s_lshl_b32 s4, s6, 2
	s_mov_b32 s5, 0
	s_wait_dscnt 0x0
	v_dual_add_f32 v7, v7, v8 :: v_dual_mov_b32 v8, 0
	s_wait_alu 0xfffe
	s_lshl_b64 s[4:5], s[4:5], 2
	s_wait_alu 0xfffe
	s_add_nc_u64 s[4:5], s[0:1], s[4:5]
	global_store_b32 v8, v7, s[4:5]
.LBB191_15:
	s_wait_alu 0xfffe
	s_or_b32 exec_lo, exec_lo, s2
	ds_bpermute_b32 v7, v0, v6
	s_wait_dscnt 0x0
	v_add_f32_e32 v6, v6, v7
	ds_bpermute_b32 v7, v1, v6
	s_wait_dscnt 0x0
	v_add_f32_e32 v6, v6, v7
	;; [unrolled: 3-line block ×4, first 2 shown]
	ds_bpermute_b32 v7, v11, v6
	s_and_saveexec_b32 s2, vcc_lo
	s_cbranch_execz .LBB191_17
; %bb.16:
	s_mul_i32 s4, s6, 5
	s_mov_b32 s5, 0
	s_wait_dscnt 0x0
	v_dual_add_f32 v6, v6, v7 :: v_dual_mov_b32 v7, 0
	s_wait_alu 0xfffe
	s_lshl_b64 s[4:5], s[4:5], 2
	s_wait_alu 0xfffe
	s_add_nc_u64 s[4:5], s[0:1], s[4:5]
	global_store_b32 v7, v6, s[4:5]
.LBB191_17:
	s_wait_alu 0xfffe
	s_or_b32 exec_lo, exec_lo, s2
	ds_bpermute_b32 v6, v0, v5
	s_wait_dscnt 0x0
	v_add_f32_e32 v5, v5, v6
	ds_bpermute_b32 v6, v1, v5
	s_wait_dscnt 0x0
	v_add_f32_e32 v5, v5, v6
	;; [unrolled: 3-line block ×4, first 2 shown]
	ds_bpermute_b32 v6, v11, v5
	s_and_saveexec_b32 s2, vcc_lo
	s_cbranch_execz .LBB191_19
; %bb.18:
	s_mul_i32 s4, s6, 6
	s_mov_b32 s5, 0
	s_wait_dscnt 0x0
	v_dual_add_f32 v5, v5, v6 :: v_dual_mov_b32 v6, 0
	s_wait_alu 0xfffe
	s_lshl_b64 s[4:5], s[4:5], 2
	s_wait_alu 0xfffe
	s_add_nc_u64 s[4:5], s[0:1], s[4:5]
	global_store_b32 v6, v5, s[4:5]
.LBB191_19:
	s_wait_alu 0xfffe
	s_or_b32 exec_lo, exec_lo, s2
	ds_bpermute_b32 v0, v0, v4
	s_wait_dscnt 0x0
	v_add_f32_e32 v0, v4, v0
	ds_bpermute_b32 v1, v1, v0
	s_wait_dscnt 0x0
	v_add_f32_e32 v0, v0, v1
	;; [unrolled: 3-line block ×4, first 2 shown]
	ds_bpermute_b32 v1, v11, v0
	s_and_b32 exec_lo, exec_lo, vcc_lo
	s_cbranch_execz .LBB191_21
; %bb.20:
	s_mul_i32 s2, s6, 7
	s_mov_b32 s3, 0
	s_wait_dscnt 0x0
	v_dual_add_f32 v0, v0, v1 :: v_dual_mov_b32 v1, 0
	s_wait_alu 0xfffe
	s_lshl_b64 s[2:3], s[2:3], 2
	s_wait_alu 0xfffe
	s_add_nc_u64 s[0:1], s[0:1], s[2:3]
	global_store_b32 v1, v0, s[0:1]
.LBB191_21:
	s_endpgm
	.section	.rodata,"a",@progbits
	.p2align	6, 0x0
	.amdhsa_kernel _ZL13mul_mat_vec_qIL9ggml_type22ELi8ELb0ELb0EEvPKvS2_PKi31ggml_cuda_mm_fusion_args_devicePfj15HIP_vector_typeIjLj3EEjjjS8_jjjS8_jjjj
		.amdhsa_group_segment_fixed_size 0
		.amdhsa_private_segment_fixed_size 0
		.amdhsa_kernarg_size 144
		.amdhsa_user_sgpr_count 2
		.amdhsa_user_sgpr_dispatch_ptr 0
		.amdhsa_user_sgpr_queue_ptr 0
		.amdhsa_user_sgpr_kernarg_segment_ptr 1
		.amdhsa_user_sgpr_dispatch_id 0
		.amdhsa_user_sgpr_private_segment_size 0
		.amdhsa_wavefront_size32 1
		.amdhsa_uses_dynamic_stack 0
		.amdhsa_enable_private_segment 0
		.amdhsa_system_sgpr_workgroup_id_x 1
		.amdhsa_system_sgpr_workgroup_id_y 1
		.amdhsa_system_sgpr_workgroup_id_z 1
		.amdhsa_system_sgpr_workgroup_info 0
		.amdhsa_system_vgpr_workitem_id 1
		.amdhsa_next_free_vgpr 41
		.amdhsa_next_free_sgpr 26
		.amdhsa_reserve_vcc 1
		.amdhsa_float_round_mode_32 0
		.amdhsa_float_round_mode_16_64 0
		.amdhsa_float_denorm_mode_32 3
		.amdhsa_float_denorm_mode_16_64 3
		.amdhsa_fp16_overflow 0
		.amdhsa_workgroup_processor_mode 1
		.amdhsa_memory_ordered 1
		.amdhsa_forward_progress 1
		.amdhsa_inst_pref_size 51
		.amdhsa_round_robin_scheduling 0
		.amdhsa_exception_fp_ieee_invalid_op 0
		.amdhsa_exception_fp_denorm_src 0
		.amdhsa_exception_fp_ieee_div_zero 0
		.amdhsa_exception_fp_ieee_overflow 0
		.amdhsa_exception_fp_ieee_underflow 0
		.amdhsa_exception_fp_ieee_inexact 0
		.amdhsa_exception_int_div_zero 0
	.end_amdhsa_kernel
	.section	.text._ZL13mul_mat_vec_qIL9ggml_type22ELi8ELb0ELb0EEvPKvS2_PKi31ggml_cuda_mm_fusion_args_devicePfj15HIP_vector_typeIjLj3EEjjjS8_jjjS8_jjjj,"axG",@progbits,_ZL13mul_mat_vec_qIL9ggml_type22ELi8ELb0ELb0EEvPKvS2_PKi31ggml_cuda_mm_fusion_args_devicePfj15HIP_vector_typeIjLj3EEjjjS8_jjjS8_jjjj,comdat
.Lfunc_end191:
	.size	_ZL13mul_mat_vec_qIL9ggml_type22ELi8ELb0ELb0EEvPKvS2_PKi31ggml_cuda_mm_fusion_args_devicePfj15HIP_vector_typeIjLj3EEjjjS8_jjjS8_jjjj, .Lfunc_end191-_ZL13mul_mat_vec_qIL9ggml_type22ELi8ELb0ELb0EEvPKvS2_PKi31ggml_cuda_mm_fusion_args_devicePfj15HIP_vector_typeIjLj3EEjjjS8_jjjS8_jjjj
                                        ; -- End function
	.set _ZL13mul_mat_vec_qIL9ggml_type22ELi8ELb0ELb0EEvPKvS2_PKi31ggml_cuda_mm_fusion_args_devicePfj15HIP_vector_typeIjLj3EEjjjS8_jjjS8_jjjj.num_vgpr, 41
	.set _ZL13mul_mat_vec_qIL9ggml_type22ELi8ELb0ELb0EEvPKvS2_PKi31ggml_cuda_mm_fusion_args_devicePfj15HIP_vector_typeIjLj3EEjjjS8_jjjS8_jjjj.num_agpr, 0
	.set _ZL13mul_mat_vec_qIL9ggml_type22ELi8ELb0ELb0EEvPKvS2_PKi31ggml_cuda_mm_fusion_args_devicePfj15HIP_vector_typeIjLj3EEjjjS8_jjjS8_jjjj.numbered_sgpr, 26
	.set _ZL13mul_mat_vec_qIL9ggml_type22ELi8ELb0ELb0EEvPKvS2_PKi31ggml_cuda_mm_fusion_args_devicePfj15HIP_vector_typeIjLj3EEjjjS8_jjjS8_jjjj.num_named_barrier, 0
	.set _ZL13mul_mat_vec_qIL9ggml_type22ELi8ELb0ELb0EEvPKvS2_PKi31ggml_cuda_mm_fusion_args_devicePfj15HIP_vector_typeIjLj3EEjjjS8_jjjS8_jjjj.private_seg_size, 0
	.set _ZL13mul_mat_vec_qIL9ggml_type22ELi8ELb0ELb0EEvPKvS2_PKi31ggml_cuda_mm_fusion_args_devicePfj15HIP_vector_typeIjLj3EEjjjS8_jjjS8_jjjj.uses_vcc, 1
	.set _ZL13mul_mat_vec_qIL9ggml_type22ELi8ELb0ELb0EEvPKvS2_PKi31ggml_cuda_mm_fusion_args_devicePfj15HIP_vector_typeIjLj3EEjjjS8_jjjS8_jjjj.uses_flat_scratch, 0
	.set _ZL13mul_mat_vec_qIL9ggml_type22ELi8ELb0ELb0EEvPKvS2_PKi31ggml_cuda_mm_fusion_args_devicePfj15HIP_vector_typeIjLj3EEjjjS8_jjjS8_jjjj.has_dyn_sized_stack, 0
	.set _ZL13mul_mat_vec_qIL9ggml_type22ELi8ELb0ELb0EEvPKvS2_PKi31ggml_cuda_mm_fusion_args_devicePfj15HIP_vector_typeIjLj3EEjjjS8_jjjS8_jjjj.has_recursion, 0
	.set _ZL13mul_mat_vec_qIL9ggml_type22ELi8ELb0ELb0EEvPKvS2_PKi31ggml_cuda_mm_fusion_args_devicePfj15HIP_vector_typeIjLj3EEjjjS8_jjjS8_jjjj.has_indirect_call, 0
	.section	.AMDGPU.csdata,"",@progbits
; Kernel info:
; codeLenInByte = 6428
; TotalNumSgprs: 28
; NumVgprs: 41
; ScratchSize: 0
; MemoryBound: 0
; FloatMode: 240
; IeeeMode: 1
; LDSByteSize: 0 bytes/workgroup (compile time only)
; SGPRBlocks: 0
; VGPRBlocks: 5
; NumSGPRsForWavesPerEU: 28
; NumVGPRsForWavesPerEU: 41
; Occupancy: 16
; WaveLimiterHint : 0
; COMPUTE_PGM_RSRC2:SCRATCH_EN: 0
; COMPUTE_PGM_RSRC2:USER_SGPR: 2
; COMPUTE_PGM_RSRC2:TRAP_HANDLER: 0
; COMPUTE_PGM_RSRC2:TGID_X_EN: 1
; COMPUTE_PGM_RSRC2:TGID_Y_EN: 1
; COMPUTE_PGM_RSRC2:TGID_Z_EN: 1
; COMPUTE_PGM_RSRC2:TIDIG_COMP_CNT: 1
	.section	.text._ZL17mul_mat_vec_q_moeIL9ggml_type18ELi2EEvPKvS2_PKiPfj15HIP_vector_typeIjLj3EEjjjjjjjjj,"axG",@progbits,_ZL17mul_mat_vec_q_moeIL9ggml_type18ELi2EEvPKvS2_PKiPfj15HIP_vector_typeIjLj3EEjjjjjjjjj,comdat
	.globl	_ZL17mul_mat_vec_q_moeIL9ggml_type18ELi2EEvPKvS2_PKiPfj15HIP_vector_typeIjLj3EEjjjjjjjjj ; -- Begin function _ZL17mul_mat_vec_q_moeIL9ggml_type18ELi2EEvPKvS2_PKiPfj15HIP_vector_typeIjLj3EEjjjjjjjjj
	.p2align	8
	.type	_ZL17mul_mat_vec_q_moeIL9ggml_type18ELi2EEvPKvS2_PKiPfj15HIP_vector_typeIjLj3EEjjjjjjjjj,@function
_ZL17mul_mat_vec_q_moeIL9ggml_type18ELi2EEvPKvS2_PKiPfj15HIP_vector_typeIjLj3EEjjjjjjjjj: ; @_ZL17mul_mat_vec_q_moeIL9ggml_type18ELi2EEvPKvS2_PKiPfj15HIP_vector_typeIjLj3EEjjjjjjjjj
; %bb.0:
	s_load_b256 s[4:11], s[0:1], 0x30
	v_bfe_u32 v6, v0, 10, 10
	s_mov_b32 s2, exec_lo
	s_wait_kmcnt 0x0
	s_delay_alu instid0(VALU_DEP_1)
	v_cmpx_gt_u32_e64 s11, v6
	s_cbranch_execz .LBB192_7
; %bb.1:
	s_clause 0x2
	s_load_b32 s3, s[0:1], 0x20
	s_load_b32 s2, s[0:1], 0x50
	s_load_b256 s[12:19], s[0:1], 0x0
	v_bfe_u32 v8, v0, 3, 7
	v_dual_mov_b32 v0, 0 :: v_dual_and_b32 v7, 0x3ff, v0
	v_mov_b32_e32 v1, 0
	s_lshl_b32 s11, ttmp9, 1
	s_mov_b32 s21, exec_lo
	s_wait_kmcnt 0x0
	s_lshr_b32 s20, s3, 8
	s_delay_alu instid0(SALU_CYCLE_1)
	v_cmpx_gt_u32_e64 s20, v8
	s_cbranch_execz .LBB192_5
; %bb.2:
	s_mov_b32 s22, ttmp7
	v_lshrrev_b32_e32 v4, 3, v7
	v_mad_co_u64_u32 v[0:1], null, s2, v6, s[22:23]
	v_mov_b32_e32 v1, 0
	s_load_b96 s[0:2], s[0:1], 0x24
	s_delay_alu instid0(VALU_DEP_1) | instskip(NEXT) | instid1(VALU_DEP_1)
	v_lshlrev_b64_e32 v[2:3], 2, v[0:1]
	v_add_co_u32 v2, vcc_lo, s16, v2
	s_delay_alu instid0(VALU_DEP_1) | instskip(SKIP_4) | instid1(SALU_CYCLE_1)
	v_add_co_ci_u32_e64 v3, null, s17, v3, vcc_lo
	global_load_b32 v0, v[2:3], off
	v_mul_lo_u32 v2, s6, v6
	s_wait_kmcnt 0x0
	s_mul_hi_u32 s0, s0, ttmp7
	s_add_co_i32 s0, ttmp7, s0
	s_delay_alu instid0(SALU_CYCLE_1) | instskip(NEXT) | instid1(SALU_CYCLE_1)
	s_lshr_b32 s0, s0, s1
	s_mul_i32 s0, s0, s2
	s_delay_alu instid0(VALU_DEP_1) | instskip(SKIP_1) | instid1(SALU_CYCLE_1)
	v_mad_co_u64_u32 v[2:3], null, v2, 36, 0
	s_sub_co_i32 s0, ttmp7, s0
	s_mul_i32 s0, s0, s9
	v_mad_co_u64_u32 v[2:3], null, 0x120, v4, v[2:3]
	v_and_b32_e32 v4, 7, v7
	v_lshlrev_b32_e32 v5, 1, v7
	s_delay_alu instid0(VALU_DEP_1) | instskip(NEXT) | instid1(VALU_DEP_4)
	v_and_b32_e32 v10, 14, v5
	v_mad_co_u64_u32 v[2:3], null, s0, 36, v[2:3]
	s_add_co_i32 s0, s11, 1
	s_getpc_b64 s[2:3]
	s_wait_alu 0xfffe
	s_sext_i32_i16 s3, s3
	s_add_co_u32 s2, s2, _ZL11iq3xxs_grid@rel32@lo+12
	s_wait_alu 0xfffe
	s_add_co_ci_u32 s3, s3, _ZL11iq3xxs_grid@rel32@hi+24
	v_lshlrev_b32_e32 v9, 1, v10
	v_lshlrev_b32_e32 v10, 1, v10
	v_mad_co_u64_u32 v[2:3], null, v4, 36, v[2:3]
	s_delay_alu instid0(VALU_DEP_3) | instskip(NEXT) | instid1(VALU_DEP_2)
	v_lshlrev_b32_e32 v9, 1, v9
	v_add_co_u32 v5, vcc_lo, s14, v2
	s_wait_alu 0xfffd
	s_delay_alu instid0(VALU_DEP_3) | instskip(SKIP_2) | instid1(VALU_DEP_1)
	v_add_co_ci_u32_e64 v11, null, s15, v3, vcc_lo
	s_wait_loadcnt 0x0
	v_mul_lo_u32 v0, v0, s8
	v_mad_co_u64_u32 v[2:3], null, s11, s5, v[0:1]
	v_mad_co_u64_u32 v[3:4], null, s5, s0, v[0:1]
	v_add_co_u32 v4, vcc_lo, v5, 32
	s_wait_alu 0xfffd
	v_add_co_ci_u32_e64 v5, null, 0, v11, vcc_lo
	v_mov_b32_e32 v0, v1
	s_mov_b32 s5, 0
.LBB192_3:                              ; =>This Inner Loop Header: Depth=1
	v_add_nc_u32_e32 v11, v2, v8
	v_add_nc_u32_e32 v12, v3, v8
	;; [unrolled: 1-line block ×3, first 2 shown]
	s_delay_alu instid0(VALU_DEP_3) | instskip(NEXT) | instid1(VALU_DEP_3)
	v_mad_co_i64_i32 v[15:16], null, 0x62, v11, s[12:13]
	v_mad_co_i64_i32 v[11:12], null, 0x62, v12, s[12:13]
	s_delay_alu instid0(VALU_DEP_2) | instskip(SKIP_1) | instid1(VALU_DEP_3)
	v_add_co_u32 v13, vcc_lo, v15, v9
	s_wait_alu 0xfffd
	v_add_co_ci_u32_e64 v14, null, 0, v16, vcc_lo
	v_add_co_u32 v17, vcc_lo, v15, v10
	s_wait_alu 0xfffd
	v_add_co_ci_u32_e64 v18, null, 0, v16, vcc_lo
	;; [unrolled: 3-line block ×4, first 2 shown]
	s_clause 0x5
	global_load_b64 v[23:24], v[13:14], off offset:2
	global_load_b32 v14, v[17:18], off offset:66
	global_load_b64 v[17:18], v[19:20], off offset:2
	global_load_b32 v13, v[21:22], off offset:66
	global_load_u16 v11, v[11:12], off
	global_load_u16 v12, v[15:16], off
	s_wait_loadcnt 0x5
	v_lshrrev_b32_e32 v31, 6, v23
	s_wait_loadcnt 0x4
	v_and_b32_e32 v15, 0xff, v14
	v_lshrrev_b32_e32 v33, 14, v23
	v_lshrrev_b32_e32 v34, 22, v23
	s_wait_loadcnt 0x1
	v_cvt_f32_f16_e32 v11, v11
	v_and_b32_e32 v30, 0xff, v23
	v_bcnt_u32_b32 v23, v15, 0
	v_and_b32_e32 v41, 0xff, v17
	v_lshrrev_b32_e32 v42, 6, v17
	v_lshrrev_b32_e32 v43, 14, v17
	;; [unrolled: 1-line block ×3, first 2 shown]
	v_bfe_u32 v17, v13, 7, 8
	v_and_b32_e32 v46, 0xff, v18
	v_lshrrev_b32_e32 v47, 6, v18
	v_lshrrev_b32_e32 v48, 14, v18
	;; [unrolled: 1-line block ×3, first 2 shown]
	v_bfe_u32 v18, v13, 21, 8
	v_and_b32_e32 v23, 1, v23
	v_bcnt_u32_b32 v28, v17, 0
	v_bfe_u32 v16, v14, 7, 8
	v_and_b32_e32 v21, 0xff, v13
	v_bcnt_u32_b32 v32, v18, 0
	v_lshlrev_b32_e32 v23, 7, v23
	v_and_b32_e32 v28, 1, v28
	v_bfe_u32 v19, v14, 14, 8
	v_and_b32_e32 v36, 0xff, v24
	v_and_b32_e32 v32, 1, v32
	v_xor_b32_e32 v15, v23, v15
	v_lshrrev_b32_e32 v37, 6, v24
	v_lshrrev_b32_e32 v38, 14, v24
	;; [unrolled: 1-line block ×3, first 2 shown]
	v_bcnt_u32_b32 v24, v16, 0
	v_bcnt_u32_b32 v27, v21, 0
	v_lshlrev_b32_e32 v28, 7, v28
	v_lshlrev_b32_e32 v32, 7, v32
	v_mul_lo_u32 v15, 0x1010101, v15
	v_bcnt_u32_b32 v25, v19, 0
	v_and_b32_e32 v24, 1, v24
	v_and_b32_e32 v27, 1, v27
	v_xor_b32_e32 v17, v28, v17
	v_xor_b32_e32 v18, v32, v18
	v_bfe_u32 v20, v14, 21, 8
	v_and_b32_e32 v25, 1, v25
	v_and_b32_e32 v23, 0x8040201, v15
	v_lshlrev_b32_e32 v24, 7, v24
	v_lshlrev_b32_e32 v27, 7, v27
	v_mul_lo_u32 v17, 0x1010101, v17
	v_mul_lo_u32 v18, 0x1010101, v18
	v_bcnt_u32_b32 v26, v20, 0
	v_lshlrev_b32_e32 v25, 7, v25
	v_lshrrev_b16 v77, 8, v23
	v_bfe_u32 v22, v13, 14, 8
	v_xor_b32_e32 v16, v24, v16
	v_xor_b32_e32 v21, v27, v21
	v_and_b32_e32 v26, 1, v26
	v_xor_b32_e32 v19, v25, v19
	v_lshrrev_b32_e32 v24, 18, v15
	v_and_b32_e32 v25, 0x80402010, v15
	v_and_b32_e32 v70, 0x80402010, v17
	;; [unrolled: 1-line block ×4, first 2 shown]
	v_lshrrev_b32_e32 v76, 18, v18
	v_bfe_i32 v54, v18, 0, 1
	v_lshrrev_b32_e32 v18, 22, v18
	v_lshrrev_b32_e32 v23, 24, v23
	v_cmp_ne_u16_e32 vcc_lo, 0, v77
	v_bcnt_u32_b32 v29, v22, 0
	v_mul_lo_u32 v16, 0x1010101, v16
	v_mul_lo_u32 v21, 0x1010101, v21
	v_lshlrev_b32_e32 v26, 7, v26
	v_bfe_i32 v55, v24, 0, 1
	v_lshrrev_b16 v24, 8, v25
	v_lshrrev_b16 v96, 8, v70
	v_lshrrev_b32_e32 v97, 24, v70
	v_lshrrev_b16 v106, 4, v70
	v_bfe_i32 v70, v18, 0, 1
	s_wait_alu 0xfffd
	v_cndmask_b32_e64 v18, 0, -1, vcc_lo
	v_cmp_ne_u16_e32 vcc_lo, 0, v23
	v_and_b32_e32 v29, 1, v29
	v_xor_b32_e32 v20, v26, v20
	v_bfe_i32 v28, v15, 0, 1
	v_lshrrev_b32_e32 v15, 22, v15
	v_and_b32_e32 v26, 0x8040201, v16
	v_and_b32_e32 v65, 0x8040201, v21
	v_lshrrev_b32_e32 v79, 24, v25
	s_wait_alu 0xfffd
	v_cndmask_b32_e64 v23, 0, -1, vcc_lo
	v_cmp_ne_u16_e32 vcc_lo, 0, v24
	v_lshlrev_b32_e32 v29, 7, v29
	v_and_b32_e32 v67, 0x80402010, v21
	v_bfe_i32 v56, v15, 0, 1
	v_lshrrev_b16 v15, 8, v26
	v_lshrrev_b32_e32 v90, 24, v65
	s_wait_alu 0xfffd
	v_cndmask_b32_e64 v24, 0, -1, vcc_lo
	v_cmp_ne_u16_e32 vcc_lo, 0, v79
	v_xor_b32_e32 v22, v29, v22
	v_mul_lo_u32 v20, 0x1010101, v20
	v_lshrrev_b32_e32 v27, 18, v16
	v_and_b32_e32 v29, 0x80402010, v16
	v_lshrrev_b32_e32 v26, 24, v26
	v_lshrrev_b16 v92, 8, v67
	s_wait_alu 0xfffd
	v_cndmask_b32_e64 v77, 0, -1, vcc_lo
	v_cmp_ne_u16_e32 vcc_lo, 0, v15
	v_cmp_ne_u16_e64 s1, 0, v90
	v_mul_lo_u32 v19, 0x1010101, v19
	v_mul_lo_u32 v22, 0x1010101, v22
	v_and_b32_e32 v64, 0x80402010, v20
	v_lshrrev_b32_e32 v66, 18, v21
	v_bfe_i32 v51, v21, 0, 1
	v_lshrrev_b32_e32 v21, 22, v21
	v_and_b32_e32 v68, 0x8040201, v17
	v_bfe_i32 v57, v27, 0, 1
	v_lshrrev_b16 v27, 8, v29
	v_lshrrev_b32_e32 v93, 24, v67
	s_wait_alu 0xfffd
	v_cndmask_b32_e64 v79, 0, -1, vcc_lo
	v_cmp_ne_u16_e32 vcc_lo, 0, v26
	s_wait_alu 0xf1ff
	v_cndmask_b32_e64 v90, 0, -1, s1
	v_cmp_ne_u16_e64 s1, 0, v92
	v_bfe_i32 v32, v16, 0, 1
	v_lshrrev_b32_e32 v16, 22, v16
	v_and_b32_e32 v35, 0x8040201, v19
	v_and_b32_e32 v71, 0x8040201, v22
	;; [unrolled: 1-line block ×3, first 2 shown]
	v_lshrrev_b32_e32 v75, 18, v22
	v_bfe_i32 v53, v22, 0, 1
	v_lshrrev_b32_e32 v22, 22, v22
	v_lshrrev_b32_e32 v81, 24, v29
	v_lshrrev_b16 v87, 8, v64
	v_lshrrev_b32_e32 v88, 24, v64
	v_lshrrev_b16 v89, 4, v64
	v_bfe_i32 v64, v21, 0, 1
	v_lshrrev_b16 v21, 8, v68
	s_wait_alu 0xfffd
	v_cndmask_b32_e64 v26, 0, -1, vcc_lo
	v_cmp_ne_u16_e32 vcc_lo, 0, v27
	s_wait_alu 0xf1ff
	v_cndmask_b32_e64 v92, 0, -1, s1
	v_cmp_ne_u16_e64 s1, 0, v93
	v_and_b32_e32 v78, 0xff, v28
	v_bfe_i32 v58, v16, 0, 1
	v_lshrrev_b16 v16, 8, v35
	v_lshrrev_b32_e32 v95, 24, v68
	v_lshrrev_b16 v103, 8, v74
	v_lshrrev_b32_e32 v104, 24, v74
	v_bfe_i32 v68, v22, 0, 1
	v_lshrrev_b16 v22, 4, v74
	v_and_b32_e32 v74, 0xff, v55
	s_wait_alu 0xfffd
	v_cndmask_b32_e64 v27, 0, -1, vcc_lo
	v_cmp_ne_u16_e32 vcc_lo, 0, v81
	s_wait_alu 0xf1ff
	v_cndmask_b32_e64 v93, 0, -1, s1
	v_cmp_ne_u16_e64 s1, 0, v21
	v_lshlrev_b16 v119, 8, v18
	v_lshlrev_b16 v21, 8, v23
	v_lshrrev_b16 v25, 4, v25
	s_wait_alu 0xfffd
	v_cndmask_b32_e64 v81, 0, -1, vcc_lo
	v_cmp_ne_u16_e32 vcc_lo, 0, v16
	v_or_b32_e32 v15, v78, v119
	v_or_b32_e32 v16, v74, v21
	v_lshrrev_b32_e32 v45, 18, v19
	v_and_b32_e32 v59, 0x80402010, v19
	v_lshrrev_b32_e32 v63, 18, v20
	v_lshrrev_b32_e32 v69, 18, v17
	v_bfe_i32 v52, v17, 0, 1
	v_lshrrev_b32_e32 v17, 22, v17
	v_lshrrev_b16 v98, 8, v71
	v_lshrrev_b32_e32 v99, 24, v71
	v_bfe_i32 v71, v25, 0, 1
	v_and_b32_e32 v15, 0xffff, v15
	v_lshlrev_b32_e32 v16, 16, v16
	v_bfe_i32 v60, v45, 0, 1
	v_lshrrev_b16 v45, 8, v59
	v_lshrrev_b32_e32 v83, 24, v59
	v_lshrrev_b16 v84, 4, v59
	v_bfe_i32 v59, v63, 0, 1
	v_bfe_i32 v63, v66, 0, 1
	;; [unrolled: 1-line block ×3, first 2 shown]
	v_lshrrev_b16 v17, 4, v72
	v_and_b32_e32 v25, 0xff, v56
	v_or_b32_e32 v78, v15, v16
	v_and_b32_e32 v16, 0xff, v71
	v_lshlrev_b16 v120, 8, v24
	v_lshlrev_b16 v15, 8, v77
	v_bfe_i32 v117, v17, 0, 1
	v_and_b32_e32 v80, 0xff, v32
	v_and_b32_e32 v107, 0xff, v57
	v_or_b32_e32 v16, v16, v120
	v_or_b32_e32 v17, v25, v15
	v_lshlrev_b16 v79, 8, v79
	v_lshrrev_b16 v29, 4, v29
	v_lshrrev_b16 v100, 8, v72
	v_and_b32_e32 v16, 0xffff, v16
	v_lshlrev_b32_e32 v17, 16, v17
	v_lshrrev_b32_e32 v101, 24, v72
	v_bfe_i32 v72, v29, 0, 1
	v_lshrrev_b32_e32 v35, 24, v35
	v_and_b32_e32 v29, 0xff, v58
	v_or_b32_e32 v77, v16, v17
	v_lshlrev_b16 v16, 8, v26
	v_or_b32_e32 v17, v80, v79
	s_wait_alu 0xfffd
	v_cndmask_b32_e64 v108, 0, -1, vcc_lo
	v_cmp_ne_u16_e32 vcc_lo, 0, v35
	v_bfe_i32 v121, v22, 0, 1
	v_or_b32_e32 v18, v107, v16
	v_and_b32_e32 v17, 0xffff, v17
	v_lshlrev_b16 v107, 8, v27
	v_bfe_i32 v40, v19, 0, 1
	s_wait_alu 0xfffd
	v_cndmask_b32_e64 v35, 0, -1, vcc_lo
	v_lshlrev_b32_e32 v18, 16, v18
	v_lshrrev_b32_e32 v19, 22, v19
	v_and_b32_e32 v61, 0x8040201, v20
	v_and_b32_e32 v82, 0xff, v40
	;; [unrolled: 1-line block ×3, first 2 shown]
	v_or_b32_e32 v80, v17, v18
	v_and_b32_e32 v18, 0xff, v72
	v_lshlrev_b16 v17, 8, v81
	v_cmp_ne_u16_e32 vcc_lo, 0, v45
	v_lshlrev_b16 v108, 8, v108
	v_bfe_i32 v62, v19, 0, 1
	v_or_b32_e32 v18, v18, v107
	v_or_b32_e32 v22, v29, v17
	v_lshrrev_b16 v19, 8, v61
	s_wait_alu 0xfffd
	v_cndmask_b32_e64 v45, 0, -1, vcc_lo
	v_cmp_ne_u16_e32 vcc_lo, 0, v83
	v_and_b32_e32 v18, 0xffff, v18
	v_lshlrev_b32_e32 v22, 16, v22
	v_lshrrev_b32_e32 v85, 24, v61
	v_bfe_i32 v84, v84, 0, 1
	s_wait_alu 0xfffd
	v_cndmask_b32_e64 v83, 0, -1, vcc_lo
	v_cmp_ne_u16_e32 vcc_lo, 0, v19
	v_or_b32_e32 v81, v18, v22
	v_lshlrev_b16 v22, 8, v35
	v_or_b32_e32 v18, v82, v108
	v_and_b32_e32 v110, 0xff, v62
	s_wait_alu 0xfffd
	v_cndmask_b32_e64 v19, 0, -1, vcc_lo
	v_cmp_ne_u16_e32 vcc_lo, 0, v85
	v_or_b32_e32 v24, v109, v22
	v_and_b32_e32 v18, 0xffff, v18
	v_lshlrev_b16 v109, 8, v45
	v_lshlrev_b16 v26, 8, v83
	v_bfe_i32 v50, v20, 0, 1
	v_lshlrev_b32_e32 v24, 16, v24
	s_wait_alu 0xfffd
	v_cndmask_b32_e64 v85, 0, -1, vcc_lo
	v_and_b32_e32 v111, 0xff, v59
	v_lshlrev_b16 v122, 8, v19
	v_and_b32_e32 v86, 0xff, v50
	v_or_b32_e32 v82, v18, v24
	v_and_b32_e32 v18, 0xff, v84
	v_or_b32_e32 v24, v110, v26
	v_lshlrev_b16 v27, 8, v85
	v_lshrrev_b32_e32 v20, 22, v20
	v_cmp_ne_u16_e32 vcc_lo, 0, v87
	v_or_b32_e32 v18, v18, v109
	v_lshlrev_b32_e32 v24, 16, v24
	v_cmp_ne_u16_e64 s0, 0, v88
	v_or_b32_e32 v19, v111, v27
	v_bfe_i32 v61, v20, 0, 1
	v_and_b32_e32 v18, 0xffff, v18
	v_lshrrev_b16 v20, 8, v65
	v_bfe_i32 v89, v89, 0, 1
	s_wait_alu 0xfffd
	v_cndmask_b32_e64 v87, 0, -1, vcc_lo
	s_wait_alu 0xf1ff
	v_cndmask_b32_e64 v88, 0, -1, s0
	v_or_b32_e32 v83, v18, v24
	v_or_b32_e32 v18, v86, v122
	v_lshlrev_b32_e32 v19, 16, v19
	v_cmp_ne_u16_e32 vcc_lo, 0, v104
	v_and_b32_e32 v104, 0xff, v61
	v_cmp_ne_u16_e64 s0, 0, v20
	v_and_b32_e32 v18, 0xffff, v18
	v_cndmask_b32_e64 v113, 0, -1, s1
	v_cmp_ne_u16_e64 s1, 0, v95
	v_lshlrev_b16 v86, 8, v87
	v_lshlrev_b16 v29, 8, v88
	v_or_b32_e32 v85, v18, v19
	v_and_b32_e32 v18, 0xff, v89
	s_wait_alu 0xf1ff
	v_cndmask_b32_e64 v20, 0, -1, s0
	v_cndmask_b32_e64 v95, 0, -1, s1
	v_cmp_ne_u16_e64 s1, 0, v96
	v_or_b32_e32 v19, v104, v29
	v_or_b32_e32 v18, v18, v86
	v_and_b32_e32 v91, 0xff, v51
	v_cmp_ne_u16_e64 s0, 0, v103
	v_and_b32_e32 v103, 0xff, v63
	s_wait_alu 0xf1ff
	v_cndmask_b32_e64 v96, 0, -1, s1
	v_cmp_ne_u16_e64 s1, 0, v97
	v_and_b32_e32 v18, 0xffff, v18
	v_lshlrev_b32_e32 v19, 16, v19
	v_lshlrev_b16 v104, 8, v20
	v_lshlrev_b16 v35, 8, v90
	v_lshrrev_b16 v94, 4, v67
	s_wait_alu 0xf1ff
	v_cndmask_b32_e64 v97, 0, -1, s1
	v_cmp_ne_u16_e64 s1, 0, v98
	v_or_b32_e32 v87, v18, v19
	v_or_b32_e32 v18, v91, v104
	;; [unrolled: 1-line block ×3, first 2 shown]
	v_bfe_i32 v94, v94, 0, 1
	s_wait_alu 0xf1ff
	v_cndmask_b32_e64 v98, 0, -1, s1
	v_cmp_ne_u16_e64 s1, 0, v99
	v_and_b32_e32 v18, 0xffff, v18
	v_lshlrev_b32_e32 v19, 16, v19
	v_and_b32_e32 v112, 0xff, v64
	v_lshlrev_b16 v91, 8, v92
	s_wait_alu 0xf1ff
	v_cndmask_b32_e64 v99, 0, -1, s1
	v_cmp_ne_u16_e64 s1, 0, v100
	v_or_b32_e32 v90, v18, v19
	v_and_b32_e32 v19, 0xff, v94
	v_lshlrev_b16 v45, 8, v93
	v_bfe_i32 v65, v69, 0, 1
	v_lshrrev_b16 v102, 8, v73
	s_wait_alu 0xf1ff
	v_cndmask_b32_e64 v100, 0, -1, s1
	v_cmp_ne_u16_e64 s1, 0, v101
	v_or_b32_e32 v19, v19, v91
	v_or_b32_e32 v20, v112, v45
	v_lshrrev_b32_e32 v73, 24, v73
	v_and_b32_e32 v105, 0xff, v52
	v_and_b32_e32 v114, 0xff, v65
	s_wait_alu 0xf1ff
	v_cndmask_b32_e64 v101, 0, -1, s1
	v_cmp_ne_u16_e64 s1, 0, v102
	v_lshlrev_b16 v92, 8, v113
	v_lshlrev_b16 v25, 8, v95
	v_and_b32_e32 v19, 0xffff, v19
	v_lshlrev_b32_e32 v20, 16, v20
	v_bfe_i32 v106, v106, 0, 1
	s_wait_alu 0xf1ff
	v_cndmask_b32_e64 v102, 0, -1, s1
	v_cmp_ne_u16_e64 s1, 0, v73
	v_or_b32_e32 v24, v105, v92
	v_or_b32_e32 v95, v19, v20
	v_lshlrev_b16 v20, 8, v99
	v_or_b32_e32 v99, v114, v25
	v_and_b32_e32 v115, 0xff, v66
	s_wait_alu 0xf1ff
	v_cndmask_b32_e64 v73, 0, -1, s1
	v_lshlrev_b16 v93, 8, v96
	v_lshlrev_b16 v18, 8, v97
	v_and_b32_e32 v96, 0xff, v106
	v_and_b32_e32 v24, 0xffff, v24
	v_lshlrev_b32_e32 v99, 16, v99
	v_bfe_i32 v67, v75, 0, 1
	v_bfe_i32 v69, v76, 0, 1
	v_cndmask_b32_e64 v23, 0, -1, s0
	s_wait_alu 0xfffd
	v_cndmask_b32_e64 v110, 0, -1, vcc_lo
	v_or_b32_e32 v99, v24, v99
	v_lshlrev_b16 v24, 8, v73
	v_or_b32_e32 v73, v96, v93
	v_or_b32_e32 v96, v115, v18
	v_and_b32_e32 v75, 0xff, v53
	v_and_b32_e32 v76, 0xff, v54
	;; [unrolled: 1-line block ×4, first 2 shown]
	v_lshlrev_b32_e32 v96, 16, v96
	v_and_b32_e32 v118, 0xff, v68
	v_and_b32_e32 v74, 0xff, v69
	;; [unrolled: 1-line block ×3, first 2 shown]
	v_lshlrev_b16 v97, 8, v98
	v_lshlrev_b16 v98, 8, v100
	v_lshlrev_b16 v19, 8, v101
	v_and_b32_e32 v100, 0xff, v117
	v_lshlrev_b16 v101, 8, v102
	v_lshlrev_b16 v102, 8, v23
	;; [unrolled: 1-line block ×3, first 2 shown]
	v_or_b32_e32 v96, v73, v96
	v_and_b32_e32 v73, 0xff, v121
	v_or_b32_e32 v75, v75, v97
	v_or_b32_e32 v103, v116, v20
	;; [unrolled: 1-line block ×8, first 2 shown]
	v_and_b32_e32 v75, 0xffff, v75
	v_lshlrev_b32_e32 v103, 16, v103
	v_and_b32_e32 v100, 0xffff, v100
	v_lshlrev_b32_e32 v105, 16, v105
	;; [unrolled: 2-line block ×4, first 2 shown]
	v_lshlrev_b32_e32 v30, 2, v30
	v_and_b32_e32 v31, 0x3fc, v31
	v_and_b32_e32 v33, 0x3fc, v33
	;; [unrolled: 1-line block ×3, first 2 shown]
	v_lshlrev_b32_e32 v36, 2, v36
	v_lshlrev_b32_e32 v41, 2, v41
	v_and_b32_e32 v42, 0x3fc, v42
	v_and_b32_e32 v43, 0x3fc, v43
	;; [unrolled: 1-line block ×3, first 2 shown]
	v_lshlrev_b32_e32 v46, 2, v46
	v_and_b32_e32 v47, 0x3fc, v47
	v_and_b32_e32 v48, 0x3fc, v48
	;; [unrolled: 1-line block ×3, first 2 shown]
	v_or_b32_e32 v103, v75, v103
	v_or_b32_e32 v100, v100, v105
	;; [unrolled: 1-line block ×4, first 2 shown]
	global_load_b128 v[73:76], v[4:5], off offset:-32
	v_and_b32_e32 v37, 0x3fc, v37
	v_and_b32_e32 v38, 0x3fc, v38
	;; [unrolled: 1-line block ×3, first 2 shown]
	s_clause 0xf
	global_load_b32 v30, v30, s[2:3]
	global_load_b32 v31, v31, s[2:3]
	;; [unrolled: 1-line block ×16, first 2 shown]
	global_load_b128 v[36:39], v[4:5], off offset:-16
	v_lshlrev_b16 v71, 8, v71
	v_lshlrev_b16 v32, 8, v32
	;; [unrolled: 1-line block ×26, first 2 shown]
	s_wait_loadcnt 0x12
	v_cvt_f32_f16_e32 v12, v12
	v_cmp_le_u32_e64 s0, s20, v8
	s_wait_alu 0xfffe
	s_or_b32 s5, s0, s5
	s_wait_loadcnt 0x10
	v_xor_b32_e32 v30, v30, v78
	global_load_b32 v78, v[4:5], off
	s_wait_loadcnt 0x10
	v_xor_b32_e32 v31, v31, v77
	s_wait_loadcnt 0xf
	v_xor_b32_e32 v33, v33, v80
	;; [unrolled: 2-line block ×7, first 2 shown]
	v_lshlrev_b16 v80, 8, v84
	s_wait_loadcnt 0x7
	v_xor_b32_e32 v43, v43, v99
	s_wait_loadcnt 0x6
	v_xor_b32_e32 v44, v44, v96
	;; [unrolled: 2-line block ×3, first 2 shown]
	v_lshlrev_b16 v96, 8, v31
	v_and_b32_e32 v99, 0xffffff00, v33
	v_and_b32_e32 v103, 0xffffff00, v34
	v_lshlrev_b16 v81, 8, v89
	v_lshlrev_b16 v84, 8, v106
	v_xor_b32_e32 v85, v112, v85
	v_xor_b32_e32 v42, v42, v95
	s_wait_loadcnt 0x4
	v_xor_b32_e32 v47, v47, v100
	s_wait_loadcnt 0x3
	v_xor_b32_e32 v48, v48, v105
	v_lshlrev_b16 v100, 8, v33
	v_and_b32_e32 v106, 0xffffff00, v77
	v_lshlrev_b16 v112, 8, v83
	v_sub_nc_i16 v71, v96, v71 clamp
	v_and_b32_e32 v96, 0xffffff00, v87
	v_sub_nc_i16 v79, v99, v79 clamp
	v_lshlrev_b16 v99, 8, v87
	v_sub_nc_i16 v103, v103, v107 clamp
	v_lshlrev_b16 v107, 8, v41
	v_lshlrev_b16 v82, 8, v94
	s_wait_loadcnt 0x2
	v_xor_b32_e32 v49, v49, v88
	v_and_b32_e32 v88, 0xffffff00, v30
	v_lshlrev_b16 v90, 8, v30
	v_lshlrev_b16 v105, 8, v34
	;; [unrolled: 1-line block ×3, first 2 shown]
	v_sub_nc_i16 v32, v100, v32 clamp
	v_and_b32_e32 v100, 0xffffff00, v41
	v_sub_nc_i16 v106, v106, v108 clamp
	v_lshlrev_b16 v108, 8, v42
	v_sub_nc_i16 v80, v112, v80 clamp
	v_and_b32_e32 v112, 0xffffff00, v44
	v_sub_nc_i16 v86, v96, v86 clamp
	v_lshlrev_b16 v96, 8, v46
	v_sub_nc_i16 v81, v99, v81 clamp
	v_and_b32_e32 v99, 0xffffff00, v47
	v_sub_nc_i16 v51, v107, v51 clamp
	v_and_b32_e32 v107, 0xffffff00, v48
	v_lshrrev_b32_e32 v30, 16, v30
	v_lshrrev_b32_e32 v41, 16, v41
	v_and_b32_e32 v95, 0xffffff00, v31
	v_lshlrev_b16 v110, 8, v77
	v_and_b32_e32 v111, 0xffffff00, v83
	v_sub_nc_i16 v72, v105, v72 clamp
	v_and_b32_e32 v105, 0xffffff00, v42
	v_sub_nc_i16 v50, v113, v50 clamp
	;; [unrolled: 2-line block ×3, first 2 shown]
	v_and_b32_e32 v108, 0xffffff00, v49
	v_lshrrev_b32_e32 v31, 16, v31
	v_lshrrev_b32_e32 v42, 16, v42
	v_sub_nc_i16 v93, v112, v93 clamp
	v_sub_nc_i16 v53, v96, v53 clamp
	;; [unrolled: 1-line block ×4, first 2 shown]
	v_and_b32_e32 v101, 0xffffff00, v30
	v_lshlrev_b16 v30, 8, v30
	v_and_b32_e32 v112, 0xffffff00, v41
	v_lshlrev_b16 v41, 8, v41
	v_lshlrev_b16 v89, 8, v117
	v_sub_nc_i16 v88, v88, v119 clamp
	v_sub_nc_i16 v28, v90, v28 clamp
	;; [unrolled: 1-line block ×3, first 2 shown]
	v_and_b32_e32 v110, 0xffffff00, v43
	v_sub_nc_i16 v109, v111, v109 clamp
	v_lshlrev_b16 v111, 8, v43
	v_lshlrev_b16 v114, 8, v44
	v_sub_nc_i16 v100, v100, v104 clamp
	v_lshlrev_b16 v104, 8, v47
	v_lshrrev_b32_e32 v33, 16, v33
	v_lshrrev_b32_e32 v43, 16, v43
	v_sub_nc_i16 v97, v113, v97 clamp
	v_sub_nc_i16 v99, v108, v102 clamp
	v_and_b32_e32 v102, 0xffffff00, v31
	v_lshlrev_b16 v31, 8, v31
	v_and_b32_e32 v113, 0xffffff00, v42
	v_lshlrev_b16 v42, 8, v42
	v_sub_nc_i16 v21, v101, v21 clamp
	v_sub_nc_i16 v30, v30, v55 clamp
	;; [unrolled: 1-line block ×6, first 2 shown]
	v_lshlrev_b16 v105, 8, v48
	v_lshrrev_b32_e32 v34, 16, v34
	v_lshrrev_b32_e32 v44, 16, v44
	v_sub_nc_i16 v84, v114, v84 clamp
	v_sub_nc_i16 v89, v104, v89 clamp
	v_and_b32_e32 v104, 0xffffff00, v33
	v_lshlrev_b16 v33, 8, v33
	v_and_b32_e32 v114, 0xffffff00, v43
	v_lshlrev_b16 v43, 8, v43
	v_perm_b32 v28, v28, v88, 0xc0c0105
	v_sub_nc_i16 v15, v102, v15 clamp
	v_sub_nc_i16 v31, v31, v56 clamp
	v_perm_b32 v51, v51, v100, 0xc0c0105
	v_sub_nc_i16 v45, v113, v45 clamp
	v_sub_nc_i16 v42, v42, v64 clamp
	v_perm_b32 v21, v30, v21, 0xc0c0105
	v_perm_b32 v30, v41, v35, 0xc0c0105
	v_sub_nc_i16 v92, v110, v92 clamp
	v_lshrrev_b32_e32 v77, 16, v77
	v_lshrrev_b32_e32 v46, 16, v46
	v_sub_nc_i16 v52, v111, v52 clamp
	v_sub_nc_i16 v54, v105, v54 clamp
	v_and_b32_e32 v105, 0xffffff00, v34
	v_lshlrev_b16 v34, 8, v34
	v_and_b32_e32 v88, 0xffffff00, v44
	v_lshlrev_b16 v44, 8, v44
	v_perm_b32 v71, v71, v95, 0xc0c0105
	v_sub_nc_i16 v16, v104, v16 clamp
	v_sub_nc_i16 v33, v33, v57 clamp
	v_perm_b32 v63, v82, v91, 0xc0c0105
	v_sub_nc_i16 v25, v114, v25 clamp
	v_sub_nc_i16 v43, v43, v65 clamp
	v_perm_b32 v15, v31, v15, 0xc0c0105
	v_perm_b32 v31, v42, v45, 0xc0c0105
	v_lshl_or_b32 v21, v21, 16, v28
	v_lshl_or_b32 v28, v30, 16, v51
	v_lshrrev_b32_e32 v83, 16, v83
	v_lshrrev_b32_e32 v47, 16, v47
	v_and_b32_e32 v107, 0xffffff00, v77
	v_lshlrev_b16 v77, 8, v77
	v_and_b32_e32 v101, 0xffffff00, v46
	v_lshlrev_b16 v46, 8, v46
	v_perm_b32 v32, v32, v79, 0xc0c0105
	v_sub_nc_i16 v17, v105, v17 clamp
	v_sub_nc_i16 v34, v34, v58 clamp
	v_perm_b32 v52, v52, v92, 0xc0c0105
	v_sub_nc_i16 v18, v88, v18 clamp
	v_sub_nc_i16 v44, v44, v66 clamp
	v_perm_b32 v16, v33, v16, 0xc0c0105
	v_perm_b32 v25, v43, v25, 0xc0c0105
	v_lshl_or_b32 v15, v15, 16, v71
	v_lshl_or_b32 v30, v31, 16, v63
	v_dot4_i32_iu8 v21, v21, v74, 0 neg_lo:[1,1,0]
	v_dot4_i32_iu8 v28, v28, v74, 0 neg_lo:[1,1,0]
	v_lshlrev_b16 v94, 8, v121
	v_and_b32_e32 v90, 0xffffff00, v85
	v_lshlrev_b16 v110, 8, v49
	v_lshrrev_b32_e32 v85, 16, v85
	v_lshrrev_b32_e32 v48, 16, v48
	v_and_b32_e32 v108, 0xffffff00, v83
	v_lshlrev_b16 v83, 8, v83
	v_and_b32_e32 v55, 0xffffff00, v47
	v_lshlrev_b16 v47, 8, v47
	v_perm_b32 v56, v72, v103, 0xc0c0105
	v_sub_nc_i16 v22, v107, v22 clamp
	v_sub_nc_i16 v57, v77, v60 clamp
	v_perm_b32 v64, v84, v93, 0xc0c0105
	v_sub_nc_i16 v20, v101, v20 clamp
	v_sub_nc_i16 v46, v46, v67 clamp
	v_perm_b32 v17, v34, v17, 0xc0c0105
	v_perm_b32 v18, v44, v18, 0xc0c0105
	v_lshl_or_b32 v16, v16, 16, v32
	v_lshl_or_b32 v25, v25, 16, v52
	v_dot4_i32_iu8 v15, v15, v75, v21 neg_lo:[1,1,0]
	v_dot4_i32_iu8 v21, v30, v75, v28 neg_lo:[1,1,0]
	v_lshrrev_b32_e32 v87, 16, v87
	v_lshrrev_b32_e32 v49, 16, v49
	v_sub_nc_i16 v94, v110, v94 clamp
	v_and_b32_e32 v110, 0xffffff00, v85
	v_lshlrev_b16 v85, 8, v85
	v_and_b32_e32 v95, 0xffffff00, v48
	v_lshlrev_b16 v48, 8, v48
	v_perm_b32 v40, v40, v106, 0xc0c0105
	v_sub_nc_i16 v26, v108, v26 clamp
	v_sub_nc_i16 v60, v83, v62 clamp
	v_perm_b32 v53, v53, v97, 0xc0c0105
	v_sub_nc_i16 v19, v55, v19 clamp
	v_sub_nc_i16 v47, v47, v68 clamp
	v_perm_b32 v22, v57, v22, 0xc0c0105
	v_perm_b32 v20, v46, v20, 0xc0c0105
	v_lshl_or_b32 v17, v17, 16, v56
	v_lshl_or_b32 v18, v18, 16, v64
	v_dot4_i32_iu8 v15, v16, v76, v15 neg_lo:[1,1,0]
	v_dot4_i32_iu8 v16, v25, v76, v21 neg_lo:[1,1,0]
	v_sub_nc_i16 v90, v90, v122 clamp
	v_and_b32_e32 v111, 0xffffff00, v87
	v_lshlrev_b16 v87, 8, v87
	v_and_b32_e32 v102, 0xffffff00, v49
	v_lshlrev_b16 v49, 8, v49
	v_perm_b32 v58, v80, v109, 0xc0c0105
	v_sub_nc_i16 v27, v110, v27 clamp
	v_sub_nc_i16 v59, v85, v59 clamp
	v_perm_b32 v65, v89, v96, 0xc0c0105
	v_sub_nc_i16 v24, v95, v24 clamp
	v_sub_nc_i16 v48, v48, v69 clamp
	v_perm_b32 v26, v60, v26, 0xc0c0105
	v_perm_b32 v19, v47, v19, 0xc0c0105
	v_lshl_or_b32 v22, v22, 16, v40
	v_lshl_or_b32 v20, v20, 16, v53
	s_wait_loadcnt 0x1
	v_dot4_i32_iu8 v15, v17, v36, v15 neg_lo:[1,1,0]
	v_dot4_i32_iu8 v16, v18, v36, v16 neg_lo:[1,1,0]
	v_perm_b32 v50, v50, v90, 0xc0c0105
	v_sub_nc_i16 v29, v111, v29 clamp
	v_sub_nc_i16 v61, v87, v61 clamp
	v_perm_b32 v54, v54, v98, 0xc0c0105
	v_sub_nc_i16 v23, v102, v23 clamp
	v_sub_nc_i16 v49, v49, v70 clamp
	v_perm_b32 v27, v59, v27, 0xc0c0105
	v_perm_b32 v24, v48, v24, 0xc0c0105
	v_lshl_or_b32 v26, v26, 16, v58
	v_lshl_or_b32 v17, v19, 16, v65
	v_dot4_i32_iu8 v15, v22, v37, v15 neg_lo:[1,1,0]
	v_dot4_i32_iu8 v16, v20, v37, v16 neg_lo:[1,1,0]
	v_perm_b32 v62, v81, v86, 0xc0c0105
	v_perm_b32 v55, v94, v99, 0xc0c0105
	;; [unrolled: 1-line block ×4, first 2 shown]
	v_lshl_or_b32 v27, v27, 16, v50
	v_lshl_or_b32 v18, v24, 16, v54
	v_dot4_i32_iu8 v15, v26, v38, v15 neg_lo:[1,1,0]
	v_dot4_i32_iu8 v16, v17, v38, v16 neg_lo:[1,1,0]
	v_lshl_or_b32 v29, v29, 16, v62
	v_lshl_or_b32 v17, v23, 16, v55
	v_lshrrev_b32_e32 v19, 28, v14
	v_dot4_i32_iu8 v15, v27, v39, v15 neg_lo:[1,1,0]
	v_dot4_i32_iu8 v16, v18, v39, v16 neg_lo:[1,1,0]
	v_add_co_u32 v4, vcc_lo, 0x480, v4
	s_wait_alu 0xfffd
	v_add_co_ci_u32_e64 v5, null, 0, v5, vcc_lo
	s_wait_loadcnt 0x0
	v_dot4_i32_iu8 v15, v29, v78, v15 neg_lo:[1,1,0]
	v_dot4_i32_iu8 v17, v17, v78, v16 neg_lo:[1,1,0]
	s_delay_alu instid0(VALU_DEP_2) | instskip(NEXT) | instid1(VALU_DEP_2)
	v_lshrrev_b32_e32 v16, 31, v15
	v_lshrrev_b32_e32 v18, 31, v17
	s_delay_alu instid0(VALU_DEP_2) | instskip(NEXT) | instid1(VALU_DEP_2)
	v_add_nc_u32_e32 v14, v15, v16
	v_add_nc_u32_e32 v16, v17, v18
	v_lshrrev_b32_e32 v18, 28, v13
	s_delay_alu instid0(VALU_DEP_3) | instskip(NEXT) | instid1(VALU_DEP_3)
	v_ashrrev_i32_e32 v13, 1, v14
	v_ashrrev_i32_e32 v14, 1, v16
	s_delay_alu instid0(VALU_DEP_1) | instskip(NEXT) | instid1(VALU_DEP_1)
	v_mad_co_u64_u32 v[15:16], null, v15, v19, v[13:14]
	v_mad_co_u64_u32 v[13:14], null, v17, v18, v[14:15]
	v_lshrrev_b32_e32 v14, 31, v15
	v_cvt_f32_f16_e32 v17, v73
	s_delay_alu instid0(VALU_DEP_2) | instskip(NEXT) | instid1(VALU_DEP_4)
	v_add_nc_u32_e32 v14, v15, v14
	v_lshrrev_b32_e32 v16, 31, v13
	s_delay_alu instid0(VALU_DEP_3) | instskip(SKIP_1) | instid1(VALU_DEP_4)
	v_mul_f32_e32 v12, v12, v17
	v_mul_f32_e32 v11, v11, v17
	v_ashrrev_i32_e32 v14, 1, v14
	s_delay_alu instid0(VALU_DEP_4) | instskip(NEXT) | instid1(VALU_DEP_2)
	v_add_nc_u32_e32 v13, v13, v16
	v_cvt_f32_i32_e32 v14, v14
	s_delay_alu instid0(VALU_DEP_2) | instskip(NEXT) | instid1(VALU_DEP_2)
	v_ashrrev_i32_e32 v13, 1, v13
	v_fmac_f32_e32 v1, v12, v14
	s_delay_alu instid0(VALU_DEP_2) | instskip(NEXT) | instid1(VALU_DEP_1)
	v_cvt_f32_i32_e32 v13, v13
	v_fmac_f32_e32 v0, v11, v13
	s_wait_alu 0xfffe
	s_and_not1_b32 exec_lo, exec_lo, s5
	s_cbranch_execnz .LBB192_3
; %bb.4:
	s_or_b32 exec_lo, exec_lo, s5
.LBB192_5:
	s_delay_alu instid0(SALU_CYCLE_1) | instskip(SKIP_1) | instid1(VALU_DEP_1)
	s_or_b32 exec_lo, exec_lo, s21
	v_mbcnt_lo_u32_b32 v2, -1, 0
	v_xor_b32_e32 v3, 16, v2
	v_xor_b32_e32 v5, 8, v2
	s_delay_alu instid0(VALU_DEP_2) | instskip(SKIP_2) | instid1(VALU_DEP_3)
	v_cmp_gt_i32_e32 vcc_lo, 32, v3
	s_wait_alu 0xfffd
	v_cndmask_b32_e32 v3, v2, v3, vcc_lo
	v_cmp_gt_i32_e32 vcc_lo, 32, v5
	s_delay_alu instid0(VALU_DEP_2)
	v_lshlrev_b32_e32 v3, 2, v3
	ds_bpermute_b32 v4, v3, v1
	ds_bpermute_b32 v3, v3, v0
	s_wait_alu 0xfffd
	v_cndmask_b32_e32 v5, v2, v5, vcc_lo
	s_wait_dscnt 0x0
	v_dual_add_f32 v1, v1, v4 :: v_dual_add_f32 v0, v0, v3
	s_delay_alu instid0(VALU_DEP_2) | instskip(SKIP_3) | instid1(VALU_DEP_1)
	v_lshlrev_b32_e32 v5, 2, v5
	ds_bpermute_b32 v3, v5, v1
	ds_bpermute_b32 v4, v5, v0
	v_xor_b32_e32 v5, 4, v2
	v_cmp_gt_i32_e32 vcc_lo, 32, v5
	s_wait_alu 0xfffd
	v_cndmask_b32_e32 v5, v2, v5, vcc_lo
	s_delay_alu instid0(VALU_DEP_1)
	v_lshlrev_b32_e32 v5, 2, v5
	s_wait_dscnt 0x0
	v_dual_add_f32 v1, v1, v3 :: v_dual_add_f32 v0, v0, v4
	ds_bpermute_b32 v3, v5, v1
	ds_bpermute_b32 v4, v5, v0
	v_xor_b32_e32 v5, 2, v2
	s_delay_alu instid0(VALU_DEP_1) | instskip(SKIP_2) | instid1(VALU_DEP_1)
	v_cmp_gt_i32_e32 vcc_lo, 32, v5
	s_wait_alu 0xfffd
	v_cndmask_b32_e32 v5, v2, v5, vcc_lo
	v_lshlrev_b32_e32 v5, 2, v5
	s_wait_dscnt 0x1
	v_add_f32_e32 v1, v1, v3
	s_wait_dscnt 0x0
	v_add_f32_e32 v3, v0, v4
	ds_bpermute_b32 v0, v5, v1
	ds_bpermute_b32 v4, v5, v3
	v_xor_b32_e32 v5, 1, v2
	s_delay_alu instid0(VALU_DEP_1) | instskip(SKIP_4) | instid1(VALU_DEP_2)
	v_cmp_gt_i32_e32 vcc_lo, 32, v5
	s_wait_alu 0xfffd
	v_cndmask_b32_e32 v2, v2, v5, vcc_lo
	v_cmp_gt_u32_e32 vcc_lo, 2, v7
	s_wait_dscnt 0x1
	v_dual_add_f32 v0, v1, v0 :: v_dual_lshlrev_b32 v5, 2, v2
	s_wait_dscnt 0x0
	s_wait_alu 0xfffe
	v_dual_add_f32 v1, v3, v4 :: v_dual_add_nc_u32 v4, s11, v7
	ds_bpermute_b32 v2, v5, v0
	ds_bpermute_b32 v3, v5, v1
	v_cmp_gt_u32_e64 s0, s4, v4
	s_and_b32 s0, vcc_lo, s0
	s_wait_alu 0xfffe
	s_and_b32 exec_lo, exec_lo, s0
	s_cbranch_execz .LBB192_7
; %bb.6:
	v_mul_lo_u32 v4, s7, v6
	v_or_b32_e32 v6, s11, v7
	s_mul_i32 s0, s10, ttmp7
	s_wait_dscnt 0x1
	v_dual_mov_b32 v5, 0 :: v_dual_add_f32 v2, v0, v2
	s_wait_dscnt 0x0
	v_add_f32_e32 v3, v1, v3
	v_cmp_eq_u32_e32 vcc_lo, 1, v7
	s_wait_alu 0xfffe
	v_add3_u32 v4, v6, v4, s0
	s_wait_alu 0xfffd
	v_cndmask_b32_e32 v2, v2, v3, vcc_lo
	s_delay_alu instid0(VALU_DEP_2) | instskip(NEXT) | instid1(VALU_DEP_1)
	v_lshlrev_b64_e32 v[0:1], 2, v[4:5]
	v_add_co_u32 v0, vcc_lo, s18, v0
	s_wait_alu 0xfffd
	s_delay_alu instid0(VALU_DEP_2)
	v_add_co_ci_u32_e64 v1, null, s19, v1, vcc_lo
	global_store_b32 v[0:1], v2, off
.LBB192_7:
	s_nop 0
	s_sendmsg sendmsg(MSG_DEALLOC_VGPRS)
	s_endpgm
	.section	.rodata,"a",@progbits
	.p2align	6, 0x0
	.amdhsa_kernel _ZL17mul_mat_vec_q_moeIL9ggml_type18ELi2EEvPKvS2_PKiPfj15HIP_vector_typeIjLj3EEjjjjjjjjj
		.amdhsa_group_segment_fixed_size 0
		.amdhsa_private_segment_fixed_size 0
		.amdhsa_kernarg_size 84
		.amdhsa_user_sgpr_count 2
		.amdhsa_user_sgpr_dispatch_ptr 0
		.amdhsa_user_sgpr_queue_ptr 0
		.amdhsa_user_sgpr_kernarg_segment_ptr 1
		.amdhsa_user_sgpr_dispatch_id 0
		.amdhsa_user_sgpr_private_segment_size 0
		.amdhsa_wavefront_size32 1
		.amdhsa_uses_dynamic_stack 0
		.amdhsa_enable_private_segment 0
		.amdhsa_system_sgpr_workgroup_id_x 1
		.amdhsa_system_sgpr_workgroup_id_y 1
		.amdhsa_system_sgpr_workgroup_id_z 0
		.amdhsa_system_sgpr_workgroup_info 0
		.amdhsa_system_vgpr_workitem_id 1
		.amdhsa_next_free_vgpr 123
		.amdhsa_next_free_sgpr 24
		.amdhsa_reserve_vcc 1
		.amdhsa_float_round_mode_32 0
		.amdhsa_float_round_mode_16_64 0
		.amdhsa_float_denorm_mode_32 3
		.amdhsa_float_denorm_mode_16_64 3
		.amdhsa_fp16_overflow 0
		.amdhsa_workgroup_processor_mode 1
		.amdhsa_memory_ordered 1
		.amdhsa_forward_progress 1
		.amdhsa_inst_pref_size 50
		.amdhsa_round_robin_scheduling 0
		.amdhsa_exception_fp_ieee_invalid_op 0
		.amdhsa_exception_fp_denorm_src 0
		.amdhsa_exception_fp_ieee_div_zero 0
		.amdhsa_exception_fp_ieee_overflow 0
		.amdhsa_exception_fp_ieee_underflow 0
		.amdhsa_exception_fp_ieee_inexact 0
		.amdhsa_exception_int_div_zero 0
	.end_amdhsa_kernel
	.section	.text._ZL17mul_mat_vec_q_moeIL9ggml_type18ELi2EEvPKvS2_PKiPfj15HIP_vector_typeIjLj3EEjjjjjjjjj,"axG",@progbits,_ZL17mul_mat_vec_q_moeIL9ggml_type18ELi2EEvPKvS2_PKiPfj15HIP_vector_typeIjLj3EEjjjjjjjjj,comdat
.Lfunc_end192:
	.size	_ZL17mul_mat_vec_q_moeIL9ggml_type18ELi2EEvPKvS2_PKiPfj15HIP_vector_typeIjLj3EEjjjjjjjjj, .Lfunc_end192-_ZL17mul_mat_vec_q_moeIL9ggml_type18ELi2EEvPKvS2_PKiPfj15HIP_vector_typeIjLj3EEjjjjjjjjj
                                        ; -- End function
	.set _ZL17mul_mat_vec_q_moeIL9ggml_type18ELi2EEvPKvS2_PKiPfj15HIP_vector_typeIjLj3EEjjjjjjjjj.num_vgpr, 123
	.set _ZL17mul_mat_vec_q_moeIL9ggml_type18ELi2EEvPKvS2_PKiPfj15HIP_vector_typeIjLj3EEjjjjjjjjj.num_agpr, 0
	.set _ZL17mul_mat_vec_q_moeIL9ggml_type18ELi2EEvPKvS2_PKiPfj15HIP_vector_typeIjLj3EEjjjjjjjjj.numbered_sgpr, 24
	.set _ZL17mul_mat_vec_q_moeIL9ggml_type18ELi2EEvPKvS2_PKiPfj15HIP_vector_typeIjLj3EEjjjjjjjjj.num_named_barrier, 0
	.set _ZL17mul_mat_vec_q_moeIL9ggml_type18ELi2EEvPKvS2_PKiPfj15HIP_vector_typeIjLj3EEjjjjjjjjj.private_seg_size, 0
	.set _ZL17mul_mat_vec_q_moeIL9ggml_type18ELi2EEvPKvS2_PKiPfj15HIP_vector_typeIjLj3EEjjjjjjjjj.uses_vcc, 1
	.set _ZL17mul_mat_vec_q_moeIL9ggml_type18ELi2EEvPKvS2_PKiPfj15HIP_vector_typeIjLj3EEjjjjjjjjj.uses_flat_scratch, 0
	.set _ZL17mul_mat_vec_q_moeIL9ggml_type18ELi2EEvPKvS2_PKiPfj15HIP_vector_typeIjLj3EEjjjjjjjjj.has_dyn_sized_stack, 0
	.set _ZL17mul_mat_vec_q_moeIL9ggml_type18ELi2EEvPKvS2_PKiPfj15HIP_vector_typeIjLj3EEjjjjjjjjj.has_recursion, 0
	.set _ZL17mul_mat_vec_q_moeIL9ggml_type18ELi2EEvPKvS2_PKiPfj15HIP_vector_typeIjLj3EEjjjjjjjjj.has_indirect_call, 0
	.section	.AMDGPU.csdata,"",@progbits
; Kernel info:
; codeLenInByte = 6284
; TotalNumSgprs: 26
; NumVgprs: 123
; ScratchSize: 0
; MemoryBound: 0
; FloatMode: 240
; IeeeMode: 1
; LDSByteSize: 0 bytes/workgroup (compile time only)
; SGPRBlocks: 0
; VGPRBlocks: 15
; NumSGPRsForWavesPerEU: 26
; NumVGPRsForWavesPerEU: 123
; Occupancy: 10
; WaveLimiterHint : 1
; COMPUTE_PGM_RSRC2:SCRATCH_EN: 0
; COMPUTE_PGM_RSRC2:USER_SGPR: 2
; COMPUTE_PGM_RSRC2:TRAP_HANDLER: 0
; COMPUTE_PGM_RSRC2:TGID_X_EN: 1
; COMPUTE_PGM_RSRC2:TGID_Y_EN: 1
; COMPUTE_PGM_RSRC2:TGID_Z_EN: 0
; COMPUTE_PGM_RSRC2:TIDIG_COMP_CNT: 1
	.section	.text._ZL13mul_mat_vec_qIL9ggml_type18ELi1ELb1ELb1EEvPKvS2_PKi31ggml_cuda_mm_fusion_args_devicePfj15HIP_vector_typeIjLj3EEjjjS8_jjjS8_jjjj,"axG",@progbits,_ZL13mul_mat_vec_qIL9ggml_type18ELi1ELb1ELb1EEvPKvS2_PKi31ggml_cuda_mm_fusion_args_devicePfj15HIP_vector_typeIjLj3EEjjjS8_jjjS8_jjjj,comdat
	.globl	_ZL13mul_mat_vec_qIL9ggml_type18ELi1ELb1ELb1EEvPKvS2_PKi31ggml_cuda_mm_fusion_args_devicePfj15HIP_vector_typeIjLj3EEjjjS8_jjjS8_jjjj ; -- Begin function _ZL13mul_mat_vec_qIL9ggml_type18ELi1ELb1ELb1EEvPKvS2_PKi31ggml_cuda_mm_fusion_args_devicePfj15HIP_vector_typeIjLj3EEjjjS8_jjjS8_jjjj
	.p2align	8
	.type	_ZL13mul_mat_vec_qIL9ggml_type18ELi1ELb1ELb1EEvPKvS2_PKi31ggml_cuda_mm_fusion_args_devicePfj15HIP_vector_typeIjLj3EEjjjS8_jjjS8_jjjj,@function
_ZL13mul_mat_vec_qIL9ggml_type18ELi1ELb1ELb1EEvPKvS2_PKi31ggml_cuda_mm_fusion_args_devicePfj15HIP_vector_typeIjLj3EEjjjS8_jjjS8_jjjj: ; @_ZL13mul_mat_vec_qIL9ggml_type18ELi1ELb1ELb1EEvPKvS2_PKi31ggml_cuda_mm_fusion_args_devicePfj15HIP_vector_typeIjLj3EEjjjS8_jjjS8_jjjj
; %bb.0:
	s_clause 0x3
	s_load_b256 s[8:15], s[0:1], 0x0
	s_load_b128 s[16:19], s[0:1], 0x20
	s_load_b128 s[20:23], s[0:1], 0x40
	;; [unrolled: 1-line block ×3, first 2 shown]
	s_and_b32 s27, ttmp7, 0xffff
	s_wait_kmcnt 0x0
	s_cmp_lg_u64 s[12:13], 0
	s_cselect_b32 s2, -1, 0
	s_cmp_eq_u64 s[12:13], 0
	s_cbranch_scc1 .LBB193_24
; %bb.1:
	s_lshl_b32 s3, s27, 2
	s_load_b32 s28, s[12:13], s3 offset:0x0
	s_clause 0x1
	s_load_b32 s30, s[0:1], 0x50
	s_load_b32 s29, s[0:1], 0x78
	s_cbranch_execnz .LBB193_3
.LBB193_2:
	s_load_b64 s[12:13], s[0:1], 0x5c
	s_wait_kmcnt 0x0
	s_mul_hi_u32 s3, s12, s27
	s_delay_alu instid0(SALU_CYCLE_1) | instskip(NEXT) | instid1(SALU_CYCLE_1)
	s_add_co_i32 s3, s27, s3
	s_lshr_b32 s28, s3, s13
.LBB193_3:
	s_and_not1_b32 vcc_lo, exec_lo, s2
	s_mov_b32 s3, s27
	s_mov_b32 s31, s27
	s_cbranch_vccnz .LBB193_5
; %bb.4:
	s_mul_hi_u32 s2, s21, s27
	s_wait_kmcnt 0x0
	s_mov_b32 s3, s28
	s_add_co_i32 s2, s27, s2
	s_delay_alu instid0(SALU_CYCLE_1) | instskip(NEXT) | instid1(SALU_CYCLE_1)
	s_lshr_b32 s2, s2, s22
	s_mul_i32 s2, s2, s23
	s_delay_alu instid0(SALU_CYCLE_1)
	s_sub_co_i32 s31, s27, s2
.LBB193_5:
	s_load_b96 s[24:26], s[0:1], 0x80
	v_bfe_u32 v13, v0, 10, 10
	v_dual_mov_b32 v11, 0 :: v_dual_and_b32 v10, 0x3ff, v0
	s_lshr_b32 s21, ttmp7, 16
	s_cmp_lg_u64 s[14:15], 0
	v_mov_b32_e32 v12, 0
	s_delay_alu instid0(VALU_DEP_2) | instskip(SKIP_3) | instid1(VALU_DEP_1)
	v_or_b32_e32 v0, v10, v13
	s_cselect_b32 s2, -1, 0
	s_mov_b32 s23, 0
	s_mul_i32 s12, s3, s6
	v_cmp_eq_u32_e32 vcc_lo, 0, v0
	s_and_b32 s13, s2, vcc_lo
	s_delay_alu instid0(SALU_CYCLE_1)
	s_and_saveexec_b32 s3, s13
	s_cbranch_execz .LBB193_7
; %bb.6:
	s_wait_kmcnt 0x0
	s_mul_i32 s22, s26, s21
	s_mov_b32 s13, s23
	s_lshl_b64 s[22:23], s[22:23], 2
	s_mov_b32 s34, ttmp9
	s_lshl_b64 s[36:37], s[12:13], 2
	s_add_nc_u64 s[14:15], s[14:15], s[22:23]
	s_ashr_i32 s35, ttmp9, 31
	v_lshlrev_b32_e32 v0, 2, v10
	s_add_nc_u64 s[14:15], s[14:15], s[36:37]
	s_lshl_b64 s[22:23], s[34:35], 2
	s_delay_alu instid0(SALU_CYCLE_1)
	s_add_nc_u64 s[14:15], s[14:15], s[22:23]
	global_load_b32 v12, v0, s[14:15]
.LBB193_7:
	s_or_b32 exec_lo, exec_lo, s3
	s_cmp_lg_u64 s[16:17], 0
	s_cselect_b32 s14, -1, 0
	s_cmp_lg_u64 s[18:19], 0
	s_cselect_b32 s3, -1, 0
	s_delay_alu instid0(SALU_CYCLE_1) | instskip(NEXT) | instid1(SALU_CYCLE_1)
	s_and_b32 s13, s3, s14
	s_and_b32 s13, s13, vcc_lo
	s_delay_alu instid0(SALU_CYCLE_1)
	s_and_saveexec_b32 s15, s13
	s_cbranch_execz .LBB193_9
; %bb.8:
	s_wait_kmcnt 0x0
	s_mul_i32 s34, s26, s21
	s_mov_b32 s35, 0
	s_mov_b32 s22, ttmp9
	s_lshl_b64 s[36:37], s[34:35], 2
	s_mov_b32 s13, s35
	s_add_nc_u64 s[18:19], s[18:19], s[36:37]
	s_lshl_b64 s[12:13], s[12:13], 2
	s_ashr_i32 s23, ttmp9, 31
	v_lshlrev_b32_e32 v0, 2, v10
	s_add_nc_u64 s[12:13], s[18:19], s[12:13]
	s_lshl_b64 s[18:19], s[22:23], 2
	s_delay_alu instid0(SALU_CYCLE_1)
	s_add_nc_u64 s[12:13], s[12:13], s[18:19]
	global_load_b32 v11, v0, s[12:13]
.LBB193_9:
	s_or_b32 exec_lo, exec_lo, s15
	v_lshl_add_u32 v0, v13, 5, v10
	v_dual_mov_b32 v16, 0 :: v_dual_mov_b32 v15, 0
	v_cndmask_b32_e64 v14, 0, 1, s14
	s_lshr_b32 s15, s20, 8
	s_delay_alu instid0(VALU_DEP_3) | instskip(SKIP_2) | instid1(VALU_DEP_1)
	v_lshrrev_b32_e32 v17, 3, v0
	s_mov_b32 s18, exec_lo
	s_wait_alu 0xfffe
	v_cmpx_gt_u32_e64 s15, v17
	s_cbranch_execz .LBB193_15
; %bb.10:
	v_lshrrev_b32_e32 v0, 3, v0
	s_mul_i32 s12, s31, s5
	s_mov_b32 s13, 0
	s_wait_kmcnt 0x0
	s_mul_i32 s5, s25, s21
	s_mul_u64 s[22:23], s[12:13], 36
	v_dual_mov_b32 v16, 0 :: v_dual_and_b32 v3, 7, v10
	v_mad_co_u64_u32 v[0:1], null, 0x120, v0, s[22:23]
	v_dual_mov_b32 v15, 0 :: v_dual_lshlrev_b32 v2, 1, v10
	s_mul_i32 s30, s30, ttmp9
	s_delay_alu instid0(VALU_DEP_1) | instskip(NEXT) | instid1(VALU_DEP_3)
	v_and_b32_e32 v2, 14, v2
	v_mad_co_u64_u32 v[0:1], null, s5, 36, v[0:1]
	s_mul_hi_u32 s5, s7, s21
	s_mul_i32 s7, s28, s4
	s_wait_alu 0xfffe
	s_add_co_i32 s5, s21, s5
	v_lshlrev_b32_e32 v18, 1, v2
	s_wait_alu 0xfffe
	s_lshr_b32 s4, s5, s29
	v_mad_co_u64_u32 v[0:1], null, v3, 36, v[0:1]
	v_lshlrev_b32_e32 v3, 1, v2
	s_wait_alu 0xfffe
	s_mul_i32 s4, s4, s24
	s_wait_alu 0xfffe
	s_add_co_i32 s4, s4, s30
	v_lshlrev_b32_e32 v19, 1, v3
	s_delay_alu instid0(VALU_DEP_3) | instskip(NEXT) | instid1(VALU_DEP_1)
	v_add_co_u32 v0, vcc_lo, s10, v0
	v_add_co_ci_u32_e64 v1, null, s11, v1, vcc_lo
	s_wait_alu 0xfffe
	s_add_co_i32 s7, s7, s4
	s_delay_alu instid0(VALU_DEP_2)
	v_add_co_u32 v8, vcc_lo, v0, 32
	s_wait_alu 0xfffd
	v_add_co_ci_u32_e64 v9, null, 0, v1, vcc_lo
	s_branch .LBB193_12
.LBB193_11:                             ;   in Loop: Header=BB193_12 Depth=1
	s_wait_loadcnt 0x9
	v_and_b32_e32 v31, 0xff, v20
	v_bfe_u32 v32, v20, 7, 8
	v_add_nc_u32_e32 v17, 4, v17
	v_add_co_u32 v8, s4, 0x480, v8
	s_delay_alu instid0(VALU_DEP_4) | instskip(NEXT) | instid1(VALU_DEP_4)
	v_bcnt_u32_b32 v33, v31, 0
	v_bcnt_u32_b32 v34, v32, 0
	s_wait_alu 0xf1ff
	v_add_co_ci_u32_e64 v9, null, 0, v9, s4
	s_delay_alu instid0(VALU_DEP_3) | instskip(NEXT) | instid1(VALU_DEP_3)
	v_and_b32_e32 v33, 1, v33
	v_and_b32_e32 v34, 1, v34
	s_delay_alu instid0(VALU_DEP_2) | instskip(NEXT) | instid1(VALU_DEP_2)
	v_lshlrev_b32_e32 v33, 7, v33
	v_lshlrev_b32_e32 v34, 7, v34
	s_delay_alu instid0(VALU_DEP_2) | instskip(NEXT) | instid1(VALU_DEP_2)
	v_xor_b32_e32 v31, v33, v31
	v_xor_b32_e32 v32, v34, v32
	s_delay_alu instid0(VALU_DEP_2) | instskip(NEXT) | instid1(VALU_DEP_2)
	v_mul_lo_u32 v31, 0x1010101, v31
	v_mul_lo_u32 v32, 0x1010101, v32
	s_delay_alu instid0(VALU_DEP_2)
	v_and_b32_e32 v33, 0x8040201, v31
	v_and_b32_e32 v36, 0x80402010, v31
	v_lshrrev_b32_e32 v34, 18, v31
	v_bfe_i32 v35, v31, 0, 1
	v_lshrrev_b32_e32 v31, 22, v31
	v_lshrrev_b16 v40, 8, v33
	v_lshrrev_b32_e32 v33, 24, v33
	v_lshrrev_b16 v42, 8, v36
	v_lshrrev_b32_e32 v43, 24, v36
	v_bfe_i32 v34, v34, 0, 1
	v_cmp_ne_u16_e32 vcc_lo, 0, v40
	v_lshrrev_b16 v36, 4, v36
	v_and_b32_e32 v41, 0xff, v35
	v_bfe_i32 v31, v31, 0, 1
	v_and_b32_e32 v46, 0xff, v34
	s_wait_alu 0xfffd
	v_cndmask_b32_e64 v40, 0, -1, vcc_lo
	v_cmp_ne_u16_e32 vcc_lo, 0, v33
	v_bfe_i32 v36, v36, 0, 1
	v_and_b32_e32 v37, 0x8040201, v32
	v_and_b32_e32 v47, 0xff, v31
	v_lshlrev_b16 v40, 8, v40
	s_wait_alu 0xfffd
	v_cndmask_b32_e64 v33, 0, -1, vcc_lo
	v_cmp_ne_u16_e32 vcc_lo, 0, v42
	v_and_b32_e32 v48, 0xff, v36
	v_lshrrev_b16 v44, 8, v37
	v_or_b32_e32 v41, v41, v40
	v_lshlrev_b16 v33, 8, v33
	s_wait_alu 0xfffd
	v_cndmask_b32_e64 v42, 0, -1, vcc_lo
	v_cmp_ne_u16_e32 vcc_lo, 0, v43
	v_lshrrev_b32_e32 v37, 24, v37
	v_and_b32_e32 v41, 0xffff, v41
	v_or_b32_e32 v46, v46, v33
	v_lshlrev_b16 v42, 8, v42
	s_wait_alu 0xfffd
	v_cndmask_b32_e64 v43, 0, -1, vcc_lo
	v_cmp_ne_u16_e32 vcc_lo, 0, v44
	v_lshlrev_b16 v35, 8, v35
	v_lshlrev_b32_e32 v46, 16, v46
	v_or_b32_e32 v48, v48, v42
	v_lshlrev_b16 v43, 8, v43
	s_wait_alu 0xfffd
	v_cndmask_b32_e64 v44, 0, -1, vcc_lo
	v_lshrrev_b32_e32 v38, 18, v32
	v_or_b32_e32 v41, v41, v46
	v_and_b32_e32 v48, 0xffff, v48
	v_or_b32_e32 v47, v47, v43
	v_cmp_ne_u16_e32 vcc_lo, 0, v37
	v_lshlrev_b16 v34, 8, v34
	s_wait_loadcnt 0x7
	v_xor_b32_e32 v30, v30, v41
	v_lshlrev_b16 v41, 8, v44
	v_lshlrev_b32_e32 v47, 16, v47
	v_bfe_i32 v39, v32, 0, 1
	v_bfe_i32 v38, v38, 0, 1
	v_and_b32_e32 v44, 0xffffff00, v30
	s_wait_alu 0xfffd
	v_cndmask_b32_e64 v37, 0, -1, vcc_lo
	v_or_b32_e32 v47, v48, v47
	v_lshlrev_b16 v36, 8, v36
	v_lshlrev_b16 v31, 8, v31
	v_sub_nc_i16 v40, v44, v40 clamp
	v_and_b32_e32 v45, 0xff, v39
	s_wait_loadcnt 0x6
	v_xor_b32_e32 v29, v29, v47
	v_lshlrev_b16 v47, 8, v30
	v_lshrrev_b32_e32 v30, 16, v30
	v_and_b32_e32 v46, 0xff, v38
	v_lshlrev_b16 v37, 8, v37
	v_lshrrev_b32_e32 v48, 16, v29
	v_sub_nc_i16 v35, v47, v35 clamp
	v_and_b32_e32 v44, 0xffffff00, v30
	v_lshlrev_b16 v30, 8, v30
	v_and_b32_e32 v49, 0xffffff00, v29
	v_lshlrev_b16 v29, 8, v29
	v_perm_b32 v35, v35, v40, 0xc0c0105
	v_sub_nc_i16 v33, v44, v33 clamp
	v_sub_nc_i16 v30, v30, v34 clamp
	v_and_b32_e32 v34, 0xffffff00, v48
	v_lshlrev_b16 v40, 8, v48
	v_sub_nc_i16 v42, v49, v42 clamp
	v_sub_nc_i16 v29, v29, v36 clamp
	v_perm_b32 v30, v30, v33, 0xc0c0105
	v_sub_nc_i16 v34, v34, v43 clamp
	v_sub_nc_i16 v31, v40, v31 clamp
	v_or_b32_e32 v44, v45, v41
	v_or_b32_e32 v45, v46, v37
	v_perm_b32 v29, v29, v42, 0xc0c0105
	v_lshl_or_b32 v30, v30, 16, v35
	v_perm_b32 v31, v31, v34, 0xc0c0105
	v_and_b32_e32 v36, 0xffff, v44
	v_lshlrev_b32_e32 v40, 16, v45
	v_lshlrev_b16 v34, 8, v39
	v_dot4_i32_iu8 v5, v30, v5, 0 neg_lo:[1,1,0]
	v_lshl_or_b32 v29, v31, 16, v29
	v_bfe_u32 v30, v20, 14, 8
	v_or_b32_e32 v33, v36, v40
	v_lshlrev_b16 v38, 8, v38
	s_delay_alu instid0(VALU_DEP_4)
	v_dot4_i32_iu8 v5, v29, v6, v5 neg_lo:[1,1,0]
	v_and_b32_e32 v29, 0x80402010, v32
	s_wait_loadcnt 0x5
	v_xor_b32_e32 v28, v28, v33
	v_bcnt_u32_b32 v33, v30, 0
	v_lshrrev_b32_e32 v32, 22, v32
	v_lshrrev_b16 v36, 8, v29
	v_lshrrev_b16 v35, 4, v29
	s_delay_alu instid0(VALU_DEP_4)
	v_and_b32_e32 v33, 1, v33
	v_lshrrev_b32_e32 v29, 24, v29
	v_bfe_i32 v32, v32, 0, 1
	v_cmp_ne_u16_e32 vcc_lo, 0, v36
	v_bfe_i32 v35, v35, 0, 1
	v_lshlrev_b32_e32 v33, 7, v33
	v_and_b32_e32 v31, 0xffffff00, v28
	v_and_b32_e32 v39, 0xff, v32
	s_wait_alu 0xfffd
	v_cndmask_b32_e64 v36, 0, -1, vcc_lo
	v_cmp_ne_u16_e32 vcc_lo, 0, v29
	v_xor_b32_e32 v30, v33, v30
	v_and_b32_e32 v33, 0xff, v35
	v_lshrrev_b32_e32 v6, 16, v28
	v_lshlrev_b16 v36, 8, v36
	s_wait_alu 0xfffd
	v_cndmask_b32_e64 v29, 0, -1, vcc_lo
	v_mul_lo_u32 v30, 0x1010101, v30
	v_lshlrev_b16 v28, 8, v28
	v_sub_nc_i16 v31, v31, v41 clamp
	v_or_b32_e32 v33, v33, v36
	v_lshlrev_b16 v29, 8, v29
	v_lshlrev_b16 v32, 8, v32
	v_sub_nc_i16 v28, v28, v34 clamp
	v_and_b32_e32 v34, 0xffffff00, v6
	v_and_b32_e32 v40, 0x8040201, v30
	v_or_b32_e32 v39, v39, v29
	v_and_b32_e32 v33, 0xffff, v33
	v_lshlrev_b16 v6, 8, v6
	v_perm_b32 v28, v28, v31, 0xc0c0105
	v_sub_nc_i16 v31, v34, v37 clamp
	v_lshlrev_b32_e32 v39, 16, v39
	v_lshrrev_b16 v34, 8, v40
	v_sub_nc_i16 v6, v6, v38 clamp
	v_lshrrev_b32_e32 v38, 24, v40
	v_lshrrev_b32_e32 v37, 18, v30
	v_or_b32_e32 v33, v33, v39
	v_cmp_ne_u16_e32 vcc_lo, 0, v34
	v_perm_b32 v6, v6, v31, 0xc0c0105
	v_bfe_i32 v39, v30, 0, 1
	v_bfe_i32 v37, v37, 0, 1
	s_wait_loadcnt 0x4
	v_xor_b32_e32 v27, v27, v33
	s_wait_alu 0xfffd
	v_cndmask_b32_e64 v34, 0, -1, vcc_lo
	v_cmp_ne_u16_e32 vcc_lo, 0, v38
	v_and_b32_e32 v33, 0xff, v39
	v_and_b32_e32 v40, 0xff, v37
	v_lshrrev_b32_e32 v31, 16, v27
	v_lshlrev_b16 v34, 8, v34
	s_wait_alu 0xfffd
	v_cndmask_b32_e64 v38, 0, -1, vcc_lo
	v_lshl_or_b32 v6, v6, 16, v28
	v_and_b32_e32 v41, 0xffffff00, v27
	v_and_b32_e32 v42, 0xffffff00, v31
	v_lshlrev_b16 v31, 8, v31
	v_lshlrev_b16 v38, 8, v38
	v_or_b32_e32 v33, v33, v34
	v_lshlrev_b16 v27, 8, v27
	v_sub_nc_i16 v29, v42, v29 clamp
	v_sub_nc_i16 v31, v31, v32 clamp
	v_and_b32_e32 v32, 0x80402010, v30
	v_or_b32_e32 v40, v40, v38
	v_and_b32_e32 v33, 0xffff, v33
	v_lshlrev_b16 v35, 8, v35
	v_perm_b32 v28, v31, v29, 0xc0c0105
	v_lshrrev_b16 v31, 8, v32
	v_lshlrev_b32_e32 v40, 16, v40
	v_lshrrev_b16 v29, 4, v32
	v_lshrrev_b32_e32 v32, 24, v32
	v_lshrrev_b32_e32 v30, 22, v30
	v_cmp_ne_u16_e32 vcc_lo, 0, v31
	v_or_b32_e32 v33, v33, v40
	v_sub_nc_i16 v36, v41, v36 clamp
	v_sub_nc_i16 v27, v27, v35 clamp
	v_bfe_i32 v29, v29, 0, 1
	s_wait_alu 0xfffd
	v_cndmask_b32_e64 v31, 0, -1, vcc_lo
	v_cmp_ne_u16_e32 vcc_lo, 0, v32
	s_wait_loadcnt 0x3
	v_xor_b32_e32 v26, v26, v33
	v_bfe_u32 v35, v20, 21, 8
	v_bfe_i32 v30, v30, 0, 1
	v_perm_b32 v27, v27, v36, 0xc0c0105
	s_wait_alu 0xfffd
	v_cndmask_b32_e64 v32, 0, -1, vcc_lo
	v_and_b32_e32 v33, 0xffffff00, v26
	v_and_b32_e32 v36, 0xff, v29
	v_lshlrev_b16 v31, 8, v31
	v_bcnt_u32_b32 v41, v35, 0
	v_and_b32_e32 v40, 0xff, v30
	v_lshlrev_b16 v32, 8, v32
	v_sub_nc_i16 v33, v33, v34 clamp
	v_or_b32_e32 v34, v36, v31
	v_and_b32_e32 v36, 1, v41
	v_lshrrev_b32_e32 v42, 16, v26
	v_or_b32_e32 v40, v40, v32
	v_lshlrev_b16 v26, 8, v26
	v_and_b32_e32 v34, 0xffff, v34
	v_lshlrev_b32_e32 v36, 7, v36
	v_lshlrev_b16 v39, 8, v39
	v_lshlrev_b32_e32 v40, 16, v40
	v_and_b32_e32 v41, 0xffffff00, v42
	v_lshlrev_b16 v42, 8, v42
	v_xor_b32_e32 v35, v36, v35
	v_lshlrev_b16 v37, 8, v37
	v_or_b32_e32 v34, v34, v40
	v_sub_nc_i16 v26, v26, v39 clamp
	v_sub_nc_i16 v36, v41, v38 clamp
	v_mul_lo_u32 v35, 0x1010101, v35
	v_sub_nc_i16 v37, v42, v37 clamp
	s_wait_loadcnt 0x2
	v_xor_b32_e32 v25, v25, v34
	v_lshl_or_b32 v27, v28, 16, v27
	v_dot4_i32_iu8 v5, v6, v7, v5 neg_lo:[1,1,0]
	v_perm_b32 v6, v26, v33, 0xc0c0105
	v_perm_b32 v7, v37, v36, 0xc0c0105
	v_and_b32_e32 v26, 0xffffff00, v25
	v_and_b32_e32 v28, 0x8040201, v35
	v_dot4_i32_iu8 v0, v27, v0, v5 neg_lo:[1,1,0]
	v_lshlrev_b16 v27, 8, v29
	v_lshl_or_b32 v5, v7, 16, v6
	v_sub_nc_i16 v6, v26, v31 clamp
	v_lshrrev_b16 v26, 8, v28
	v_lshrrev_b32_e32 v28, 24, v28
	v_lshrrev_b32_e32 v29, 18, v35
	v_and_b32_e32 v34, 0x80402010, v35
	v_lshlrev_b16 v7, 8, v25
	v_cmp_ne_u16_e32 vcc_lo, 0, v26
	v_bfe_i32 v31, v35, 0, 1
	v_bfe_i32 v29, v29, 0, 1
	v_lshrrev_b16 v37, 8, v34
	v_sub_nc_i16 v7, v7, v27 clamp
	s_wait_alu 0xfffd
	v_cndmask_b32_e64 v26, 0, -1, vcc_lo
	v_cmp_ne_u16_e32 vcc_lo, 0, v28
	v_and_b32_e32 v33, 0xff, v31
	v_and_b32_e32 v27, 0xff, v29
	v_lshrrev_b16 v36, 4, v34
	v_lshlrev_b16 v26, 8, v26
	s_wait_alu 0xfffd
	v_cndmask_b32_e64 v28, 0, -1, vcc_lo
	v_lshrrev_b32_e32 v34, 24, v34
	v_cmp_ne_u16_e32 vcc_lo, 0, v37
	v_perm_b32 v6, v7, v6, 0xc0c0105
	v_or_b32_e32 v33, v33, v26
	v_lshlrev_b16 v28, 8, v28
	v_lshrrev_b32_e32 v35, 22, v35
	s_wait_alu 0xfffd
	v_cndmask_b32_e64 v37, 0, -1, vcc_lo
	v_cmp_ne_u16_e32 vcc_lo, 0, v34
	v_and_b32_e32 v33, 0xffff, v33
	v_or_b32_e32 v7, v27, v28
	v_bfe_i32 v36, v36, 0, 1
	v_bfe_i32 v35, v35, 0, 1
	s_wait_alu 0xfffd
	v_cndmask_b32_e64 v34, 0, -1, vcc_lo
	v_lshrrev_b32_e32 v25, 16, v25
	v_lshlrev_b32_e32 v7, 16, v7
	v_lshlrev_b16 v37, 8, v37
	v_and_b32_e32 v38, 0xff, v35
	v_lshlrev_b16 v34, 8, v34
	v_and_b32_e32 v27, 0xffffff00, v25
	v_or_b32_e32 v7, v33, v7
	v_and_b32_e32 v33, 0xff, v36
	v_lshlrev_b16 v25, 8, v25
	v_lshlrev_b16 v30, 8, v30
	v_sub_nc_i16 v27, v27, v32 clamp
	s_wait_loadcnt 0x1
	v_xor_b32_e32 v7, v24, v7
	v_or_b32_e32 v24, v33, v37
	v_or_b32_e32 v33, v38, v34
	v_sub_nc_i16 v25, v25, v30 clamp
	v_lshlrev_b16 v31, 8, v31
	v_and_b32_e32 v30, 0xffffff00, v7
	v_and_b32_e32 v24, 0xffff, v24
	v_lshlrev_b32_e32 v32, 16, v33
	v_lshlrev_b16 v33, 8, v7
	v_lshrrev_b32_e32 v7, 16, v7
	v_perm_b32 v25, v25, v27, 0xc0c0105
	v_sub_nc_i16 v26, v30, v26 clamp
	v_or_b32_e32 v24, v24, v32
	v_sub_nc_i16 v27, v33, v31 clamp
	v_and_b32_e32 v30, 0xffffff00, v7
	v_lshl_or_b32 v6, v25, 16, v6
	v_lshlrev_b16 v7, 8, v7
	s_wait_loadcnt 0x0
	v_xor_b32_e32 v23, v23, v24
	v_lshlrev_b16 v25, 8, v29
	v_dot4_i32_iu8 v0, v5, v1, v0 neg_lo:[1,1,0]
	v_perm_b32 v1, v27, v26, 0xc0c0105
	v_sub_nc_i16 v5, v30, v28 clamp
	v_lshrrev_b32_e32 v24, 16, v23
	v_and_b32_e32 v26, 0xffffff00, v23
	v_lshlrev_b16 v23, 8, v23
	v_lshlrev_b16 v27, 8, v36
	;; [unrolled: 1-line block ×3, first 2 shown]
	v_and_b32_e32 v28, 0xffffff00, v24
	v_lshlrev_b16 v24, 8, v24
	v_sub_nc_i16 v7, v7, v25 clamp
	v_sub_nc_i16 v25, v26, v37 clamp
	;; [unrolled: 1-line block ×5, first 2 shown]
	v_perm_b32 v5, v7, v5, 0xc0c0105
	v_dot4_i32_iu8 v0, v6, v2, v0 neg_lo:[1,1,0]
	v_perm_b32 v2, v23, v25, 0xc0c0105
	v_cmp_le_u32_e32 vcc_lo, s15, v17
	v_perm_b32 v6, v24, v26, 0xc0c0105
	v_lshl_or_b32 v1, v5, 16, v1
	s_or_b32 s13, vcc_lo, s13
	s_delay_alu instid0(VALU_DEP_2) | instskip(NEXT) | instid1(VALU_DEP_2)
	v_lshl_or_b32 v2, v6, 16, v2
	v_dot4_i32_iu8 v0, v1, v3, v0 neg_lo:[1,1,0]
	s_delay_alu instid0(VALU_DEP_1) | instskip(SKIP_1) | instid1(VALU_DEP_2)
	v_dot4_i32_iu8 v1, v2, v21, v0 neg_lo:[1,1,0]
	v_lshrrev_b32_e32 v2, 28, v20
	v_lshrrev_b32_e32 v0, 31, v1
	s_delay_alu instid0(VALU_DEP_1) | instskip(NEXT) | instid1(VALU_DEP_1)
	v_add_nc_u32_e32 v0, v1, v0
	v_ashrrev_i32_e32 v0, 1, v0
	s_delay_alu instid0(VALU_DEP_1) | instskip(NEXT) | instid1(VALU_DEP_1)
	v_mad_co_u64_u32 v[0:1], null, v1, v2, v[0:1]
	v_lshrrev_b32_e32 v1, 31, v0
	s_delay_alu instid0(VALU_DEP_1) | instskip(SKIP_1) | instid1(VALU_DEP_2)
	v_add_nc_u32_e32 v0, v0, v1
	v_cvt_f32_f16_e32 v1, v22
	v_ashrrev_i32_e32 v0, 1, v0
	s_delay_alu instid0(VALU_DEP_2) | instskip(NEXT) | instid1(VALU_DEP_2)
	v_mul_f32_e32 v1, v1, v4
	v_cvt_f32_i32_e32 v0, v0
	s_delay_alu instid0(VALU_DEP_1)
	v_fmac_f32_e32 v16, v1, v0
	s_and_not1_b32 exec_lo, exec_lo, s13
	s_cbranch_execz .LBB193_14
.LBB193_12:                             ; =>This Inner Loop Header: Depth=1
	v_add_nc_u32_e32 v31, s7, v17
	s_getpc_b64 s[4:5]
	s_wait_alu 0xfffe
	s_sext_i32_i16 s5, s5
	s_add_co_u32 s4, s4, _ZL11iq3xxs_grid@rel32@lo+12
	s_wait_alu 0xfffe
	s_add_co_ci_u32 s5, s5, _ZL11iq3xxs_grid@rel32@hi+24
	v_mad_co_i64_i32 v[22:23], null, 0x62, v31, s[8:9]
	s_delay_alu instid0(VALU_DEP_1) | instskip(SKIP_1) | instid1(VALU_DEP_2)
	v_add_co_u32 v0, vcc_lo, v22, v19
	s_wait_alu 0xfffd
	v_add_co_ci_u32_e64 v1, null, 0, v23, vcc_lo
	v_add_co_u32 v26, vcc_lo, v22, v18
	s_wait_alu 0xfffd
	v_add_co_ci_u32_e64 v27, null, 0, v23, vcc_lo
	global_load_b64 v[24:25], v[0:1], off offset:2
	s_clause 0x2
	global_load_b128 v[4:7], v[8:9], off offset:-32
	global_load_b128 v[0:3], v[8:9], off offset:-16
	global_load_b32 v21, v[8:9], off
	s_clause 0x1
	global_load_b32 v20, v[26:27], off offset:66
	global_load_u16 v22, v[22:23], off
	s_and_not1_b32 vcc_lo, exec_lo, s14
	s_wait_loadcnt 0x4
	v_cvt_f32_f16_e32 v4, v4
	v_and_b32_e32 v23, 0xff, v24
	v_lshrrev_b32_e32 v26, 6, v24
	v_lshrrev_b32_e32 v27, 14, v24
	;; [unrolled: 1-line block ×3, first 2 shown]
	v_and_b32_e32 v28, 0xff, v25
	v_lshrrev_b32_e32 v29, 6, v25
	v_lshrrev_b32_e32 v30, 14, v25
	;; [unrolled: 1-line block ×3, first 2 shown]
	v_lshlrev_b32_e32 v23, 2, v23
	v_and_b32_e32 v26, 0x3fc, v26
	v_and_b32_e32 v27, 0x3fc, v27
	;; [unrolled: 1-line block ×3, first 2 shown]
	v_lshlrev_b32_e32 v32, 2, v28
	v_and_b32_e32 v33, 0x3fc, v29
	v_and_b32_e32 v34, 0x3fc, v30
	;; [unrolled: 1-line block ×3, first 2 shown]
	s_clause 0x7
	global_load_b32 v30, v23, s[4:5]
	global_load_b32 v29, v26, s[4:5]
	;; [unrolled: 1-line block ×8, first 2 shown]
	s_wait_alu 0xfffe
	s_cbranch_vccnz .LBB193_11
; %bb.13:                               ;   in Loop: Header=BB193_12 Depth=1
	v_mad_co_i64_i32 v[32:33], null, 0x62, v31, s[16:17]
	s_delay_alu instid0(VALU_DEP_1) | instskip(SKIP_1) | instid1(VALU_DEP_2)
	v_add_co_u32 v34, vcc_lo, v32, v19
	s_wait_alu 0xfffd
	v_add_co_ci_u32_e64 v35, null, 0, v33, vcc_lo
	v_add_co_u32 v36, vcc_lo, v32, v18
	s_wait_alu 0xfffd
	v_add_co_ci_u32_e64 v37, null, 0, v33, vcc_lo
	s_clause 0x1
	global_load_b64 v[34:35], v[34:35], off offset:2
	global_load_b32 v31, v[36:37], off offset:66
	s_wait_loadcnt 0x1
	v_and_b32_e32 v36, 0xff, v34
	v_lshrrev_b32_e32 v37, 6, v34
	v_lshrrev_b32_e32 v38, 14, v34
	;; [unrolled: 1-line block ×3, first 2 shown]
	v_and_b32_e32 v39, 0xff, v35
	v_lshrrev_b32_e32 v40, 6, v35
	v_lshrrev_b32_e32 v41, 14, v35
	;; [unrolled: 1-line block ×3, first 2 shown]
	v_lshlrev_b32_e32 v36, 2, v36
	v_and_b32_e32 v37, 0x3fc, v37
	v_and_b32_e32 v38, 0x3fc, v38
	;; [unrolled: 1-line block ×3, first 2 shown]
	v_lshlrev_b32_e32 v39, 2, v39
	v_and_b32_e32 v40, 0x3fc, v40
	v_and_b32_e32 v41, 0x3fc, v41
	v_and_b32_e32 v35, 0x3fc, v35
	s_clause 0x7
	global_load_b32 v36, v36, s[4:5]
	global_load_b32 v37, v37, s[4:5]
	;; [unrolled: 1-line block ×8, first 2 shown]
	global_load_u16 v33, v[32:33], off
	s_wait_loadcnt 0x9
	v_and_b32_e32 v32, 0xff, v31
	v_bfe_u32 v44, v31, 14, 8
	v_bfe_u32 v45, v31, 21, 8
	;; [unrolled: 1-line block ×3, first 2 shown]
	s_delay_alu instid0(VALU_DEP_4) | instskip(NEXT) | instid1(VALU_DEP_4)
	v_bcnt_u32_b32 v43, v32, 0
	v_bcnt_u32_b32 v47, v44, 0
	s_delay_alu instid0(VALU_DEP_4) | instskip(NEXT) | instid1(VALU_DEP_4)
	v_bcnt_u32_b32 v48, v45, 0
	v_bcnt_u32_b32 v46, v42, 0
	s_delay_alu instid0(VALU_DEP_4) | instskip(NEXT) | instid1(VALU_DEP_4)
	v_and_b32_e32 v43, 1, v43
	v_and_b32_e32 v47, 1, v47
	s_delay_alu instid0(VALU_DEP_4) | instskip(NEXT) | instid1(VALU_DEP_4)
	v_and_b32_e32 v48, 1, v48
	v_and_b32_e32 v46, 1, v46
	s_delay_alu instid0(VALU_DEP_4) | instskip(NEXT) | instid1(VALU_DEP_2)
	v_lshlrev_b32_e32 v43, 7, v43
	v_lshlrev_b32_e32 v46, 7, v46
	s_delay_alu instid0(VALU_DEP_2) | instskip(SKIP_2) | instid1(VALU_DEP_4)
	v_xor_b32_e32 v32, v43, v32
	v_lshlrev_b32_e32 v43, 7, v47
	v_lshlrev_b32_e32 v47, 7, v48
	v_xor_b32_e32 v42, v46, v42
	s_delay_alu instid0(VALU_DEP_4) | instskip(NEXT) | instid1(VALU_DEP_4)
	v_mul_lo_u32 v32, 0x1010101, v32
	v_xor_b32_e32 v43, v43, v44
	s_delay_alu instid0(VALU_DEP_4) | instskip(NEXT) | instid1(VALU_DEP_4)
	v_xor_b32_e32 v44, v47, v45
	v_mul_lo_u32 v42, 0x1010101, v42
	s_delay_alu instid0(VALU_DEP_3) | instskip(NEXT) | instid1(VALU_DEP_3)
	v_mul_lo_u32 v43, 0x1010101, v43
	v_mul_lo_u32 v44, 0x1010101, v44
	v_and_b32_e32 v45, 0x8040201, v32
	v_and_b32_e32 v48, 0x80402010, v32
	v_lshrrev_b32_e32 v46, 18, v32
	v_and_b32_e32 v49, 0x8040201, v42
	v_and_b32_e32 v52, 0x80402010, v42
	v_lshrrev_b16 v61, 8, v45
	v_lshrrev_b32_e32 v45, 24, v45
	v_lshrrev_b16 v63, 8, v48
	v_lshrrev_b32_e32 v64, 24, v48
	v_lshrrev_b16 v65, 8, v49
	v_cmp_ne_u16_e32 vcc_lo, 0, v61
	v_lshrrev_b32_e32 v49, 24, v49
	v_lshrrev_b16 v67, 8, v52
	v_and_b32_e32 v53, 0x8040201, v43
	v_lshrrev_b32_e32 v68, 24, v52
	s_wait_alu 0xfffd
	v_cndmask_b32_e64 v61, 0, -1, vcc_lo
	v_cmp_ne_u16_e32 vcc_lo, 0, v45
	v_and_b32_e32 v56, 0x80402010, v43
	v_lshrrev_b16 v69, 8, v53
	v_lshrrev_b32_e32 v53, 24, v53
	v_and_b32_e32 v57, 0x8040201, v44
	s_wait_alu 0xfffd
	v_cndmask_b32_e64 v45, 0, -1, vcc_lo
	v_cmp_ne_u16_e32 vcc_lo, 0, v63
	v_lshrrev_b16 v71, 8, v56
	v_lshrrev_b32_e32 v72, 24, v56
	v_lshrrev_b16 v73, 8, v57
	v_bfe_i32 v47, v32, 0, 1
	s_wait_alu 0xfffd
	v_cndmask_b32_e64 v63, 0, -1, vcc_lo
	v_cmp_ne_u16_e32 vcc_lo, 0, v64
	v_lshrrev_b32_e32 v32, 22, v32
	v_lshrrev_b32_e32 v50, 18, v42
	v_and_b32_e32 v60, 0x80402010, v44
	v_bfe_i32 v46, v46, 0, 1
	s_wait_alu 0xfffd
	v_cndmask_b32_e64 v64, 0, -1, vcc_lo
	v_cmp_ne_u16_e32 vcc_lo, 0, v65
	v_lshrrev_b16 v48, 4, v48
	v_lshrrev_b32_e32 v57, 24, v57
	v_bfe_i32 v51, v42, 0, 1
	v_lshrrev_b32_e32 v54, 18, v43
	s_wait_alu 0xfffd
	v_cndmask_b32_e64 v65, 0, -1, vcc_lo
	v_cmp_ne_u16_e32 vcc_lo, 0, v49
	v_lshrrev_b32_e32 v58, 18, v44
	v_and_b32_e32 v62, 0xff, v47
	v_bfe_i32 v32, v32, 0, 1
	v_bfe_i32 v50, v50, 0, 1
	s_wait_alu 0xfffd
	v_cndmask_b32_e64 v49, 0, -1, vcc_lo
	v_cmp_ne_u16_e32 vcc_lo, 0, v67
	v_lshrrev_b16 v75, 8, v60
	v_and_b32_e32 v77, 0xff, v46
	v_bfe_i32 v48, v48, 0, 1
	v_lshlrev_b16 v61, 8, v61
	s_wait_alu 0xfffd
	v_cndmask_b32_e64 v67, 0, -1, vcc_lo
	v_cmp_ne_u16_e32 vcc_lo, 0, v68
	v_lshlrev_b16 v45, 8, v45
	v_lshrrev_b32_e32 v42, 22, v42
	v_bfe_i32 v55, v43, 0, 1
	v_bfe_i32 v59, v44, 0, 1
	s_wait_alu 0xfffd
	v_cndmask_b32_e64 v68, 0, -1, vcc_lo
	v_cmp_ne_u16_e32 vcc_lo, 0, v69
	v_and_b32_e32 v66, 0xff, v51
	v_lshrrev_b16 v52, 4, v52
	v_bfe_i32 v54, v54, 0, 1
	v_bfe_i32 v58, v58, 0, 1
	s_wait_alu 0xfffd
	v_cndmask_b32_e64 v69, 0, -1, vcc_lo
	v_cmp_ne_u16_e32 vcc_lo, 0, v53
	v_lshrrev_b32_e32 v76, 24, v60
	v_and_b32_e32 v78, 0xff, v32
	v_and_b32_e32 v79, 0xff, v50
	;; [unrolled: 1-line block ×3, first 2 shown]
	s_wait_alu 0xfffd
	v_cndmask_b32_e64 v53, 0, -1, vcc_lo
	v_cmp_ne_u16_e32 vcc_lo, 0, v71
	v_lshlrev_b16 v63, 8, v63
	v_lshlrev_b16 v64, 8, v64
	;; [unrolled: 1-line block ×4, first 2 shown]
	s_wait_alu 0xfffd
	v_cndmask_b32_e64 v71, 0, -1, vcc_lo
	v_cmp_ne_u16_e32 vcc_lo, 0, v72
	v_or_b32_e32 v62, v62, v61
	v_or_b32_e32 v77, v77, v45
	v_lshrrev_b32_e32 v43, 22, v43
	v_lshrrev_b32_e32 v44, 22, v44
	s_wait_alu 0xfffd
	v_cndmask_b32_e64 v72, 0, -1, vcc_lo
	v_cmp_ne_u16_e32 vcc_lo, 0, v73
	v_bfe_i32 v42, v42, 0, 1
	v_and_b32_e32 v70, 0xff, v55
	v_lshrrev_b16 v56, 4, v56
	v_and_b32_e32 v74, 0xff, v59
	s_wait_alu 0xfffd
	v_cndmask_b32_e64 v73, 0, -1, vcc_lo
	v_cmp_ne_u16_e32 vcc_lo, 0, v57
	v_lshrrev_b16 v60, 4, v60
	v_bfe_i32 v52, v52, 0, 1
	v_and_b32_e32 v81, 0xff, v54
	v_and_b32_e32 v83, 0xff, v58
	s_wait_alu 0xfffd
	v_cndmask_b32_e64 v57, 0, -1, vcc_lo
	v_cmp_ne_u16_e32 vcc_lo, 0, v75
	v_lshlrev_b16 v69, 8, v69
	v_lshlrev_b16 v53, 8, v53
	;; [unrolled: 1-line block ×4, first 2 shown]
	s_wait_alu 0xfffd
	v_cndmask_b32_e64 v75, 0, -1, vcc_lo
	v_cmp_ne_u16_e32 vcc_lo, 0, v76
	v_or_b32_e32 v85, v85, v63
	v_or_b32_e32 v78, v78, v64
	;; [unrolled: 1-line block ×4, first 2 shown]
	v_and_b32_e32 v62, 0xffff, v62
	v_lshlrev_b32_e32 v77, 16, v77
	v_bfe_i32 v43, v43, 0, 1
	v_bfe_i32 v44, v44, 0, 1
	v_and_b32_e32 v80, 0xff, v42
	v_bfe_i32 v56, v56, 0, 1
	v_bfe_i32 v60, v60, 0, 1
	s_wait_alu 0xfffd
	v_cndmask_b32_e64 v76, 0, -1, vcc_lo
	v_and_b32_e32 v86, 0xff, v52
	v_lshlrev_b16 v67, 8, v67
	v_lshlrev_b16 v68, 8, v68
	v_or_b32_e32 v70, v70, v69
	v_or_b32_e32 v81, v81, v53
	;; [unrolled: 1-line block ×4, first 2 shown]
	v_and_b32_e32 v85, 0xffff, v85
	v_lshlrev_b32_e32 v78, 16, v78
	v_and_b32_e32 v66, 0xffff, v66
	v_lshlrev_b32_e32 v79, 16, v79
	v_or_b32_e32 v62, v62, v77
	v_and_b32_e32 v82, 0xff, v43
	v_and_b32_e32 v84, 0xff, v44
	;; [unrolled: 1-line block ×3, first 2 shown]
	v_lshlrev_b16 v71, 8, v71
	v_lshlrev_b16 v72, 8, v72
	v_and_b32_e32 v88, 0xff, v60
	v_lshlrev_b16 v75, 8, v75
	v_lshlrev_b16 v76, 8, v76
	v_or_b32_e32 v86, v86, v67
	v_or_b32_e32 v80, v80, v68
	v_and_b32_e32 v70, 0xffff, v70
	v_lshlrev_b32_e32 v81, 16, v81
	v_and_b32_e32 v74, 0xffff, v74
	v_lshlrev_b32_e32 v83, 16, v83
	v_or_b32_e32 v77, v85, v78
	v_or_b32_e32 v66, v66, v79
	v_lshlrev_b16 v47, 8, v47
	v_or_b32_e32 v87, v87, v71
	v_or_b32_e32 v82, v82, v72
	;; [unrolled: 1-line block ×4, first 2 shown]
	v_and_b32_e32 v86, 0xffff, v86
	v_lshlrev_b32_e32 v80, 16, v80
	v_or_b32_e32 v70, v70, v81
	v_or_b32_e32 v74, v74, v83
	v_lshlrev_b16 v46, 8, v46
	v_lshlrev_b16 v48, 8, v48
	v_and_b32_e32 v87, 0xffff, v87
	v_lshlrev_b32_e32 v82, 16, v82
	v_and_b32_e32 v88, 0xffff, v88
	v_lshlrev_b32_e32 v84, 16, v84
	v_or_b32_e32 v78, v86, v80
	v_lshlrev_b16 v51, 8, v51
	v_lshlrev_b16 v32, 8, v32
	v_or_b32_e32 v79, v87, v82
	v_or_b32_e32 v80, v88, v84
	v_lshlrev_b16 v50, 8, v50
	v_lshlrev_b16 v52, 8, v52
	;; [unrolled: 1-line block ×11, first 2 shown]
	s_wait_loadcnt 0x8
	v_xor_b32_e32 v36, v36, v62
	s_wait_loadcnt 0x7
	v_xor_b32_e32 v37, v37, v77
	;; [unrolled: 2-line block ×5, first 2 shown]
	v_lshrrev_b32_e32 v62, 16, v36
	v_and_b32_e32 v66, 0xffffff00, v36
	v_lshlrev_b16 v36, 8, v36
	s_wait_loadcnt 0x2
	v_xor_b32_e32 v41, v41, v74
	v_lshrrev_b32_e32 v70, 16, v37
	v_and_b32_e32 v74, 0xffffff00, v37
	v_lshlrev_b16 v37, 8, v37
	v_sub_nc_i16 v36, v36, v47 clamp
	v_and_b32_e32 v47, 0xffffff00, v62
	v_lshlrev_b16 v62, 8, v62
	v_lshrrev_b32_e32 v77, 16, v38
	v_and_b32_e32 v78, 0xffffff00, v38
	v_lshlrev_b16 v38, 8, v38
	v_sub_nc_i16 v61, v66, v61 clamp
	v_sub_nc_i16 v37, v37, v48 clamp
	v_and_b32_e32 v48, 0xffffff00, v70
	v_lshlrev_b16 v66, 8, v70
	v_sub_nc_i16 v45, v47, v45 clamp
	v_sub_nc_i16 v46, v62, v46 clamp
	v_xor_b32_e32 v40, v40, v79
	s_wait_loadcnt 0x1
	v_xor_b32_e32 v35, v35, v80
	v_lshrrev_b32_e32 v79, 16, v34
	v_and_b32_e32 v80, 0xffffff00, v34
	v_lshlrev_b16 v34, 8, v34
	v_sub_nc_i16 v63, v74, v63 clamp
	v_sub_nc_i16 v38, v38, v51 clamp
	v_and_b32_e32 v51, 0xffffff00, v77
	v_lshlrev_b16 v70, 8, v77
	v_perm_b32 v36, v36, v61, 0xc0c0105
	v_sub_nc_i16 v47, v48, v64 clamp
	v_sub_nc_i16 v32, v66, v32 clamp
	v_perm_b32 v45, v46, v45, 0xc0c0105
	v_lshrrev_b32_e32 v81, 16, v39
	v_and_b32_e32 v82, 0xffffff00, v39
	v_lshlrev_b16 v39, 8, v39
	v_sub_nc_i16 v65, v78, v65 clamp
	v_sub_nc_i16 v34, v34, v52 clamp
	v_and_b32_e32 v52, 0xffffff00, v79
	v_lshlrev_b16 v74, 8, v79
	v_perm_b32 v37, v37, v63, 0xc0c0105
	v_sub_nc_i16 v48, v51, v49 clamp
	v_sub_nc_i16 v49, v70, v50 clamp
	v_perm_b32 v32, v32, v47, 0xc0c0105
	v_lshl_or_b32 v36, v45, 16, v36
	v_lshrrev_b32_e32 v83, 16, v40
	v_and_b32_e32 v84, 0xffffff00, v40
	v_lshlrev_b16 v40, 8, v40
	v_sub_nc_i16 v67, v80, v67 clamp
	v_sub_nc_i16 v39, v39, v55 clamp
	v_and_b32_e32 v55, 0xffffff00, v81
	v_lshlrev_b16 v77, 8, v81
	v_perm_b32 v38, v38, v65, 0xc0c0105
	v_sub_nc_i16 v46, v52, v68 clamp
	v_sub_nc_i16 v42, v74, v42 clamp
	v_perm_b32 v47, v49, v48, 0xc0c0105
	v_lshl_or_b32 v32, v32, 16, v37
	v_dot4_i32_iu8 v36, v36, v5, 0 neg_lo:[1,1,0]
	v_lshrrev_b32_e32 v85, 16, v41
	v_and_b32_e32 v86, 0xffffff00, v41
	v_lshlrev_b16 v41, 8, v41
	v_sub_nc_i16 v69, v82, v69 clamp
	v_sub_nc_i16 v40, v40, v56 clamp
	v_and_b32_e32 v56, 0xffffff00, v83
	v_lshlrev_b16 v78, 8, v83
	v_perm_b32 v34, v34, v67, 0xc0c0105
	v_sub_nc_i16 v45, v55, v53 clamp
	v_sub_nc_i16 v37, v77, v54 clamp
	v_perm_b32 v42, v42, v46, 0xc0c0105
	v_lshl_or_b32 v38, v47, 16, v38
	v_dot4_i32_iu8 v32, v32, v6, v36 neg_lo:[1,1,0]
	v_lshrrev_b32_e32 v87, 16, v35
	v_and_b32_e32 v88, 0xffffff00, v35
	v_lshlrev_b16 v35, 8, v35
	v_sub_nc_i16 v71, v84, v71 clamp
	v_sub_nc_i16 v73, v86, v73 clamp
	;; [unrolled: 1-line block ×3, first 2 shown]
	v_and_b32_e32 v59, 0xffffff00, v85
	v_lshlrev_b16 v79, 8, v85
	v_perm_b32 v39, v39, v69, 0xc0c0105
	v_sub_nc_i16 v36, v56, v72 clamp
	v_sub_nc_i16 v43, v78, v43 clamp
	v_perm_b32 v37, v37, v45, 0xc0c0105
	v_lshl_or_b32 v34, v42, 16, v34
	v_dot4_i32_iu8 v32, v38, v7, v32 neg_lo:[1,1,0]
	v_sub_nc_i16 v35, v35, v60 clamp
	v_and_b32_e32 v60, 0xffffff00, v87
	v_lshlrev_b16 v80, 8, v87
	v_perm_b32 v40, v40, v71, 0xc0c0105
	v_perm_b32 v38, v41, v73, 0xc0c0105
	v_sub_nc_i16 v41, v59, v57 clamp
	v_perm_b32 v36, v43, v36, 0xc0c0105
	v_lshl_or_b32 v37, v37, 16, v39
	v_dot4_i32_iu8 v32, v34, v0, v32 neg_lo:[1,1,0]
	v_sub_nc_i16 v34, v79, v58 clamp
	v_sub_nc_i16 v75, v88, v75 clamp
	;; [unrolled: 1-line block ×4, first 2 shown]
	v_lshl_or_b32 v36, v36, 16, v40
	v_dot4_i32_iu8 v32, v37, v1, v32 neg_lo:[1,1,0]
	v_perm_b32 v34, v34, v41, 0xc0c0105
	v_perm_b32 v35, v35, v75, 0xc0c0105
	v_perm_b32 v37, v42, v39, 0xc0c0105
	s_delay_alu instid0(VALU_DEP_4) | instskip(NEXT) | instid1(VALU_DEP_4)
	v_dot4_i32_iu8 v32, v36, v2, v32 neg_lo:[1,1,0]
	v_lshl_or_b32 v34, v34, 16, v38
	s_delay_alu instid0(VALU_DEP_3) | instskip(NEXT) | instid1(VALU_DEP_2)
	v_lshl_or_b32 v35, v37, 16, v35
	v_dot4_i32_iu8 v32, v34, v3, v32 neg_lo:[1,1,0]
	s_delay_alu instid0(VALU_DEP_1) | instskip(SKIP_1) | instid1(VALU_DEP_2)
	v_dot4_i32_iu8 v32, v35, v21, v32 neg_lo:[1,1,0]
	v_lshrrev_b32_e32 v35, 28, v31
	v_lshrrev_b32_e32 v34, 31, v32
	s_delay_alu instid0(VALU_DEP_1) | instskip(NEXT) | instid1(VALU_DEP_1)
	v_add_nc_u32_e32 v34, v32, v34
	v_ashrrev_i32_e32 v31, 1, v34
	s_delay_alu instid0(VALU_DEP_1) | instskip(NEXT) | instid1(VALU_DEP_1)
	v_mad_co_u64_u32 v[31:32], null, v32, v35, v[31:32]
	v_lshrrev_b32_e32 v32, 31, v31
	s_delay_alu instid0(VALU_DEP_1) | instskip(SKIP_2) | instid1(VALU_DEP_2)
	v_add_nc_u32_e32 v31, v31, v32
	s_wait_loadcnt 0x0
	v_cvt_f32_f16_e32 v32, v33
	v_ashrrev_i32_e32 v31, 1, v31
	s_delay_alu instid0(VALU_DEP_2) | instskip(NEXT) | instid1(VALU_DEP_2)
	v_mul_f32_e32 v32, v4, v32
	v_cvt_f32_i32_e32 v31, v31
	s_delay_alu instid0(VALU_DEP_1)
	v_fmac_f32_e32 v15, v32, v31
	s_branch .LBB193_11
.LBB193_14:
	s_or_b32 exec_lo, exec_lo, s13
.LBB193_15:
	s_delay_alu instid0(SALU_CYCLE_1)
	s_or_b32 exec_lo, exec_lo, s18
	s_load_b32 s4, s[0:1], 0x30
	s_wait_loadcnt 0x0
	; wave barrier
	global_inv scope:SCOPE_SE
	s_mov_b32 s5, exec_lo
	v_cmpx_eq_u32_e32 0, v13
	s_cbranch_execz .LBB193_43
; %bb.16:
	v_mbcnt_lo_u32_b32 v1, -1, 0
	s_delay_alu instid0(VALU_DEP_1) | instskip(SKIP_2) | instid1(VALU_DEP_3)
	v_xor_b32_e32 v0, 16, v1
	v_xor_b32_e32 v3, 8, v1
	;; [unrolled: 1-line block ×3, first 2 shown]
	v_cmp_gt_i32_e32 vcc_lo, 32, v0
	s_wait_alu 0xfffd
	v_cndmask_b32_e32 v0, v1, v0, vcc_lo
	v_cmp_gt_i32_e32 vcc_lo, 32, v3
	s_wait_alu 0xfffd
	v_cndmask_b32_e32 v3, v1, v3, vcc_lo
	v_cmp_gt_i32_e32 vcc_lo, 32, v4
	s_delay_alu instid0(VALU_DEP_2)
	v_lshlrev_b32_e32 v3, 2, v3
	v_lshlrev_b32_e32 v0, 2, v0
	s_wait_alu 0xfffd
	v_cndmask_b32_e32 v4, v1, v4, vcc_lo
	ds_bpermute_b32 v2, v0, v16
	s_wait_dscnt 0x0
	v_add_f32_e32 v2, v16, v2
	ds_bpermute_b32 v5, v3, v2
	s_wait_dscnt 0x0
	v_add_f32_e32 v2, v2, v5
	v_xor_b32_e32 v5, 2, v1
	s_delay_alu instid0(VALU_DEP_1) | instskip(SKIP_2) | instid1(VALU_DEP_1)
	v_cmp_gt_i32_e32 vcc_lo, 32, v5
	s_wait_alu 0xfffd
	v_cndmask_b32_e32 v5, v1, v5, vcc_lo
	v_lshlrev_b32_e32 v5, 2, v5
	v_lshlrev_b32_e32 v4, 2, v4
	ds_bpermute_b32 v6, v4, v2
	s_wait_dscnt 0x0
	v_add_f32_e32 v2, v2, v6
	v_xor_b32_e32 v6, 1, v1
	ds_bpermute_b32 v7, v5, v2
	v_cmp_gt_i32_e32 vcc_lo, 32, v6
	s_wait_alu 0xfffd
	v_cndmask_b32_e32 v1, v1, v6, vcc_lo
	v_cmp_ne_u32_e32 vcc_lo, 1, v14
	s_delay_alu instid0(VALU_DEP_2)
	v_lshlrev_b32_e32 v6, 2, v1
	s_wait_dscnt 0x0
	v_add_f32_e32 v1, v2, v7
	ds_bpermute_b32 v2, v6, v1
	s_cbranch_vccnz .LBB193_18
; %bb.17:
	ds_bpermute_b32 v0, v0, v15
	s_wait_dscnt 0x0
	v_add_f32_e32 v0, v15, v0
	ds_bpermute_b32 v3, v3, v0
	s_wait_dscnt 0x0
	v_add_f32_e32 v0, v0, v3
	ds_bpermute_b32 v3, v4, v0
	s_wait_dscnt 0x0
	v_add_f32_e32 v0, v0, v3
	ds_bpermute_b32 v3, v5, v0
	s_wait_dscnt 0x0
	v_add_f32_e32 v0, v0, v3
	ds_bpermute_b32 v3, v6, v0
	s_wait_dscnt 0x0
	v_add_f32_e32 v15, v0, v3
.LBB193_18:
	v_cmp_eq_u32_e32 vcc_lo, 0, v10
	s_and_b32 exec_lo, exec_lo, vcc_lo
	s_cbranch_execz .LBB193_43
; %bb.19:
	s_wait_dscnt 0x0
	v_add_f32_e32 v0, v1, v2
	v_cmp_ne_u32_e32 vcc_lo, 1, v14
	s_delay_alu instid0(VALU_DEP_2) | instskip(NEXT) | instid1(VALU_DEP_1)
	v_add_f32_e32 v1, v12, v0
	v_cndmask_b32_e64 v0, v0, v1, s2
	s_cbranch_vccnz .LBB193_42
; %bb.20:
	v_add_f32_e32 v1, v11, v15
	s_wait_kmcnt 0x0
	s_cmp_lt_i32 s4, 2
	s_mov_b32 s2, 0
	s_delay_alu instid0(VALU_DEP_1)
	v_cndmask_b32_e64 v1, v15, v1, s3
	s_cbranch_scc1 .LBB193_25
; %bb.21:
	s_cmp_gt_i32 s4, 2
	s_cbranch_scc0 .LBB193_26
; %bb.22:
	s_cmp_eq_u32 s4, 3
	s_cbranch_scc0 .LBB193_27
; %bb.23:
	v_max_num_f32_e32 v2, v1, v1
	s_mov_b32 s3, 0xc0e00000
	s_delay_alu instid0(VALU_DEP_1) | instskip(NEXT) | instid1(VALU_DEP_1)
	v_min_num_f32_e32 v2, 0x40e00000, v2
	v_mul_f32_e32 v3, 0xbfd9db23, v2
	s_delay_alu instid0(VALU_DEP_1) | instskip(NEXT) | instid1(VALU_DEP_1)
	v_mul_f32_e32 v4, 0x3fb8aa3b, v3
	v_fma_f32 v5, 0x3fb8aa3b, v3, -v4
	v_rndne_f32_e32 v6, v4
	s_delay_alu instid0(VALU_DEP_1) | instskip(NEXT) | instid1(VALU_DEP_1)
	v_dual_fmamk_f32 v5, v3, 0x32a5705f, v5 :: v_dual_sub_f32 v4, v4, v6
	v_add_f32_e32 v4, v4, v5
	v_cvt_i32_f32_e32 v5, v6
	v_cmp_ngt_f32_e32 vcc_lo, 0xc2ce8ed0, v3
	s_delay_alu instid0(VALU_DEP_3) | instskip(NEXT) | instid1(TRANS32_DEP_1)
	v_exp_f32_e32 v4, v4
	v_ldexp_f32 v4, v4, v5
	s_wait_alu 0xfffd
	s_delay_alu instid0(VALU_DEP_1) | instskip(SKIP_2) | instid1(VALU_DEP_2)
	v_cndmask_b32_e32 v4, 0, v4, vcc_lo
	v_cmp_nlt_f32_e32 vcc_lo, 0x42b17218, v3
	s_wait_alu 0xfffd
	v_cndmask_b32_e32 v3, 0x7f800000, v4, vcc_lo
	s_delay_alu instid0(VALU_DEP_1) | instskip(NEXT) | instid1(VALU_DEP_1)
	v_add_f32_e32 v3, 1.0, v3
	v_div_scale_f32 v4, null, v3, v3, v2
	v_div_scale_f32 v7, vcc_lo, v2, v3, v2
	s_delay_alu instid0(VALU_DEP_2) | instskip(NEXT) | instid1(TRANS32_DEP_1)
	v_rcp_f32_e32 v5, v4
	v_fma_f32 v6, -v4, v5, 1.0
	s_delay_alu instid0(VALU_DEP_1) | instskip(NEXT) | instid1(VALU_DEP_1)
	v_fmac_f32_e32 v5, v6, v5
	v_mul_f32_e32 v6, v7, v5
	s_delay_alu instid0(VALU_DEP_1) | instskip(NEXT) | instid1(VALU_DEP_1)
	v_fma_f32 v8, -v4, v6, v7
	v_fmac_f32_e32 v6, v8, v5
	s_delay_alu instid0(VALU_DEP_1) | instskip(SKIP_1) | instid1(VALU_DEP_1)
	v_fma_f32 v4, -v4, v6, v7
	s_wait_alu 0xfffd
	v_div_fmas_f32 v4, v4, v5, v6
	s_delay_alu instid0(VALU_DEP_1) | instskip(SKIP_2) | instid1(VALU_DEP_1)
	v_div_fixup_f32 v2, v4, v3, v2
	v_max_num_f32_e32 v7, v0, v0
	s_wait_alu 0xfffe
	v_minmax_num_f32 v5, v7, 0x40e00000, s3
	s_mov_b32 s3, 0
	s_delay_alu instid0(VALU_DEP_1) | instskip(NEXT) | instid1(VALU_DEP_1)
	v_add_f32_e32 v3, 1.0, v5
	v_mul_f32_e32 v2, v3, v2
	s_branch .LBB193_28
.LBB193_24:
                                        ; implicit-def: $sgpr28
	s_clause 0x1
	s_load_b32 s30, s[0:1], 0x50
	s_load_b32 s29, s[0:1], 0x78
	s_branch .LBB193_2
.LBB193_25:
	s_mov_b32 s3, 0
                                        ; implicit-def: $vgpr2
	s_cbranch_execnz .LBB193_32
	s_branch .LBB193_33
.LBB193_26:
	s_mov_b32 s5, -1
	s_mov_b32 s3, 0
                                        ; implicit-def: $vgpr2
	s_branch .LBB193_29
.LBB193_27:
	s_mov_b32 s3, -1
                                        ; implicit-def: $vgpr2
.LBB193_28:
	s_mov_b32 s5, 0
.LBB193_29:
	s_wait_alu 0xfffe
	s_and_b32 vcc_lo, exec_lo, s5
	s_wait_alu 0xfffe
	s_cbranch_vccz .LBB193_31
; %bb.30:
	v_mul_f32_e32 v2, 0xbfb8aa3b, v1
	v_cmp_nlt_f32_e32 vcc_lo, 0x42ce8ed0, v1
	s_delay_alu instid0(VALU_DEP_2) | instskip(SKIP_1) | instid1(VALU_DEP_2)
	v_rndne_f32_e32 v3, v2
	v_fma_f32 v4, 0xbfb8aa3b, v1, -v2
	v_sub_f32_e32 v2, v2, v3
	s_delay_alu instid0(VALU_DEP_2) | instskip(SKIP_1) | instid1(VALU_DEP_2)
	v_fmamk_f32 v4, v1, 0xb2a5705f, v4
	v_cvt_i32_f32_e32 v3, v3
	v_add_f32_e32 v2, v2, v4
	s_delay_alu instid0(VALU_DEP_1) | instskip(NEXT) | instid1(TRANS32_DEP_1)
	v_exp_f32_e32 v2, v2
	v_ldexp_f32 v2, v2, v3
	s_wait_alu 0xfffd
	s_delay_alu instid0(VALU_DEP_1) | instskip(SKIP_2) | instid1(VALU_DEP_2)
	v_cndmask_b32_e32 v2, 0, v2, vcc_lo
	v_cmp_ngt_f32_e32 vcc_lo, 0xc2b17218, v1
	s_wait_alu 0xfffd
	v_cndmask_b32_e32 v2, 0x7f800000, v2, vcc_lo
	s_delay_alu instid0(VALU_DEP_1) | instskip(NEXT) | instid1(VALU_DEP_1)
	v_add_f32_e32 v2, 1.0, v2
	v_div_scale_f32 v3, null, v2, v2, v1
	s_delay_alu instid0(VALU_DEP_1) | instskip(NEXT) | instid1(TRANS32_DEP_1)
	v_rcp_f32_e32 v4, v3
	v_fma_f32 v5, -v3, v4, 1.0
	s_delay_alu instid0(VALU_DEP_1) | instskip(SKIP_1) | instid1(VALU_DEP_1)
	v_fmac_f32_e32 v4, v5, v4
	v_div_scale_f32 v5, vcc_lo, v1, v2, v1
	v_mul_f32_e32 v6, v5, v4
	s_delay_alu instid0(VALU_DEP_1) | instskip(NEXT) | instid1(VALU_DEP_1)
	v_fma_f32 v7, -v3, v6, v5
	v_fmac_f32_e32 v6, v7, v4
	s_delay_alu instid0(VALU_DEP_1) | instskip(SKIP_1) | instid1(VALU_DEP_1)
	v_fma_f32 v3, -v3, v6, v5
	s_wait_alu 0xfffd
	v_div_fmas_f32 v3, v3, v4, v6
	s_delay_alu instid0(VALU_DEP_1) | instskip(NEXT) | instid1(VALU_DEP_1)
	v_div_fixup_f32 v2, v3, v2, v1
	v_mul_f32_e32 v2, v0, v2
.LBB193_31:
	s_branch .LBB193_33
.LBB193_32:
	s_cmp_lg_u32 s4, 1
	s_mov_b32 s2, -1
	s_cselect_b32 s3, -1, 0
.LBB193_33:
	s_wait_alu 0xfffe
	s_and_not1_b32 vcc_lo, exec_lo, s3
	s_wait_alu 0xfffe
	s_cbranch_vccz .LBB193_35
; %bb.34:
	s_and_not1_b32 vcc_lo, exec_lo, s2
	s_wait_alu 0xfffe
	s_cbranch_vccz .LBB193_36
	s_branch .LBB193_41
.LBB193_35:
	v_mul_f32_e32 v2, v1, v0
	s_cbranch_execnz .LBB193_41
.LBB193_36:
	v_mul_f32_e32 v2, 0x3d372713, v1
	v_mul_f32_e32 v3, 0x3f4c422a, v1
	s_delay_alu instid0(VALU_DEP_2) | instskip(NEXT) | instid1(VALU_DEP_1)
	v_fma_f32 v2, v1, v2, 1.0
	v_mul_f32_e32 v2, v3, v2
                                        ; implicit-def: $vgpr3
	s_delay_alu instid0(VALU_DEP_1)
	v_cmp_ngt_f32_e64 s2, 0x3f200000, |v2|
	s_and_saveexec_b32 s3, s2
	s_wait_alu 0xfffe
	s_xor_b32 s2, exec_lo, s3
	s_cbranch_execz .LBB193_38
; %bb.37:
	v_add_f32_e64 v3, |v2|, |v2|
	s_delay_alu instid0(VALU_DEP_1) | instskip(SKIP_1) | instid1(VALU_DEP_2)
	v_mul_f32_e32 v4, 0x3fb8aa3b, v3
	v_cmp_ngt_f32_e32 vcc_lo, 0xc2ce8ed0, v3
	v_rndne_f32_e32 v5, v4
	v_fma_f32 v6, 0x3fb8aa3b, v3, -v4
	s_delay_alu instid0(VALU_DEP_2) | instskip(NEXT) | instid1(VALU_DEP_2)
	v_sub_f32_e32 v4, v4, v5
	v_fmamk_f32 v6, v3, 0x32a5705f, v6
	v_cvt_i32_f32_e32 v5, v5
	s_delay_alu instid0(VALU_DEP_2) | instskip(NEXT) | instid1(VALU_DEP_1)
	v_add_f32_e32 v4, v4, v6
	v_exp_f32_e32 v4, v4
	s_delay_alu instid0(TRANS32_DEP_1) | instskip(SKIP_1) | instid1(VALU_DEP_1)
	v_ldexp_f32 v4, v4, v5
	s_wait_alu 0xfffd
	v_cndmask_b32_e32 v4, 0, v4, vcc_lo
	v_cmp_nlt_f32_e32 vcc_lo, 0x42b17218, v3
	s_wait_alu 0xfffd
	s_delay_alu instid0(VALU_DEP_2) | instskip(NEXT) | instid1(VALU_DEP_1)
	v_cndmask_b32_e32 v3, 0x7f800000, v4, vcc_lo
	v_add_f32_e32 v3, 1.0, v3
	s_delay_alu instid0(VALU_DEP_1) | instskip(NEXT) | instid1(TRANS32_DEP_1)
	v_rcp_f32_e32 v3, v3
	v_fma_f32 v3, v3, -2.0, 1.0
.LBB193_38:
	s_wait_alu 0xfffe
	s_and_not1_saveexec_b32 s2, s2
	s_cbranch_execz .LBB193_40
; %bb.39:
	v_mul_f32_e32 v3, v2, v2
	s_mov_b32 s3, 0xbbbac73d
	s_wait_alu 0xfffe
	s_delay_alu instid0(VALU_DEP_1) | instskip(NEXT) | instid1(VALU_DEP_1)
	v_fmaak_f32 v4, s3, v3, 0x3ca908c9
	v_fmaak_f32 v4, v3, v4, 0xbd5c1c4e
	s_delay_alu instid0(VALU_DEP_1) | instskip(NEXT) | instid1(VALU_DEP_1)
	v_fmaak_f32 v4, v3, v4, 0x3e088382
	v_fmaak_f32 v4, v3, v4, 0xbeaaaa99
	s_delay_alu instid0(VALU_DEP_1) | instskip(NEXT) | instid1(VALU_DEP_1)
	v_mul_f32_e64 v4, |v2|, v4
	v_fma_f32 v3, v3, v4, |v2|
.LBB193_40:
	s_wait_alu 0xfffe
	s_or_b32 exec_lo, exec_lo, s2
	s_delay_alu instid0(VALU_DEP_1) | instskip(NEXT) | instid1(VALU_DEP_1)
	v_bfi_b32 v2, 0x7fffffff, v3, v2
	v_dual_mul_f32 v1, 0.5, v1 :: v_dual_add_f32 v2, 1.0, v2
	s_delay_alu instid0(VALU_DEP_1) | instskip(NEXT) | instid1(VALU_DEP_1)
	v_mul_f32_e32 v1, v1, v2
	v_mul_f32_e32 v2, v0, v1
.LBB193_41:
	s_delay_alu instid0(VALU_DEP_1)
	v_mov_b32_e32 v0, v2
.LBB193_42:
	s_load_b64 s[0:1], s[0:1], 0x38
	s_mul_i32 s2, s6, s27
	s_wait_kmcnt 0x0
	s_mul_i32 s3, s26, s21
	s_wait_alu 0xfffe
	s_add_co_i32 s2, s2, ttmp9
	v_lshlrev_b32_e32 v1, 2, v10
	s_wait_alu 0xfffe
	s_add_co_i32 s2, s2, s3
	s_mov_b32 s3, 0
	s_wait_alu 0xfffe
	s_lshl_b64 s[2:3], s[2:3], 2
	s_wait_alu 0xfffe
	s_add_nc_u64 s[0:1], s[0:1], s[2:3]
	global_store_b32 v1, v0, s[0:1]
.LBB193_43:
	s_endpgm
	.section	.rodata,"a",@progbits
	.p2align	6, 0x0
	.amdhsa_kernel _ZL13mul_mat_vec_qIL9ggml_type18ELi1ELb1ELb1EEvPKvS2_PKi31ggml_cuda_mm_fusion_args_devicePfj15HIP_vector_typeIjLj3EEjjjS8_jjjS8_jjjj
		.amdhsa_group_segment_fixed_size 0
		.amdhsa_private_segment_fixed_size 0
		.amdhsa_kernarg_size 144
		.amdhsa_user_sgpr_count 2
		.amdhsa_user_sgpr_dispatch_ptr 0
		.amdhsa_user_sgpr_queue_ptr 0
		.amdhsa_user_sgpr_kernarg_segment_ptr 1
		.amdhsa_user_sgpr_dispatch_id 0
		.amdhsa_user_sgpr_private_segment_size 0
		.amdhsa_wavefront_size32 1
		.amdhsa_uses_dynamic_stack 0
		.amdhsa_enable_private_segment 0
		.amdhsa_system_sgpr_workgroup_id_x 1
		.amdhsa_system_sgpr_workgroup_id_y 1
		.amdhsa_system_sgpr_workgroup_id_z 1
		.amdhsa_system_sgpr_workgroup_info 0
		.amdhsa_system_vgpr_workitem_id 1
		.amdhsa_next_free_vgpr 89
		.amdhsa_next_free_sgpr 38
		.amdhsa_reserve_vcc 1
		.amdhsa_float_round_mode_32 0
		.amdhsa_float_round_mode_16_64 0
		.amdhsa_float_denorm_mode_32 3
		.amdhsa_float_denorm_mode_16_64 3
		.amdhsa_fp16_overflow 0
		.amdhsa_workgroup_processor_mode 1
		.amdhsa_memory_ordered 1
		.amdhsa_forward_progress 1
		.amdhsa_inst_pref_size 60
		.amdhsa_round_robin_scheduling 0
		.amdhsa_exception_fp_ieee_invalid_op 0
		.amdhsa_exception_fp_denorm_src 0
		.amdhsa_exception_fp_ieee_div_zero 0
		.amdhsa_exception_fp_ieee_overflow 0
		.amdhsa_exception_fp_ieee_underflow 0
		.amdhsa_exception_fp_ieee_inexact 0
		.amdhsa_exception_int_div_zero 0
	.end_amdhsa_kernel
	.section	.text._ZL13mul_mat_vec_qIL9ggml_type18ELi1ELb1ELb1EEvPKvS2_PKi31ggml_cuda_mm_fusion_args_devicePfj15HIP_vector_typeIjLj3EEjjjS8_jjjS8_jjjj,"axG",@progbits,_ZL13mul_mat_vec_qIL9ggml_type18ELi1ELb1ELb1EEvPKvS2_PKi31ggml_cuda_mm_fusion_args_devicePfj15HIP_vector_typeIjLj3EEjjjS8_jjjS8_jjjj,comdat
.Lfunc_end193:
	.size	_ZL13mul_mat_vec_qIL9ggml_type18ELi1ELb1ELb1EEvPKvS2_PKi31ggml_cuda_mm_fusion_args_devicePfj15HIP_vector_typeIjLj3EEjjjS8_jjjS8_jjjj, .Lfunc_end193-_ZL13mul_mat_vec_qIL9ggml_type18ELi1ELb1ELb1EEvPKvS2_PKi31ggml_cuda_mm_fusion_args_devicePfj15HIP_vector_typeIjLj3EEjjjS8_jjjS8_jjjj
                                        ; -- End function
	.set _ZL13mul_mat_vec_qIL9ggml_type18ELi1ELb1ELb1EEvPKvS2_PKi31ggml_cuda_mm_fusion_args_devicePfj15HIP_vector_typeIjLj3EEjjjS8_jjjS8_jjjj.num_vgpr, 89
	.set _ZL13mul_mat_vec_qIL9ggml_type18ELi1ELb1ELb1EEvPKvS2_PKi31ggml_cuda_mm_fusion_args_devicePfj15HIP_vector_typeIjLj3EEjjjS8_jjjS8_jjjj.num_agpr, 0
	.set _ZL13mul_mat_vec_qIL9ggml_type18ELi1ELb1ELb1EEvPKvS2_PKi31ggml_cuda_mm_fusion_args_devicePfj15HIP_vector_typeIjLj3EEjjjS8_jjjS8_jjjj.numbered_sgpr, 38
	.set _ZL13mul_mat_vec_qIL9ggml_type18ELi1ELb1ELb1EEvPKvS2_PKi31ggml_cuda_mm_fusion_args_devicePfj15HIP_vector_typeIjLj3EEjjjS8_jjjS8_jjjj.num_named_barrier, 0
	.set _ZL13mul_mat_vec_qIL9ggml_type18ELi1ELb1ELb1EEvPKvS2_PKi31ggml_cuda_mm_fusion_args_devicePfj15HIP_vector_typeIjLj3EEjjjS8_jjjS8_jjjj.private_seg_size, 0
	.set _ZL13mul_mat_vec_qIL9ggml_type18ELi1ELb1ELb1EEvPKvS2_PKi31ggml_cuda_mm_fusion_args_devicePfj15HIP_vector_typeIjLj3EEjjjS8_jjjS8_jjjj.uses_vcc, 1
	.set _ZL13mul_mat_vec_qIL9ggml_type18ELi1ELb1ELb1EEvPKvS2_PKi31ggml_cuda_mm_fusion_args_devicePfj15HIP_vector_typeIjLj3EEjjjS8_jjjS8_jjjj.uses_flat_scratch, 0
	.set _ZL13mul_mat_vec_qIL9ggml_type18ELi1ELb1ELb1EEvPKvS2_PKi31ggml_cuda_mm_fusion_args_devicePfj15HIP_vector_typeIjLj3EEjjjS8_jjjS8_jjjj.has_dyn_sized_stack, 0
	.set _ZL13mul_mat_vec_qIL9ggml_type18ELi1ELb1ELb1EEvPKvS2_PKi31ggml_cuda_mm_fusion_args_devicePfj15HIP_vector_typeIjLj3EEjjjS8_jjjS8_jjjj.has_recursion, 0
	.set _ZL13mul_mat_vec_qIL9ggml_type18ELi1ELb1ELb1EEvPKvS2_PKi31ggml_cuda_mm_fusion_args_devicePfj15HIP_vector_typeIjLj3EEjjjS8_jjjS8_jjjj.has_indirect_call, 0
	.section	.AMDGPU.csdata,"",@progbits
; Kernel info:
; codeLenInByte = 7672
; TotalNumSgprs: 40
; NumVgprs: 89
; ScratchSize: 0
; MemoryBound: 0
; FloatMode: 240
; IeeeMode: 1
; LDSByteSize: 0 bytes/workgroup (compile time only)
; SGPRBlocks: 0
; VGPRBlocks: 11
; NumSGPRsForWavesPerEU: 40
; NumVGPRsForWavesPerEU: 89
; Occupancy: 16
; WaveLimiterHint : 0
; COMPUTE_PGM_RSRC2:SCRATCH_EN: 0
; COMPUTE_PGM_RSRC2:USER_SGPR: 2
; COMPUTE_PGM_RSRC2:TRAP_HANDLER: 0
; COMPUTE_PGM_RSRC2:TGID_X_EN: 1
; COMPUTE_PGM_RSRC2:TGID_Y_EN: 1
; COMPUTE_PGM_RSRC2:TGID_Z_EN: 1
; COMPUTE_PGM_RSRC2:TIDIG_COMP_CNT: 1
	.section	.text._ZL13mul_mat_vec_qIL9ggml_type18ELi1ELb0ELb1EEvPKvS2_PKi31ggml_cuda_mm_fusion_args_devicePfj15HIP_vector_typeIjLj3EEjjjS8_jjjS8_jjjj,"axG",@progbits,_ZL13mul_mat_vec_qIL9ggml_type18ELi1ELb0ELb1EEvPKvS2_PKi31ggml_cuda_mm_fusion_args_devicePfj15HIP_vector_typeIjLj3EEjjjS8_jjjS8_jjjj,comdat
	.globl	_ZL13mul_mat_vec_qIL9ggml_type18ELi1ELb0ELb1EEvPKvS2_PKi31ggml_cuda_mm_fusion_args_devicePfj15HIP_vector_typeIjLj3EEjjjS8_jjjS8_jjjj ; -- Begin function _ZL13mul_mat_vec_qIL9ggml_type18ELi1ELb0ELb1EEvPKvS2_PKi31ggml_cuda_mm_fusion_args_devicePfj15HIP_vector_typeIjLj3EEjjjS8_jjjS8_jjjj
	.p2align	8
	.type	_ZL13mul_mat_vec_qIL9ggml_type18ELi1ELb0ELb1EEvPKvS2_PKi31ggml_cuda_mm_fusion_args_devicePfj15HIP_vector_typeIjLj3EEjjjS8_jjjS8_jjjj,@function
_ZL13mul_mat_vec_qIL9ggml_type18ELi1ELb0ELb1EEvPKvS2_PKi31ggml_cuda_mm_fusion_args_devicePfj15HIP_vector_typeIjLj3EEjjjS8_jjjS8_jjjj: ; @_ZL13mul_mat_vec_qIL9ggml_type18ELi1ELb0ELb1EEvPKvS2_PKi31ggml_cuda_mm_fusion_args_devicePfj15HIP_vector_typeIjLj3EEjjjS8_jjjS8_jjjj
; %bb.0:
	s_clause 0x1
	s_load_b64 s[2:3], s[0:1], 0x10
	s_load_b128 s[8:11], s[0:1], 0x40
	s_and_b32 s15, ttmp7, 0xffff
	s_wait_kmcnt 0x0
	s_cmp_lg_u64 s[2:3], 0
	s_cselect_b32 s12, -1, 0
	s_cmp_eq_u64 s[2:3], 0
	s_cbranch_scc1 .LBB194_13
; %bb.1:
	s_lshl_b32 s4, s15, 2
	s_load_b32 s19, s[2:3], s4 offset:0x0
	s_clause 0x1
	s_load_b128 s[4:7], s[0:1], 0x68
	s_load_b32 s20, s[0:1], 0x50
	s_cbranch_execnz .LBB194_3
.LBB194_2:
	s_load_b64 s[2:3], s[0:1], 0x5c
	s_wait_kmcnt 0x0
	s_mul_hi_u32 s2, s2, s15
	s_delay_alu instid0(SALU_CYCLE_1) | instskip(NEXT) | instid1(SALU_CYCLE_1)
	s_add_co_i32 s2, s15, s2
	s_lshr_b32 s19, s2, s3
.LBB194_3:
	s_load_b32 s21, s[0:1], 0x78
	s_and_not1_b32 vcc_lo, exec_lo, s12
	s_mov_b32 s2, s15
	s_cbranch_vccnz .LBB194_5
; %bb.4:
	s_mul_hi_u32 s2, s9, s15
	s_delay_alu instid0(SALU_CYCLE_1) | instskip(NEXT) | instid1(SALU_CYCLE_1)
	s_add_co_i32 s2, s15, s2
	s_lshr_b32 s2, s2, s10
	s_delay_alu instid0(SALU_CYCLE_1) | instskip(NEXT) | instid1(SALU_CYCLE_1)
	s_mul_i32 s2, s2, s11
	s_sub_co_i32 s2, s15, s2
.LBB194_5:
	s_load_b96 s[12:14], s[0:1], 0x80
	v_bfe_u32 v7, v0, 10, 10
	v_and_b32_e32 v6, 0x3ff, v0
	v_mov_b32_e32 v8, 0
	s_lshr_b32 s18, s8, 8
	s_lshr_b32 s16, ttmp7, 16
	s_mov_b32 s17, exec_lo
	v_lshl_or_b32 v0, v7, 5, v6
	s_delay_alu instid0(VALU_DEP_1) | instskip(NEXT) | instid1(VALU_DEP_1)
	v_lshrrev_b32_e32 v9, 3, v0
	v_cmpx_gt_u32_e64 s18, v9
	s_cbranch_execz .LBB194_9
; %bb.6:
	v_lshrrev_b32_e32 v0, 3, v0
	s_wait_kmcnt 0x0
	s_mul_i32 s2, s2, s5
	s_mov_b32 s3, 0
	v_and_b32_e32 v2, 7, v6
	s_mul_u64 s[8:9], s[2:3], 36
	s_mul_i32 s2, s13, s16
	v_mad_co_u64_u32 v[0:1], null, 0x120, v0, s[8:9]
	s_load_b128 s[8:11], s[0:1], 0x0
	v_dual_mov_b32 v8, 0 :: v_dual_lshlrev_b32 v3, 1, v6
	s_mul_i32 s20, s20, ttmp9
	v_mad_co_u64_u32 v[0:1], null, s2, 36, v[0:1]
	s_mul_hi_u32 s2, s7, s16
	s_mul_i32 s7, s19, s4
	s_wait_alu 0xfffe
	s_add_co_i32 s2, s16, s2
	s_wait_alu 0xfffe
	s_lshr_b32 s2, s2, s21
	v_mad_co_u64_u32 v[0:1], null, v2, 36, v[0:1]
	v_and_b32_e32 v2, 14, v3
	s_wait_alu 0xfffe
	s_mul_i32 s2, s2, s12
	s_wait_alu 0xfffe
	s_add_co_i32 s2, s2, s20
	v_lshlrev_b32_e32 v3, 1, v2
	s_wait_kmcnt 0x0
	v_add_co_u32 v0, vcc_lo, s10, v0
	s_delay_alu instid0(VALU_DEP_1) | instskip(NEXT) | instid1(VALU_DEP_3)
	v_add_co_ci_u32_e64 v1, null, s11, v1, vcc_lo
	v_lshlrev_b32_e32 v10, 1, v3
	s_delay_alu instid0(VALU_DEP_3) | instskip(SKIP_1) | instid1(VALU_DEP_3)
	v_add_co_u32 v4, vcc_lo, v0, 32
	s_wait_alu 0xfffd
	v_add_co_ci_u32_e64 v5, null, 0, v1, vcc_lo
	v_lshlrev_b32_e32 v11, 1, v2
	s_wait_alu 0xfffe
	s_add_co_i32 s7, s7, s2
.LBB194_7:                              ; =>This Inner Loop Header: Depth=1
	s_delay_alu instid0(SALU_CYCLE_1)
	v_add_nc_u32_e32 v0, s7, v9
	s_getpc_b64 s[4:5]
	s_sext_i32_i16 s5, s5
	s_add_co_u32 s4, s4, _ZL11iq3xxs_grid@rel32@lo+8
	s_add_co_ci_u32 s5, s5, _ZL11iq3xxs_grid@rel32@hi+16
	v_add_nc_u32_e32 v9, 4, v9
	v_mad_co_i64_i32 v[13:14], null, 0x62, v0, s[8:9]
	s_delay_alu instid0(VALU_DEP_2)
	v_cmp_le_u32_e64 s2, s18, v9
	s_or_b32 s3, s2, s3
	v_add_co_u32 v0, vcc_lo, v13, v10
	s_wait_alu 0xfffd
	v_add_co_ci_u32_e64 v1, null, 0, v14, vcc_lo
	v_add_co_u32 v17, vcc_lo, v13, v11
	s_wait_alu 0xfffd
	v_add_co_ci_u32_e64 v18, null, 0, v14, vcc_lo
	global_load_b64 v[15:16], v[0:1], off offset:2
	global_load_b128 v[0:3], v[4:5], off offset:-32
	s_clause 0x1
	global_load_b32 v12, v[17:18], off offset:66
	global_load_u16 v17, v[13:14], off
	s_wait_loadcnt 0x3
	v_lshrrev_b32_e32 v14, 6, v15
	s_wait_loadcnt 0x2
	v_cvt_f32_f16_e32 v0, v0
	v_and_b32_e32 v13, 0xff, v15
	v_lshrrev_b32_e32 v18, 14, v15
	v_lshrrev_b32_e32 v15, 22, v15
	v_and_b32_e32 v19, 0xff, v16
	v_lshrrev_b32_e32 v20, 6, v16
	v_lshrrev_b32_e32 v21, 14, v16
	;; [unrolled: 1-line block ×3, first 2 shown]
	v_lshlrev_b32_e32 v13, 2, v13
	v_and_b32_e32 v14, 0x3fc, v14
	v_and_b32_e32 v18, 0x3fc, v18
	;; [unrolled: 1-line block ×3, first 2 shown]
	v_lshlrev_b32_e32 v19, 2, v19
	v_and_b32_e32 v20, 0x3fc, v20
	v_and_b32_e32 v21, 0x3fc, v21
	;; [unrolled: 1-line block ×3, first 2 shown]
	s_clause 0x7
	global_load_b32 v22, v13, s[4:5]
	global_load_b32 v23, v14, s[4:5]
	;; [unrolled: 1-line block ×8, first 2 shown]
	s_clause 0x1
	global_load_b128 v[13:16], v[4:5], off offset:-16
	global_load_b32 v26, v[4:5], off
	s_wait_loadcnt 0xb
	v_and_b32_e32 v27, 0xff, v12
	v_bfe_u32 v28, v12, 7, 8
	v_bfe_u32 v30, v12, 21, 8
	;; [unrolled: 1-line block ×3, first 2 shown]
	s_delay_alu instid0(VALU_DEP_4) | instskip(NEXT) | instid1(VALU_DEP_4)
	v_bcnt_u32_b32 v31, v27, 0
	v_bcnt_u32_b32 v32, v28, 0
	s_delay_alu instid0(VALU_DEP_4) | instskip(NEXT) | instid1(VALU_DEP_4)
	v_bcnt_u32_b32 v34, v30, 0
	v_bcnt_u32_b32 v33, v29, 0
	s_delay_alu instid0(VALU_DEP_4) | instskip(NEXT) | instid1(VALU_DEP_4)
	v_and_b32_e32 v31, 1, v31
	v_and_b32_e32 v32, 1, v32
	s_delay_alu instid0(VALU_DEP_4) | instskip(NEXT) | instid1(VALU_DEP_4)
	v_and_b32_e32 v34, 1, v34
	v_and_b32_e32 v33, 1, v33
	s_delay_alu instid0(VALU_DEP_4) | instskip(NEXT) | instid1(VALU_DEP_4)
	v_lshlrev_b32_e32 v31, 7, v31
	v_lshlrev_b32_e32 v32, 7, v32
	s_delay_alu instid0(VALU_DEP_4) | instskip(NEXT) | instid1(VALU_DEP_4)
	v_lshlrev_b32_e32 v34, 7, v34
	v_lshlrev_b32_e32 v33, 7, v33
	s_delay_alu instid0(VALU_DEP_4) | instskip(NEXT) | instid1(VALU_DEP_4)
	v_xor_b32_e32 v27, v31, v27
	v_xor_b32_e32 v28, v32, v28
	s_delay_alu instid0(VALU_DEP_4) | instskip(NEXT) | instid1(VALU_DEP_4)
	v_xor_b32_e32 v30, v34, v30
	v_xor_b32_e32 v29, v33, v29
	s_delay_alu instid0(VALU_DEP_4) | instskip(NEXT) | instid1(VALU_DEP_4)
	v_mul_lo_u32 v27, 0x1010101, v27
	v_mul_lo_u32 v28, 0x1010101, v28
	s_delay_alu instid0(VALU_DEP_4) | instskip(NEXT) | instid1(VALU_DEP_4)
	v_mul_lo_u32 v30, 0x1010101, v30
	v_mul_lo_u32 v29, 0x1010101, v29
	s_delay_alu instid0(VALU_DEP_4)
	v_and_b32_e32 v31, 0x8040201, v27
	v_and_b32_e32 v34, 0x80402010, v27
	v_and_b32_e32 v35, 0x8040201, v28
	v_and_b32_e32 v38, 0x80402010, v28
	v_and_b32_e32 v39, 0x8040201, v29
	v_lshrrev_b16 v47, 8, v31
	v_lshrrev_b32_e32 v31, 24, v31
	v_lshrrev_b16 v49, 8, v34
	v_lshrrev_b32_e32 v50, 24, v34
	v_lshrrev_b16 v51, 8, v35
	v_cmp_ne_u16_e32 vcc_lo, 0, v47
	v_lshrrev_b32_e32 v35, 24, v35
	v_lshrrev_b16 v53, 8, v38
	v_lshrrev_b32_e32 v54, 24, v38
	v_lshrrev_b16 v55, 8, v39
	s_wait_alu 0xfffd
	v_cndmask_b32_e64 v47, 0, -1, vcc_lo
	v_cmp_ne_u16_e32 vcc_lo, 0, v31
	v_and_b32_e32 v42, 0x80402010, v29
	v_lshrrev_b32_e32 v39, 24, v39
	v_and_b32_e32 v43, 0x8040201, v30
	v_lshrrev_b32_e32 v32, 18, v27
	s_wait_alu 0xfffd
	v_cndmask_b32_e64 v31, 0, -1, vcc_lo
	v_cmp_ne_u16_e32 vcc_lo, 0, v49
	v_lshrrev_b16 v57, 8, v42
	v_lshrrev_b32_e32 v58, 24, v42
	v_lshrrev_b16 v59, 8, v43
	v_bfe_i32 v33, v27, 0, 1
	s_wait_alu 0xfffd
	v_cndmask_b32_e64 v49, 0, -1, vcc_lo
	v_cmp_ne_u16_e32 vcc_lo, 0, v50
	v_lshrrev_b32_e32 v27, 22, v27
	v_lshrrev_b32_e32 v36, 18, v28
	v_and_b32_e32 v46, 0x80402010, v30
	v_bfe_i32 v32, v32, 0, 1
	s_wait_alu 0xfffd
	v_cndmask_b32_e64 v50, 0, -1, vcc_lo
	v_cmp_ne_u16_e32 vcc_lo, 0, v51
	v_lshrrev_b16 v34, 4, v34
	v_lshrrev_b32_e32 v43, 24, v43
	v_bfe_i32 v37, v28, 0, 1
	v_lshrrev_b32_e32 v40, 18, v29
	s_wait_alu 0xfffd
	v_cndmask_b32_e64 v51, 0, -1, vcc_lo
	v_cmp_ne_u16_e32 vcc_lo, 0, v35
	v_lshrrev_b32_e32 v44, 18, v30
	v_and_b32_e32 v48, 0xff, v33
	v_bfe_i32 v27, v27, 0, 1
	v_bfe_i32 v36, v36, 0, 1
	s_wait_alu 0xfffd
	v_cndmask_b32_e64 v35, 0, -1, vcc_lo
	v_cmp_ne_u16_e32 vcc_lo, 0, v53
	v_lshrrev_b16 v61, 8, v46
	v_and_b32_e32 v63, 0xff, v32
	v_bfe_i32 v34, v34, 0, 1
	v_lshlrev_b16 v47, 8, v47
	s_wait_alu 0xfffd
	v_cndmask_b32_e64 v53, 0, -1, vcc_lo
	v_cmp_ne_u16_e32 vcc_lo, 0, v54
	v_lshlrev_b16 v31, 8, v31
	v_lshrrev_b32_e32 v28, 22, v28
	v_bfe_i32 v41, v29, 0, 1
	v_bfe_i32 v45, v30, 0, 1
	s_wait_alu 0xfffd
	v_cndmask_b32_e64 v54, 0, -1, vcc_lo
	v_cmp_ne_u16_e32 vcc_lo, 0, v55
	v_and_b32_e32 v52, 0xff, v37
	v_lshrrev_b16 v38, 4, v38
	v_bfe_i32 v40, v40, 0, 1
	v_bfe_i32 v44, v44, 0, 1
	s_wait_alu 0xfffd
	v_cndmask_b32_e64 v55, 0, -1, vcc_lo
	v_cmp_ne_u16_e32 vcc_lo, 0, v39
	v_lshrrev_b32_e32 v62, 24, v46
	v_and_b32_e32 v64, 0xff, v27
	v_and_b32_e32 v65, 0xff, v36
	;; [unrolled: 1-line block ×3, first 2 shown]
	s_wait_alu 0xfffd
	v_cndmask_b32_e64 v39, 0, -1, vcc_lo
	v_cmp_ne_u16_e32 vcc_lo, 0, v57
	v_lshlrev_b16 v49, 8, v49
	v_lshlrev_b16 v50, 8, v50
	;; [unrolled: 1-line block ×4, first 2 shown]
	s_wait_alu 0xfffd
	v_cndmask_b32_e64 v57, 0, -1, vcc_lo
	v_cmp_ne_u16_e32 vcc_lo, 0, v58
	v_or_b32_e32 v48, v48, v47
	v_or_b32_e32 v63, v63, v31
	v_lshrrev_b32_e32 v29, 22, v29
	v_lshrrev_b32_e32 v30, 22, v30
	s_wait_alu 0xfffd
	v_cndmask_b32_e64 v58, 0, -1, vcc_lo
	v_cmp_ne_u16_e32 vcc_lo, 0, v59
	v_bfe_i32 v28, v28, 0, 1
	v_and_b32_e32 v56, 0xff, v41
	v_lshrrev_b16 v42, 4, v42
	v_and_b32_e32 v60, 0xff, v45
	s_wait_alu 0xfffd
	v_cndmask_b32_e64 v59, 0, -1, vcc_lo
	v_cmp_ne_u16_e32 vcc_lo, 0, v43
	v_lshrrev_b16 v46, 4, v46
	v_bfe_i32 v38, v38, 0, 1
	v_and_b32_e32 v67, 0xff, v40
	v_and_b32_e32 v69, 0xff, v44
	s_wait_alu 0xfffd
	v_cndmask_b32_e64 v43, 0, -1, vcc_lo
	v_cmp_ne_u16_e32 vcc_lo, 0, v61
	v_lshlrev_b16 v55, 8, v55
	v_lshlrev_b16 v39, 8, v39
	;; [unrolled: 1-line block ×4, first 2 shown]
	s_wait_alu 0xfffd
	v_cndmask_b32_e64 v61, 0, -1, vcc_lo
	v_cmp_ne_u16_e32 vcc_lo, 0, v62
	v_or_b32_e32 v71, v71, v49
	v_or_b32_e32 v64, v64, v50
	;; [unrolled: 1-line block ×4, first 2 shown]
	v_and_b32_e32 v48, 0xffff, v48
	v_lshlrev_b32_e32 v63, 16, v63
	v_bfe_i32 v29, v29, 0, 1
	v_bfe_i32 v30, v30, 0, 1
	v_and_b32_e32 v66, 0xff, v28
	v_bfe_i32 v42, v42, 0, 1
	v_bfe_i32 v46, v46, 0, 1
	s_wait_alu 0xfffd
	v_cndmask_b32_e64 v62, 0, -1, vcc_lo
	v_and_b32_e32 v72, 0xff, v38
	v_lshlrev_b16 v53, 8, v53
	v_lshlrev_b16 v54, 8, v54
	v_or_b32_e32 v56, v56, v55
	v_or_b32_e32 v67, v67, v39
	;; [unrolled: 1-line block ×4, first 2 shown]
	v_and_b32_e32 v71, 0xffff, v71
	v_lshlrev_b32_e32 v64, 16, v64
	v_and_b32_e32 v52, 0xffff, v52
	v_lshlrev_b32_e32 v65, 16, v65
	v_or_b32_e32 v48, v48, v63
	v_and_b32_e32 v68, 0xff, v29
	v_and_b32_e32 v70, 0xff, v30
	;; [unrolled: 1-line block ×3, first 2 shown]
	v_lshlrev_b16 v57, 8, v57
	v_lshlrev_b16 v58, 8, v58
	v_and_b32_e32 v74, 0xff, v46
	v_lshlrev_b16 v61, 8, v61
	v_lshlrev_b16 v62, 8, v62
	v_or_b32_e32 v72, v72, v53
	v_or_b32_e32 v66, v66, v54
	v_and_b32_e32 v56, 0xffff, v56
	v_lshlrev_b32_e32 v67, 16, v67
	v_and_b32_e32 v60, 0xffff, v60
	v_lshlrev_b32_e32 v69, 16, v69
	v_or_b32_e32 v63, v71, v64
	v_or_b32_e32 v52, v52, v65
	v_lshlrev_b16 v33, 8, v33
	v_or_b32_e32 v73, v73, v57
	v_or_b32_e32 v68, v68, v58
	;; [unrolled: 1-line block ×4, first 2 shown]
	v_and_b32_e32 v72, 0xffff, v72
	v_lshlrev_b32_e32 v66, 16, v66
	v_or_b32_e32 v56, v56, v67
	v_or_b32_e32 v60, v60, v69
	v_lshlrev_b16 v32, 8, v32
	v_lshlrev_b16 v34, 8, v34
	v_and_b32_e32 v73, 0xffff, v73
	v_lshlrev_b32_e32 v68, 16, v68
	v_and_b32_e32 v74, 0xffff, v74
	v_lshlrev_b32_e32 v70, 16, v70
	v_or_b32_e32 v64, v72, v66
	v_lshlrev_b16 v37, 8, v37
	v_lshlrev_b16 v27, 8, v27
	v_or_b32_e32 v65, v73, v68
	v_or_b32_e32 v66, v74, v70
	v_lshlrev_b16 v36, 8, v36
	v_lshlrev_b16 v38, 8, v38
	;; [unrolled: 1-line block ×11, first 2 shown]
	v_add_co_u32 v4, vcc_lo, 0x480, v4
	s_wait_alu 0xfffd
	v_add_co_ci_u32_e64 v5, null, 0, v5, vcc_lo
	s_wait_loadcnt 0x9
	v_xor_b32_e32 v22, v22, v48
	s_wait_loadcnt 0x8
	v_xor_b32_e32 v23, v23, v63
	;; [unrolled: 2-line block ×5, first 2 shown]
	v_lshrrev_b32_e32 v48, 16, v22
	v_and_b32_e32 v52, 0xffffff00, v22
	v_lshlrev_b16 v22, 8, v22
	s_wait_loadcnt 0x3
	v_xor_b32_e32 v21, v21, v60
	v_lshrrev_b32_e32 v56, 16, v23
	v_and_b32_e32 v60, 0xffffff00, v23
	v_lshlrev_b16 v23, 8, v23
	v_sub_nc_i16 v22, v22, v33 clamp
	v_and_b32_e32 v33, 0xffffff00, v48
	v_lshlrev_b16 v48, 8, v48
	v_lshrrev_b32_e32 v63, 16, v18
	v_and_b32_e32 v64, 0xffffff00, v18
	v_lshlrev_b16 v18, 8, v18
	v_sub_nc_i16 v47, v52, v47 clamp
	v_sub_nc_i16 v23, v23, v34 clamp
	v_and_b32_e32 v34, 0xffffff00, v56
	v_lshlrev_b16 v52, 8, v56
	v_sub_nc_i16 v31, v33, v31 clamp
	v_sub_nc_i16 v32, v48, v32 clamp
	v_xor_b32_e32 v20, v20, v65
	s_wait_loadcnt 0x2
	v_xor_b32_e32 v25, v25, v66
	v_lshrrev_b32_e32 v65, 16, v24
	v_and_b32_e32 v66, 0xffffff00, v24
	v_lshlrev_b16 v24, 8, v24
	v_sub_nc_i16 v49, v60, v49 clamp
	v_sub_nc_i16 v18, v18, v37 clamp
	v_and_b32_e32 v37, 0xffffff00, v63
	v_lshlrev_b16 v56, 8, v63
	v_perm_b32 v22, v22, v47, 0xc0c0105
	v_sub_nc_i16 v33, v34, v50 clamp
	v_sub_nc_i16 v27, v52, v27 clamp
	v_perm_b32 v31, v32, v31, 0xc0c0105
	v_lshrrev_b32_e32 v67, 16, v19
	v_and_b32_e32 v68, 0xffffff00, v19
	v_lshlrev_b16 v19, 8, v19
	v_sub_nc_i16 v51, v64, v51 clamp
	v_sub_nc_i16 v24, v24, v38 clamp
	v_and_b32_e32 v38, 0xffffff00, v65
	v_lshlrev_b16 v60, 8, v65
	v_perm_b32 v23, v23, v49, 0xc0c0105
	v_sub_nc_i16 v34, v37, v35 clamp
	v_sub_nc_i16 v35, v56, v36 clamp
	v_perm_b32 v27, v27, v33, 0xc0c0105
	v_lshl_or_b32 v22, v31, 16, v22
	v_lshrrev_b32_e32 v69, 16, v20
	v_and_b32_e32 v70, 0xffffff00, v20
	v_lshlrev_b16 v20, 8, v20
	v_sub_nc_i16 v53, v66, v53 clamp
	v_sub_nc_i16 v19, v19, v41 clamp
	v_and_b32_e32 v41, 0xffffff00, v67
	v_lshlrev_b16 v63, 8, v67
	v_perm_b32 v18, v18, v51, 0xc0c0105
	v_sub_nc_i16 v36, v38, v54 clamp
	v_sub_nc_i16 v28, v60, v28 clamp
	v_perm_b32 v31, v35, v34, 0xc0c0105
	v_lshl_or_b32 v23, v27, 16, v23
	v_dot4_i32_iu8 v1, v22, v1, 0 neg_lo:[1,1,0]
	v_lshrrev_b32_e32 v71, 16, v21
	v_and_b32_e32 v72, 0xffffff00, v21
	v_lshlrev_b16 v21, 8, v21
	v_sub_nc_i16 v55, v68, v55 clamp
	v_sub_nc_i16 v20, v20, v42 clamp
	v_and_b32_e32 v42, 0xffffff00, v69
	v_lshlrev_b16 v64, 8, v69
	v_perm_b32 v24, v24, v53, 0xc0c0105
	v_sub_nc_i16 v37, v41, v39 clamp
	v_sub_nc_i16 v38, v63, v40 clamp
	v_perm_b32 v27, v28, v36, 0xc0c0105
	v_lshl_or_b32 v18, v31, 16, v18
	v_dot4_i32_iu8 v1, v23, v2, v1 neg_lo:[1,1,0]
	;; [unrolled: 13-line block ×3, first 2 shown]
	v_sub_nc_i16 v59, v72, v59 clamp
	v_sub_nc_i16 v25, v25, v46 clamp
	v_and_b32_e32 v46, 0xffffff00, v73
	v_lshlrev_b16 v66, 8, v73
	v_perm_b32 v20, v20, v57, 0xc0c0105
	v_sub_nc_i16 v22, v45, v43 clamp
	v_sub_nc_i16 v2, v65, v44 clamp
	v_perm_b32 v18, v29, v32, 0xc0c0105
	v_lshl_or_b32 v19, v23, 16, v19
	s_wait_loadcnt 0x1
	v_dot4_i32_iu8 v1, v24, v13, v1 neg_lo:[1,1,0]
	v_sub_nc_i16 v61, v74, v61 clamp
	v_perm_b32 v21, v21, v59, 0xc0c0105
	v_sub_nc_i16 v3, v46, v62 clamp
	v_sub_nc_i16 v13, v66, v30 clamp
	v_perm_b32 v2, v2, v22, 0xc0c0105
	v_lshl_or_b32 v18, v18, 16, v20
	v_dot4_i32_iu8 v1, v19, v14, v1 neg_lo:[1,1,0]
	v_perm_b32 v14, v25, v61, 0xc0c0105
	v_perm_b32 v3, v13, v3, 0xc0c0105
	v_lshl_or_b32 v2, v2, 16, v21
	s_delay_alu instid0(VALU_DEP_4) | instskip(NEXT) | instid1(VALU_DEP_3)
	v_dot4_i32_iu8 v1, v18, v15, v1 neg_lo:[1,1,0]
	v_lshl_or_b32 v3, v3, 16, v14
	s_delay_alu instid0(VALU_DEP_2) | instskip(SKIP_1) | instid1(VALU_DEP_1)
	v_dot4_i32_iu8 v1, v2, v16, v1 neg_lo:[1,1,0]
	s_wait_loadcnt 0x0
	v_dot4_i32_iu8 v2, v3, v26, v1 neg_lo:[1,1,0]
	v_lshrrev_b32_e32 v3, 28, v12
	s_delay_alu instid0(VALU_DEP_2) | instskip(NEXT) | instid1(VALU_DEP_1)
	v_lshrrev_b32_e32 v1, 31, v2
	v_add_nc_u32_e32 v1, v2, v1
	s_delay_alu instid0(VALU_DEP_1) | instskip(NEXT) | instid1(VALU_DEP_1)
	v_ashrrev_i32_e32 v1, 1, v1
	v_mad_co_u64_u32 v[1:2], null, v2, v3, v[1:2]
	s_delay_alu instid0(VALU_DEP_1) | instskip(NEXT) | instid1(VALU_DEP_1)
	v_lshrrev_b32_e32 v2, 31, v1
	v_add_nc_u32_e32 v1, v1, v2
	v_cvt_f32_f16_e32 v2, v17
	s_delay_alu instid0(VALU_DEP_2) | instskip(NEXT) | instid1(VALU_DEP_2)
	v_ashrrev_i32_e32 v1, 1, v1
	v_mul_f32_e32 v0, v2, v0
	s_delay_alu instid0(VALU_DEP_2) | instskip(NEXT) | instid1(VALU_DEP_1)
	v_cvt_f32_i32_e32 v1, v1
	v_fmac_f32_e32 v8, v0, v1
	s_wait_alu 0xfffe
	s_and_not1_b32 exec_lo, exec_lo, s3
	s_cbranch_execnz .LBB194_7
; %bb.8:
	s_or_b32 exec_lo, exec_lo, s3
.LBB194_9:
	s_delay_alu instid0(SALU_CYCLE_1)
	s_or_b32 exec_lo, exec_lo, s17
	; wave barrier
	global_inv scope:SCOPE_SE
	s_mov_b32 s2, exec_lo
	v_cmpx_eq_u32_e32 0, v7
	s_cbranch_execz .LBB194_12
; %bb.10:
	v_mbcnt_lo_u32_b32 v0, -1, 0
	s_delay_alu instid0(VALU_DEP_1) | instskip(SKIP_2) | instid1(VALU_DEP_3)
	v_xor_b32_e32 v1, 16, v0
	v_xor_b32_e32 v2, 8, v0
	v_xor_b32_e32 v3, 4, v0
	v_cmp_gt_i32_e32 vcc_lo, 32, v1
	s_wait_alu 0xfffd
	v_cndmask_b32_e32 v1, v0, v1, vcc_lo
	v_cmp_gt_i32_e32 vcc_lo, 32, v2
	s_wait_alu 0xfffd
	v_cndmask_b32_e32 v2, v0, v2, vcc_lo
	;; [unrolled: 3-line block ×3, first 2 shown]
	s_delay_alu instid0(VALU_DEP_1)
	v_lshlrev_b32_e32 v3, 2, v3
	v_lshlrev_b32_e32 v2, 2, v2
	v_lshlrev_b32_e32 v1, 2, v1
	ds_bpermute_b32 v1, v1, v8
	s_wait_dscnt 0x0
	v_add_f32_e32 v1, v8, v1
	ds_bpermute_b32 v2, v2, v1
	s_wait_dscnt 0x0
	v_add_f32_e32 v1, v1, v2
	ds_bpermute_b32 v2, v3, v1
	v_xor_b32_e32 v3, 2, v0
	s_delay_alu instid0(VALU_DEP_1) | instskip(SKIP_2) | instid1(VALU_DEP_1)
	v_cmp_gt_i32_e32 vcc_lo, 32, v3
	s_wait_alu 0xfffd
	v_cndmask_b32_e32 v3, v0, v3, vcc_lo
	v_lshlrev_b32_e32 v3, 2, v3
	s_wait_dscnt 0x0
	v_add_f32_e32 v1, v1, v2
	ds_bpermute_b32 v2, v3, v1
	v_xor_b32_e32 v3, 1, v0
	s_delay_alu instid0(VALU_DEP_1) | instskip(SKIP_4) | instid1(VALU_DEP_2)
	v_cmp_gt_i32_e32 vcc_lo, 32, v3
	s_wait_alu 0xfffd
	v_cndmask_b32_e32 v0, v0, v3, vcc_lo
	v_cmp_eq_u32_e32 vcc_lo, 0, v6
	s_wait_dscnt 0x0
	v_dual_add_f32 v0, v1, v2 :: v_dual_lshlrev_b32 v3, 2, v0
	ds_bpermute_b32 v1, v3, v0
	s_and_b32 exec_lo, exec_lo, vcc_lo
	s_cbranch_execz .LBB194_12
; %bb.11:
	s_load_b64 s[0:1], s[0:1], 0x38
	s_wait_kmcnt 0x0
	s_mul_i32 s2, s6, s15
	s_mul_i32 s3, s14, s16
	s_wait_alu 0xfffe
	s_add_co_i32 s2, s2, ttmp9
	s_wait_dscnt 0x0
	v_dual_add_f32 v0, v0, v1 :: v_dual_mov_b32 v1, 0
	s_wait_alu 0xfffe
	s_add_co_i32 s2, s2, s3
	s_mov_b32 s3, 0
	s_wait_alu 0xfffe
	s_lshl_b64 s[2:3], s[2:3], 2
	s_wait_alu 0xfffe
	s_add_nc_u64 s[0:1], s[0:1], s[2:3]
	global_store_b32 v1, v0, s[0:1]
.LBB194_12:
	s_endpgm
.LBB194_13:
                                        ; implicit-def: $sgpr19
	s_clause 0x1
	s_load_b128 s[4:7], s[0:1], 0x68
	s_load_b32 s20, s[0:1], 0x50
	s_branch .LBB194_2
	.section	.rodata,"a",@progbits
	.p2align	6, 0x0
	.amdhsa_kernel _ZL13mul_mat_vec_qIL9ggml_type18ELi1ELb0ELb1EEvPKvS2_PKi31ggml_cuda_mm_fusion_args_devicePfj15HIP_vector_typeIjLj3EEjjjS8_jjjS8_jjjj
		.amdhsa_group_segment_fixed_size 0
		.amdhsa_private_segment_fixed_size 0
		.amdhsa_kernarg_size 144
		.amdhsa_user_sgpr_count 2
		.amdhsa_user_sgpr_dispatch_ptr 0
		.amdhsa_user_sgpr_queue_ptr 0
		.amdhsa_user_sgpr_kernarg_segment_ptr 1
		.amdhsa_user_sgpr_dispatch_id 0
		.amdhsa_user_sgpr_private_segment_size 0
		.amdhsa_wavefront_size32 1
		.amdhsa_uses_dynamic_stack 0
		.amdhsa_enable_private_segment 0
		.amdhsa_system_sgpr_workgroup_id_x 1
		.amdhsa_system_sgpr_workgroup_id_y 1
		.amdhsa_system_sgpr_workgroup_id_z 1
		.amdhsa_system_sgpr_workgroup_info 0
		.amdhsa_system_vgpr_workitem_id 1
		.amdhsa_next_free_vgpr 75
		.amdhsa_next_free_sgpr 22
		.amdhsa_reserve_vcc 1
		.amdhsa_float_round_mode_32 0
		.amdhsa_float_round_mode_16_64 0
		.amdhsa_float_denorm_mode_32 3
		.amdhsa_float_denorm_mode_16_64 3
		.amdhsa_fp16_overflow 0
		.amdhsa_workgroup_processor_mode 1
		.amdhsa_memory_ordered 1
		.amdhsa_forward_progress 1
		.amdhsa_inst_pref_size 29
		.amdhsa_round_robin_scheduling 0
		.amdhsa_exception_fp_ieee_invalid_op 0
		.amdhsa_exception_fp_denorm_src 0
		.amdhsa_exception_fp_ieee_div_zero 0
		.amdhsa_exception_fp_ieee_overflow 0
		.amdhsa_exception_fp_ieee_underflow 0
		.amdhsa_exception_fp_ieee_inexact 0
		.amdhsa_exception_int_div_zero 0
	.end_amdhsa_kernel
	.section	.text._ZL13mul_mat_vec_qIL9ggml_type18ELi1ELb0ELb1EEvPKvS2_PKi31ggml_cuda_mm_fusion_args_devicePfj15HIP_vector_typeIjLj3EEjjjS8_jjjS8_jjjj,"axG",@progbits,_ZL13mul_mat_vec_qIL9ggml_type18ELi1ELb0ELb1EEvPKvS2_PKi31ggml_cuda_mm_fusion_args_devicePfj15HIP_vector_typeIjLj3EEjjjS8_jjjS8_jjjj,comdat
.Lfunc_end194:
	.size	_ZL13mul_mat_vec_qIL9ggml_type18ELi1ELb0ELb1EEvPKvS2_PKi31ggml_cuda_mm_fusion_args_devicePfj15HIP_vector_typeIjLj3EEjjjS8_jjjS8_jjjj, .Lfunc_end194-_ZL13mul_mat_vec_qIL9ggml_type18ELi1ELb0ELb1EEvPKvS2_PKi31ggml_cuda_mm_fusion_args_devicePfj15HIP_vector_typeIjLj3EEjjjS8_jjjS8_jjjj
                                        ; -- End function
	.set _ZL13mul_mat_vec_qIL9ggml_type18ELi1ELb0ELb1EEvPKvS2_PKi31ggml_cuda_mm_fusion_args_devicePfj15HIP_vector_typeIjLj3EEjjjS8_jjjS8_jjjj.num_vgpr, 75
	.set _ZL13mul_mat_vec_qIL9ggml_type18ELi1ELb0ELb1EEvPKvS2_PKi31ggml_cuda_mm_fusion_args_devicePfj15HIP_vector_typeIjLj3EEjjjS8_jjjS8_jjjj.num_agpr, 0
	.set _ZL13mul_mat_vec_qIL9ggml_type18ELi1ELb0ELb1EEvPKvS2_PKi31ggml_cuda_mm_fusion_args_devicePfj15HIP_vector_typeIjLj3EEjjjS8_jjjS8_jjjj.numbered_sgpr, 22
	.set _ZL13mul_mat_vec_qIL9ggml_type18ELi1ELb0ELb1EEvPKvS2_PKi31ggml_cuda_mm_fusion_args_devicePfj15HIP_vector_typeIjLj3EEjjjS8_jjjS8_jjjj.num_named_barrier, 0
	.set _ZL13mul_mat_vec_qIL9ggml_type18ELi1ELb0ELb1EEvPKvS2_PKi31ggml_cuda_mm_fusion_args_devicePfj15HIP_vector_typeIjLj3EEjjjS8_jjjS8_jjjj.private_seg_size, 0
	.set _ZL13mul_mat_vec_qIL9ggml_type18ELi1ELb0ELb1EEvPKvS2_PKi31ggml_cuda_mm_fusion_args_devicePfj15HIP_vector_typeIjLj3EEjjjS8_jjjS8_jjjj.uses_vcc, 1
	.set _ZL13mul_mat_vec_qIL9ggml_type18ELi1ELb0ELb1EEvPKvS2_PKi31ggml_cuda_mm_fusion_args_devicePfj15HIP_vector_typeIjLj3EEjjjS8_jjjS8_jjjj.uses_flat_scratch, 0
	.set _ZL13mul_mat_vec_qIL9ggml_type18ELi1ELb0ELb1EEvPKvS2_PKi31ggml_cuda_mm_fusion_args_devicePfj15HIP_vector_typeIjLj3EEjjjS8_jjjS8_jjjj.has_dyn_sized_stack, 0
	.set _ZL13mul_mat_vec_qIL9ggml_type18ELi1ELb0ELb1EEvPKvS2_PKi31ggml_cuda_mm_fusion_args_devicePfj15HIP_vector_typeIjLj3EEjjjS8_jjjS8_jjjj.has_recursion, 0
	.set _ZL13mul_mat_vec_qIL9ggml_type18ELi1ELb0ELb1EEvPKvS2_PKi31ggml_cuda_mm_fusion_args_devicePfj15HIP_vector_typeIjLj3EEjjjS8_jjjS8_jjjj.has_indirect_call, 0
	.section	.AMDGPU.csdata,"",@progbits
; Kernel info:
; codeLenInByte = 3600
; TotalNumSgprs: 24
; NumVgprs: 75
; ScratchSize: 0
; MemoryBound: 0
; FloatMode: 240
; IeeeMode: 1
; LDSByteSize: 0 bytes/workgroup (compile time only)
; SGPRBlocks: 0
; VGPRBlocks: 9
; NumSGPRsForWavesPerEU: 24
; NumVGPRsForWavesPerEU: 75
; Occupancy: 16
; WaveLimiterHint : 0
; COMPUTE_PGM_RSRC2:SCRATCH_EN: 0
; COMPUTE_PGM_RSRC2:USER_SGPR: 2
; COMPUTE_PGM_RSRC2:TRAP_HANDLER: 0
; COMPUTE_PGM_RSRC2:TGID_X_EN: 1
; COMPUTE_PGM_RSRC2:TGID_Y_EN: 1
; COMPUTE_PGM_RSRC2:TGID_Z_EN: 1
; COMPUTE_PGM_RSRC2:TIDIG_COMP_CNT: 1
	.section	.text._ZL13mul_mat_vec_qIL9ggml_type18ELi1ELb1ELb0EEvPKvS2_PKi31ggml_cuda_mm_fusion_args_devicePfj15HIP_vector_typeIjLj3EEjjjS8_jjjS8_jjjj,"axG",@progbits,_ZL13mul_mat_vec_qIL9ggml_type18ELi1ELb1ELb0EEvPKvS2_PKi31ggml_cuda_mm_fusion_args_devicePfj15HIP_vector_typeIjLj3EEjjjS8_jjjS8_jjjj,comdat
	.globl	_ZL13mul_mat_vec_qIL9ggml_type18ELi1ELb1ELb0EEvPKvS2_PKi31ggml_cuda_mm_fusion_args_devicePfj15HIP_vector_typeIjLj3EEjjjS8_jjjS8_jjjj ; -- Begin function _ZL13mul_mat_vec_qIL9ggml_type18ELi1ELb1ELb0EEvPKvS2_PKi31ggml_cuda_mm_fusion_args_devicePfj15HIP_vector_typeIjLj3EEjjjS8_jjjS8_jjjj
	.p2align	8
	.type	_ZL13mul_mat_vec_qIL9ggml_type18ELi1ELb1ELb0EEvPKvS2_PKi31ggml_cuda_mm_fusion_args_devicePfj15HIP_vector_typeIjLj3EEjjjS8_jjjS8_jjjj,@function
_ZL13mul_mat_vec_qIL9ggml_type18ELi1ELb1ELb0EEvPKvS2_PKi31ggml_cuda_mm_fusion_args_devicePfj15HIP_vector_typeIjLj3EEjjjS8_jjjS8_jjjj: ; @_ZL13mul_mat_vec_qIL9ggml_type18ELi1ELb1ELb0EEvPKvS2_PKi31ggml_cuda_mm_fusion_args_devicePfj15HIP_vector_typeIjLj3EEjjjS8_jjjS8_jjjj
; %bb.0:
	s_clause 0x3
	s_load_b256 s[8:15], s[0:1], 0x0
	s_load_b128 s[16:19], s[0:1], 0x20
	s_load_b128 s[20:23], s[0:1], 0x40
	;; [unrolled: 1-line block ×3, first 2 shown]
	s_and_b32 s27, ttmp7, 0xffff
	s_wait_kmcnt 0x0
	s_cmp_lg_u64 s[12:13], 0
	s_cselect_b32 s2, -1, 0
	s_cmp_eq_u64 s[12:13], 0
	s_cbranch_scc1 .LBB195_24
; %bb.1:
	s_lshl_b32 s3, s27, 2
	s_load_b32 s28, s[12:13], s3 offset:0x0
	s_clause 0x1
	s_load_b32 s30, s[0:1], 0x50
	s_load_b32 s29, s[0:1], 0x78
	s_cbranch_execnz .LBB195_3
.LBB195_2:
	s_load_b64 s[12:13], s[0:1], 0x5c
	s_wait_kmcnt 0x0
	s_mul_hi_u32 s3, s12, s27
	s_delay_alu instid0(SALU_CYCLE_1) | instskip(NEXT) | instid1(SALU_CYCLE_1)
	s_add_co_i32 s3, s27, s3
	s_lshr_b32 s28, s3, s13
.LBB195_3:
	s_and_not1_b32 vcc_lo, exec_lo, s2
	s_mov_b32 s3, s27
	s_mov_b32 s31, s27
	s_cbranch_vccnz .LBB195_5
; %bb.4:
	s_mul_hi_u32 s2, s21, s27
	s_wait_kmcnt 0x0
	s_mov_b32 s3, s28
	s_add_co_i32 s2, s27, s2
	s_delay_alu instid0(SALU_CYCLE_1) | instskip(NEXT) | instid1(SALU_CYCLE_1)
	s_lshr_b32 s2, s2, s22
	s_mul_i32 s2, s2, s23
	s_delay_alu instid0(SALU_CYCLE_1)
	s_sub_co_i32 s31, s27, s2
.LBB195_5:
	s_load_b96 s[24:26], s[0:1], 0x80
	v_bfe_u32 v13, v0, 10, 10
	v_dual_mov_b32 v11, 0 :: v_dual_and_b32 v10, 0x3ff, v0
	s_lshr_b32 s21, ttmp7, 16
	s_cmp_lg_u64 s[14:15], 0
	v_mov_b32_e32 v12, 0
	s_delay_alu instid0(VALU_DEP_2) | instskip(SKIP_3) | instid1(VALU_DEP_1)
	v_or_b32_e32 v0, v10, v13
	s_cselect_b32 s2, -1, 0
	s_mov_b32 s23, 0
	s_mul_i32 s12, s3, s6
	v_cmp_eq_u32_e32 vcc_lo, 0, v0
	s_and_b32 s13, s2, vcc_lo
	s_delay_alu instid0(SALU_CYCLE_1)
	s_and_saveexec_b32 s3, s13
	s_cbranch_execz .LBB195_7
; %bb.6:
	s_wait_kmcnt 0x0
	s_mul_i32 s22, s26, s21
	s_mov_b32 s13, s23
	s_lshl_b64 s[22:23], s[22:23], 2
	s_mov_b32 s34, ttmp9
	s_lshl_b64 s[36:37], s[12:13], 2
	s_add_nc_u64 s[14:15], s[14:15], s[22:23]
	s_ashr_i32 s35, ttmp9, 31
	v_lshlrev_b32_e32 v0, 2, v10
	s_add_nc_u64 s[14:15], s[14:15], s[36:37]
	s_lshl_b64 s[22:23], s[34:35], 2
	s_delay_alu instid0(SALU_CYCLE_1)
	s_add_nc_u64 s[14:15], s[14:15], s[22:23]
	global_load_b32 v12, v0, s[14:15]
.LBB195_7:
	s_or_b32 exec_lo, exec_lo, s3
	s_cmp_lg_u64 s[16:17], 0
	s_cselect_b32 s14, -1, 0
	s_cmp_lg_u64 s[18:19], 0
	s_cselect_b32 s3, -1, 0
	s_delay_alu instid0(SALU_CYCLE_1) | instskip(NEXT) | instid1(SALU_CYCLE_1)
	s_and_b32 s13, s3, s14
	s_and_b32 s13, s13, vcc_lo
	s_delay_alu instid0(SALU_CYCLE_1)
	s_and_saveexec_b32 s15, s13
	s_cbranch_execz .LBB195_9
; %bb.8:
	s_wait_kmcnt 0x0
	s_mul_i32 s34, s26, s21
	s_mov_b32 s35, 0
	s_mov_b32 s22, ttmp9
	s_lshl_b64 s[36:37], s[34:35], 2
	s_mov_b32 s13, s35
	s_add_nc_u64 s[18:19], s[18:19], s[36:37]
	s_lshl_b64 s[12:13], s[12:13], 2
	s_ashr_i32 s23, ttmp9, 31
	v_lshlrev_b32_e32 v0, 2, v10
	s_add_nc_u64 s[12:13], s[18:19], s[12:13]
	s_lshl_b64 s[18:19], s[22:23], 2
	s_delay_alu instid0(SALU_CYCLE_1)
	s_add_nc_u64 s[12:13], s[12:13], s[18:19]
	global_load_b32 v11, v0, s[12:13]
.LBB195_9:
	s_or_b32 exec_lo, exec_lo, s15
	v_lshl_add_u32 v0, v13, 5, v10
	v_dual_mov_b32 v16, 0 :: v_dual_mov_b32 v15, 0
	v_cndmask_b32_e64 v14, 0, 1, s14
	s_lshr_b32 s15, s20, 8
	s_delay_alu instid0(VALU_DEP_3) | instskip(SKIP_2) | instid1(VALU_DEP_1)
	v_lshrrev_b32_e32 v17, 3, v0
	s_mov_b32 s18, exec_lo
	s_wait_alu 0xfffe
	v_cmpx_gt_u32_e64 s15, v17
	s_cbranch_execz .LBB195_15
; %bb.10:
	v_lshrrev_b32_e32 v0, 3, v0
	s_mul_i32 s12, s31, s5
	s_mov_b32 s13, 0
	s_wait_kmcnt 0x0
	s_mul_i32 s5, s25, s21
	s_mul_u64 s[22:23], s[12:13], 36
	v_dual_mov_b32 v16, 0 :: v_dual_and_b32 v3, 7, v10
	v_mad_co_u64_u32 v[0:1], null, 0x120, v0, s[22:23]
	v_dual_mov_b32 v15, 0 :: v_dual_lshlrev_b32 v2, 1, v10
	s_mul_i32 s30, s30, ttmp9
	s_delay_alu instid0(VALU_DEP_1) | instskip(NEXT) | instid1(VALU_DEP_3)
	v_and_b32_e32 v2, 14, v2
	v_mad_co_u64_u32 v[0:1], null, s5, 36, v[0:1]
	s_mul_hi_u32 s5, s7, s21
	s_mul_i32 s7, s28, s4
	s_wait_alu 0xfffe
	s_add_co_i32 s5, s21, s5
	v_lshlrev_b32_e32 v18, 1, v2
	s_wait_alu 0xfffe
	s_lshr_b32 s4, s5, s29
	v_mad_co_u64_u32 v[0:1], null, v3, 36, v[0:1]
	v_lshlrev_b32_e32 v3, 1, v2
	s_wait_alu 0xfffe
	s_mul_i32 s4, s4, s24
	s_wait_alu 0xfffe
	s_add_co_i32 s4, s4, s30
	v_lshlrev_b32_e32 v19, 1, v3
	s_delay_alu instid0(VALU_DEP_3) | instskip(NEXT) | instid1(VALU_DEP_1)
	v_add_co_u32 v0, vcc_lo, s10, v0
	v_add_co_ci_u32_e64 v1, null, s11, v1, vcc_lo
	s_wait_alu 0xfffe
	s_add_co_i32 s7, s7, s4
	s_delay_alu instid0(VALU_DEP_2)
	v_add_co_u32 v8, vcc_lo, v0, 32
	s_wait_alu 0xfffd
	v_add_co_ci_u32_e64 v9, null, 0, v1, vcc_lo
	s_branch .LBB195_12
.LBB195_11:                             ;   in Loop: Header=BB195_12 Depth=1
	s_wait_loadcnt 0x9
	v_and_b32_e32 v31, 0xff, v20
	v_bfe_u32 v32, v20, 7, 8
	v_add_nc_u32_e32 v17, 4, v17
	v_add_co_u32 v8, s4, 0x480, v8
	s_delay_alu instid0(VALU_DEP_4) | instskip(NEXT) | instid1(VALU_DEP_4)
	v_bcnt_u32_b32 v33, v31, 0
	v_bcnt_u32_b32 v34, v32, 0
	s_wait_alu 0xf1ff
	v_add_co_ci_u32_e64 v9, null, 0, v9, s4
	s_delay_alu instid0(VALU_DEP_3) | instskip(NEXT) | instid1(VALU_DEP_3)
	v_and_b32_e32 v33, 1, v33
	v_and_b32_e32 v34, 1, v34
	s_delay_alu instid0(VALU_DEP_2) | instskip(NEXT) | instid1(VALU_DEP_2)
	v_lshlrev_b32_e32 v33, 7, v33
	v_lshlrev_b32_e32 v34, 7, v34
	s_delay_alu instid0(VALU_DEP_2) | instskip(NEXT) | instid1(VALU_DEP_2)
	v_xor_b32_e32 v31, v33, v31
	v_xor_b32_e32 v32, v34, v32
	s_delay_alu instid0(VALU_DEP_2) | instskip(NEXT) | instid1(VALU_DEP_2)
	v_mul_lo_u32 v31, 0x1010101, v31
	v_mul_lo_u32 v32, 0x1010101, v32
	s_delay_alu instid0(VALU_DEP_2)
	v_and_b32_e32 v33, 0x8040201, v31
	v_and_b32_e32 v36, 0x80402010, v31
	v_lshrrev_b32_e32 v34, 18, v31
	v_bfe_i32 v35, v31, 0, 1
	v_lshrrev_b32_e32 v31, 22, v31
	v_lshrrev_b16 v40, 8, v33
	v_lshrrev_b32_e32 v33, 24, v33
	v_lshrrev_b16 v42, 8, v36
	v_lshrrev_b32_e32 v43, 24, v36
	v_bfe_i32 v34, v34, 0, 1
	v_cmp_ne_u16_e32 vcc_lo, 0, v40
	v_lshrrev_b16 v36, 4, v36
	v_and_b32_e32 v41, 0xff, v35
	v_bfe_i32 v31, v31, 0, 1
	v_and_b32_e32 v46, 0xff, v34
	s_wait_alu 0xfffd
	v_cndmask_b32_e64 v40, 0, -1, vcc_lo
	v_cmp_ne_u16_e32 vcc_lo, 0, v33
	v_bfe_i32 v36, v36, 0, 1
	v_and_b32_e32 v37, 0x8040201, v32
	v_and_b32_e32 v47, 0xff, v31
	v_lshlrev_b16 v40, 8, v40
	s_wait_alu 0xfffd
	v_cndmask_b32_e64 v33, 0, -1, vcc_lo
	v_cmp_ne_u16_e32 vcc_lo, 0, v42
	v_and_b32_e32 v48, 0xff, v36
	v_lshrrev_b16 v44, 8, v37
	v_or_b32_e32 v41, v41, v40
	v_lshlrev_b16 v33, 8, v33
	s_wait_alu 0xfffd
	v_cndmask_b32_e64 v42, 0, -1, vcc_lo
	v_cmp_ne_u16_e32 vcc_lo, 0, v43
	v_lshrrev_b32_e32 v37, 24, v37
	v_and_b32_e32 v41, 0xffff, v41
	v_or_b32_e32 v46, v46, v33
	v_lshlrev_b16 v42, 8, v42
	s_wait_alu 0xfffd
	v_cndmask_b32_e64 v43, 0, -1, vcc_lo
	v_cmp_ne_u16_e32 vcc_lo, 0, v44
	v_lshlrev_b16 v35, 8, v35
	v_lshlrev_b32_e32 v46, 16, v46
	v_or_b32_e32 v48, v48, v42
	v_lshlrev_b16 v43, 8, v43
	s_wait_alu 0xfffd
	v_cndmask_b32_e64 v44, 0, -1, vcc_lo
	v_lshrrev_b32_e32 v38, 18, v32
	v_or_b32_e32 v41, v41, v46
	v_and_b32_e32 v48, 0xffff, v48
	v_or_b32_e32 v47, v47, v43
	v_cmp_ne_u16_e32 vcc_lo, 0, v37
	v_lshlrev_b16 v34, 8, v34
	s_wait_loadcnt 0x7
	v_xor_b32_e32 v30, v30, v41
	v_lshlrev_b16 v41, 8, v44
	v_lshlrev_b32_e32 v47, 16, v47
	v_bfe_i32 v39, v32, 0, 1
	v_bfe_i32 v38, v38, 0, 1
	v_and_b32_e32 v44, 0xffffff00, v30
	s_wait_alu 0xfffd
	v_cndmask_b32_e64 v37, 0, -1, vcc_lo
	v_or_b32_e32 v47, v48, v47
	v_lshlrev_b16 v36, 8, v36
	v_lshlrev_b16 v31, 8, v31
	v_sub_nc_i16 v40, v44, v40 clamp
	v_and_b32_e32 v45, 0xff, v39
	s_wait_loadcnt 0x6
	v_xor_b32_e32 v29, v29, v47
	v_lshlrev_b16 v47, 8, v30
	v_lshrrev_b32_e32 v30, 16, v30
	v_and_b32_e32 v46, 0xff, v38
	v_lshlrev_b16 v37, 8, v37
	v_lshrrev_b32_e32 v48, 16, v29
	v_sub_nc_i16 v35, v47, v35 clamp
	v_and_b32_e32 v44, 0xffffff00, v30
	v_lshlrev_b16 v30, 8, v30
	v_and_b32_e32 v49, 0xffffff00, v29
	v_lshlrev_b16 v29, 8, v29
	v_perm_b32 v35, v35, v40, 0xc0c0105
	v_sub_nc_i16 v33, v44, v33 clamp
	v_sub_nc_i16 v30, v30, v34 clamp
	v_and_b32_e32 v34, 0xffffff00, v48
	v_lshlrev_b16 v40, 8, v48
	v_sub_nc_i16 v42, v49, v42 clamp
	v_sub_nc_i16 v29, v29, v36 clamp
	v_perm_b32 v30, v30, v33, 0xc0c0105
	v_sub_nc_i16 v34, v34, v43 clamp
	v_sub_nc_i16 v31, v40, v31 clamp
	v_or_b32_e32 v44, v45, v41
	v_or_b32_e32 v45, v46, v37
	v_perm_b32 v29, v29, v42, 0xc0c0105
	v_lshl_or_b32 v30, v30, 16, v35
	v_perm_b32 v31, v31, v34, 0xc0c0105
	v_and_b32_e32 v36, 0xffff, v44
	v_lshlrev_b32_e32 v40, 16, v45
	v_lshlrev_b16 v34, 8, v39
	v_dot4_i32_iu8 v5, v30, v5, 0 neg_lo:[1,1,0]
	v_lshl_or_b32 v29, v31, 16, v29
	v_bfe_u32 v30, v20, 14, 8
	v_or_b32_e32 v33, v36, v40
	v_lshlrev_b16 v38, 8, v38
	s_delay_alu instid0(VALU_DEP_4)
	v_dot4_i32_iu8 v5, v29, v6, v5 neg_lo:[1,1,0]
	v_and_b32_e32 v29, 0x80402010, v32
	s_wait_loadcnt 0x5
	v_xor_b32_e32 v28, v28, v33
	v_bcnt_u32_b32 v33, v30, 0
	v_lshrrev_b32_e32 v32, 22, v32
	v_lshrrev_b16 v36, 8, v29
	v_lshrrev_b16 v35, 4, v29
	s_delay_alu instid0(VALU_DEP_4)
	v_and_b32_e32 v33, 1, v33
	v_lshrrev_b32_e32 v29, 24, v29
	v_bfe_i32 v32, v32, 0, 1
	v_cmp_ne_u16_e32 vcc_lo, 0, v36
	v_bfe_i32 v35, v35, 0, 1
	v_lshlrev_b32_e32 v33, 7, v33
	v_and_b32_e32 v31, 0xffffff00, v28
	v_and_b32_e32 v39, 0xff, v32
	s_wait_alu 0xfffd
	v_cndmask_b32_e64 v36, 0, -1, vcc_lo
	v_cmp_ne_u16_e32 vcc_lo, 0, v29
	v_xor_b32_e32 v30, v33, v30
	v_and_b32_e32 v33, 0xff, v35
	v_lshrrev_b32_e32 v6, 16, v28
	v_lshlrev_b16 v36, 8, v36
	s_wait_alu 0xfffd
	v_cndmask_b32_e64 v29, 0, -1, vcc_lo
	v_mul_lo_u32 v30, 0x1010101, v30
	v_lshlrev_b16 v28, 8, v28
	v_sub_nc_i16 v31, v31, v41 clamp
	v_or_b32_e32 v33, v33, v36
	v_lshlrev_b16 v29, 8, v29
	v_lshlrev_b16 v32, 8, v32
	v_sub_nc_i16 v28, v28, v34 clamp
	v_and_b32_e32 v34, 0xffffff00, v6
	v_and_b32_e32 v40, 0x8040201, v30
	v_or_b32_e32 v39, v39, v29
	v_and_b32_e32 v33, 0xffff, v33
	v_lshlrev_b16 v6, 8, v6
	v_perm_b32 v28, v28, v31, 0xc0c0105
	v_sub_nc_i16 v31, v34, v37 clamp
	v_lshlrev_b32_e32 v39, 16, v39
	v_lshrrev_b16 v34, 8, v40
	v_sub_nc_i16 v6, v6, v38 clamp
	v_lshrrev_b32_e32 v38, 24, v40
	v_lshrrev_b32_e32 v37, 18, v30
	v_or_b32_e32 v33, v33, v39
	v_cmp_ne_u16_e32 vcc_lo, 0, v34
	v_perm_b32 v6, v6, v31, 0xc0c0105
	v_bfe_i32 v39, v30, 0, 1
	v_bfe_i32 v37, v37, 0, 1
	s_wait_loadcnt 0x4
	v_xor_b32_e32 v27, v27, v33
	s_wait_alu 0xfffd
	v_cndmask_b32_e64 v34, 0, -1, vcc_lo
	v_cmp_ne_u16_e32 vcc_lo, 0, v38
	v_and_b32_e32 v33, 0xff, v39
	v_and_b32_e32 v40, 0xff, v37
	v_lshrrev_b32_e32 v31, 16, v27
	v_lshlrev_b16 v34, 8, v34
	s_wait_alu 0xfffd
	v_cndmask_b32_e64 v38, 0, -1, vcc_lo
	v_lshl_or_b32 v6, v6, 16, v28
	v_and_b32_e32 v41, 0xffffff00, v27
	v_and_b32_e32 v42, 0xffffff00, v31
	v_lshlrev_b16 v31, 8, v31
	v_lshlrev_b16 v38, 8, v38
	v_or_b32_e32 v33, v33, v34
	v_lshlrev_b16 v27, 8, v27
	v_sub_nc_i16 v29, v42, v29 clamp
	v_sub_nc_i16 v31, v31, v32 clamp
	v_and_b32_e32 v32, 0x80402010, v30
	v_or_b32_e32 v40, v40, v38
	v_and_b32_e32 v33, 0xffff, v33
	v_lshlrev_b16 v35, 8, v35
	v_perm_b32 v28, v31, v29, 0xc0c0105
	v_lshrrev_b16 v31, 8, v32
	v_lshlrev_b32_e32 v40, 16, v40
	v_lshrrev_b16 v29, 4, v32
	v_lshrrev_b32_e32 v32, 24, v32
	v_lshrrev_b32_e32 v30, 22, v30
	v_cmp_ne_u16_e32 vcc_lo, 0, v31
	v_or_b32_e32 v33, v33, v40
	v_sub_nc_i16 v36, v41, v36 clamp
	v_sub_nc_i16 v27, v27, v35 clamp
	v_bfe_i32 v29, v29, 0, 1
	s_wait_alu 0xfffd
	v_cndmask_b32_e64 v31, 0, -1, vcc_lo
	v_cmp_ne_u16_e32 vcc_lo, 0, v32
	s_wait_loadcnt 0x3
	v_xor_b32_e32 v26, v26, v33
	v_bfe_u32 v35, v20, 21, 8
	v_bfe_i32 v30, v30, 0, 1
	v_perm_b32 v27, v27, v36, 0xc0c0105
	s_wait_alu 0xfffd
	v_cndmask_b32_e64 v32, 0, -1, vcc_lo
	v_and_b32_e32 v33, 0xffffff00, v26
	v_and_b32_e32 v36, 0xff, v29
	v_lshlrev_b16 v31, 8, v31
	v_bcnt_u32_b32 v41, v35, 0
	v_and_b32_e32 v40, 0xff, v30
	v_lshlrev_b16 v32, 8, v32
	v_sub_nc_i16 v33, v33, v34 clamp
	v_or_b32_e32 v34, v36, v31
	v_and_b32_e32 v36, 1, v41
	v_lshrrev_b32_e32 v42, 16, v26
	v_or_b32_e32 v40, v40, v32
	v_lshlrev_b16 v26, 8, v26
	v_and_b32_e32 v34, 0xffff, v34
	v_lshlrev_b32_e32 v36, 7, v36
	v_lshlrev_b16 v39, 8, v39
	v_lshlrev_b32_e32 v40, 16, v40
	v_and_b32_e32 v41, 0xffffff00, v42
	v_lshlrev_b16 v42, 8, v42
	v_xor_b32_e32 v35, v36, v35
	v_lshlrev_b16 v37, 8, v37
	v_or_b32_e32 v34, v34, v40
	v_sub_nc_i16 v26, v26, v39 clamp
	v_sub_nc_i16 v36, v41, v38 clamp
	v_mul_lo_u32 v35, 0x1010101, v35
	v_sub_nc_i16 v37, v42, v37 clamp
	s_wait_loadcnt 0x2
	v_xor_b32_e32 v25, v25, v34
	v_lshl_or_b32 v27, v28, 16, v27
	v_dot4_i32_iu8 v5, v6, v7, v5 neg_lo:[1,1,0]
	v_perm_b32 v6, v26, v33, 0xc0c0105
	v_perm_b32 v7, v37, v36, 0xc0c0105
	v_and_b32_e32 v26, 0xffffff00, v25
	v_and_b32_e32 v28, 0x8040201, v35
	v_dot4_i32_iu8 v0, v27, v0, v5 neg_lo:[1,1,0]
	v_lshlrev_b16 v27, 8, v29
	v_lshl_or_b32 v5, v7, 16, v6
	v_sub_nc_i16 v6, v26, v31 clamp
	v_lshrrev_b16 v26, 8, v28
	v_lshrrev_b32_e32 v28, 24, v28
	v_lshrrev_b32_e32 v29, 18, v35
	v_and_b32_e32 v34, 0x80402010, v35
	v_lshlrev_b16 v7, 8, v25
	v_cmp_ne_u16_e32 vcc_lo, 0, v26
	v_bfe_i32 v31, v35, 0, 1
	v_bfe_i32 v29, v29, 0, 1
	v_lshrrev_b16 v37, 8, v34
	v_sub_nc_i16 v7, v7, v27 clamp
	s_wait_alu 0xfffd
	v_cndmask_b32_e64 v26, 0, -1, vcc_lo
	v_cmp_ne_u16_e32 vcc_lo, 0, v28
	v_and_b32_e32 v33, 0xff, v31
	v_and_b32_e32 v27, 0xff, v29
	v_lshrrev_b16 v36, 4, v34
	v_lshlrev_b16 v26, 8, v26
	s_wait_alu 0xfffd
	v_cndmask_b32_e64 v28, 0, -1, vcc_lo
	v_lshrrev_b32_e32 v34, 24, v34
	v_cmp_ne_u16_e32 vcc_lo, 0, v37
	v_perm_b32 v6, v7, v6, 0xc0c0105
	v_or_b32_e32 v33, v33, v26
	v_lshlrev_b16 v28, 8, v28
	v_lshrrev_b32_e32 v35, 22, v35
	s_wait_alu 0xfffd
	v_cndmask_b32_e64 v37, 0, -1, vcc_lo
	v_cmp_ne_u16_e32 vcc_lo, 0, v34
	v_and_b32_e32 v33, 0xffff, v33
	v_or_b32_e32 v7, v27, v28
	v_bfe_i32 v36, v36, 0, 1
	v_bfe_i32 v35, v35, 0, 1
	s_wait_alu 0xfffd
	v_cndmask_b32_e64 v34, 0, -1, vcc_lo
	v_lshrrev_b32_e32 v25, 16, v25
	v_lshlrev_b32_e32 v7, 16, v7
	v_lshlrev_b16 v37, 8, v37
	v_and_b32_e32 v38, 0xff, v35
	v_lshlrev_b16 v34, 8, v34
	v_and_b32_e32 v27, 0xffffff00, v25
	v_or_b32_e32 v7, v33, v7
	v_and_b32_e32 v33, 0xff, v36
	v_lshlrev_b16 v25, 8, v25
	v_lshlrev_b16 v30, 8, v30
	v_sub_nc_i16 v27, v27, v32 clamp
	s_wait_loadcnt 0x1
	v_xor_b32_e32 v7, v24, v7
	v_or_b32_e32 v24, v33, v37
	v_or_b32_e32 v33, v38, v34
	v_sub_nc_i16 v25, v25, v30 clamp
	v_lshlrev_b16 v31, 8, v31
	v_and_b32_e32 v30, 0xffffff00, v7
	v_and_b32_e32 v24, 0xffff, v24
	v_lshlrev_b32_e32 v32, 16, v33
	v_lshlrev_b16 v33, 8, v7
	v_lshrrev_b32_e32 v7, 16, v7
	v_perm_b32 v25, v25, v27, 0xc0c0105
	v_sub_nc_i16 v26, v30, v26 clamp
	v_or_b32_e32 v24, v24, v32
	v_sub_nc_i16 v27, v33, v31 clamp
	v_and_b32_e32 v30, 0xffffff00, v7
	v_lshl_or_b32 v6, v25, 16, v6
	v_lshlrev_b16 v7, 8, v7
	s_wait_loadcnt 0x0
	v_xor_b32_e32 v23, v23, v24
	v_lshlrev_b16 v25, 8, v29
	v_dot4_i32_iu8 v0, v5, v1, v0 neg_lo:[1,1,0]
	v_perm_b32 v1, v27, v26, 0xc0c0105
	v_sub_nc_i16 v5, v30, v28 clamp
	v_lshrrev_b32_e32 v24, 16, v23
	v_and_b32_e32 v26, 0xffffff00, v23
	v_lshlrev_b16 v23, 8, v23
	v_lshlrev_b16 v27, 8, v36
	;; [unrolled: 1-line block ×3, first 2 shown]
	v_and_b32_e32 v28, 0xffffff00, v24
	v_lshlrev_b16 v24, 8, v24
	v_sub_nc_i16 v7, v7, v25 clamp
	v_sub_nc_i16 v25, v26, v37 clamp
	;; [unrolled: 1-line block ×5, first 2 shown]
	v_perm_b32 v5, v7, v5, 0xc0c0105
	v_dot4_i32_iu8 v0, v6, v2, v0 neg_lo:[1,1,0]
	v_perm_b32 v2, v23, v25, 0xc0c0105
	v_cmp_le_u32_e32 vcc_lo, s15, v17
	v_perm_b32 v6, v24, v26, 0xc0c0105
	v_lshl_or_b32 v1, v5, 16, v1
	s_or_b32 s13, vcc_lo, s13
	s_delay_alu instid0(VALU_DEP_2) | instskip(NEXT) | instid1(VALU_DEP_2)
	v_lshl_or_b32 v2, v6, 16, v2
	v_dot4_i32_iu8 v0, v1, v3, v0 neg_lo:[1,1,0]
	s_delay_alu instid0(VALU_DEP_1) | instskip(SKIP_1) | instid1(VALU_DEP_2)
	v_dot4_i32_iu8 v1, v2, v21, v0 neg_lo:[1,1,0]
	v_lshrrev_b32_e32 v2, 28, v20
	v_lshrrev_b32_e32 v0, 31, v1
	s_delay_alu instid0(VALU_DEP_1) | instskip(NEXT) | instid1(VALU_DEP_1)
	v_add_nc_u32_e32 v0, v1, v0
	v_ashrrev_i32_e32 v0, 1, v0
	s_delay_alu instid0(VALU_DEP_1) | instskip(NEXT) | instid1(VALU_DEP_1)
	v_mad_co_u64_u32 v[0:1], null, v1, v2, v[0:1]
	v_lshrrev_b32_e32 v1, 31, v0
	s_delay_alu instid0(VALU_DEP_1) | instskip(SKIP_1) | instid1(VALU_DEP_2)
	v_add_nc_u32_e32 v0, v0, v1
	v_cvt_f32_f16_e32 v1, v22
	v_ashrrev_i32_e32 v0, 1, v0
	s_delay_alu instid0(VALU_DEP_2) | instskip(NEXT) | instid1(VALU_DEP_2)
	v_mul_f32_e32 v1, v1, v4
	v_cvt_f32_i32_e32 v0, v0
	s_delay_alu instid0(VALU_DEP_1)
	v_fmac_f32_e32 v16, v1, v0
	s_and_not1_b32 exec_lo, exec_lo, s13
	s_cbranch_execz .LBB195_14
.LBB195_12:                             ; =>This Inner Loop Header: Depth=1
	v_add_nc_u32_e32 v31, s7, v17
	s_getpc_b64 s[4:5]
	s_wait_alu 0xfffe
	s_sext_i32_i16 s5, s5
	s_add_co_u32 s4, s4, _ZL11iq3xxs_grid@rel32@lo+12
	s_wait_alu 0xfffe
	s_add_co_ci_u32 s5, s5, _ZL11iq3xxs_grid@rel32@hi+24
	v_mad_co_i64_i32 v[22:23], null, 0x62, v31, s[8:9]
	s_delay_alu instid0(VALU_DEP_1) | instskip(SKIP_1) | instid1(VALU_DEP_2)
	v_add_co_u32 v0, vcc_lo, v22, v19
	s_wait_alu 0xfffd
	v_add_co_ci_u32_e64 v1, null, 0, v23, vcc_lo
	v_add_co_u32 v26, vcc_lo, v22, v18
	s_wait_alu 0xfffd
	v_add_co_ci_u32_e64 v27, null, 0, v23, vcc_lo
	global_load_b64 v[24:25], v[0:1], off offset:2
	s_clause 0x2
	global_load_b128 v[4:7], v[8:9], off offset:-32
	global_load_b128 v[0:3], v[8:9], off offset:-16
	global_load_b32 v21, v[8:9], off
	s_clause 0x1
	global_load_b32 v20, v[26:27], off offset:66
	global_load_u16 v22, v[22:23], off
	s_and_not1_b32 vcc_lo, exec_lo, s14
	s_wait_loadcnt 0x4
	v_cvt_f32_f16_e32 v4, v4
	v_and_b32_e32 v23, 0xff, v24
	v_lshrrev_b32_e32 v26, 6, v24
	v_lshrrev_b32_e32 v27, 14, v24
	;; [unrolled: 1-line block ×3, first 2 shown]
	v_and_b32_e32 v28, 0xff, v25
	v_lshrrev_b32_e32 v29, 6, v25
	v_lshrrev_b32_e32 v30, 14, v25
	;; [unrolled: 1-line block ×3, first 2 shown]
	v_lshlrev_b32_e32 v23, 2, v23
	v_and_b32_e32 v26, 0x3fc, v26
	v_and_b32_e32 v27, 0x3fc, v27
	;; [unrolled: 1-line block ×3, first 2 shown]
	v_lshlrev_b32_e32 v32, 2, v28
	v_and_b32_e32 v33, 0x3fc, v29
	v_and_b32_e32 v34, 0x3fc, v30
	;; [unrolled: 1-line block ×3, first 2 shown]
	s_clause 0x7
	global_load_b32 v30, v23, s[4:5]
	global_load_b32 v29, v26, s[4:5]
	;; [unrolled: 1-line block ×8, first 2 shown]
	s_wait_alu 0xfffe
	s_cbranch_vccnz .LBB195_11
; %bb.13:                               ;   in Loop: Header=BB195_12 Depth=1
	v_mad_co_i64_i32 v[32:33], null, 0x62, v31, s[16:17]
	s_delay_alu instid0(VALU_DEP_1) | instskip(SKIP_1) | instid1(VALU_DEP_2)
	v_add_co_u32 v34, vcc_lo, v32, v19
	s_wait_alu 0xfffd
	v_add_co_ci_u32_e64 v35, null, 0, v33, vcc_lo
	v_add_co_u32 v36, vcc_lo, v32, v18
	s_wait_alu 0xfffd
	v_add_co_ci_u32_e64 v37, null, 0, v33, vcc_lo
	s_clause 0x1
	global_load_b64 v[34:35], v[34:35], off offset:2
	global_load_b32 v31, v[36:37], off offset:66
	s_wait_loadcnt 0x1
	v_and_b32_e32 v36, 0xff, v34
	v_lshrrev_b32_e32 v37, 6, v34
	v_lshrrev_b32_e32 v38, 14, v34
	;; [unrolled: 1-line block ×3, first 2 shown]
	v_and_b32_e32 v39, 0xff, v35
	v_lshrrev_b32_e32 v40, 6, v35
	v_lshrrev_b32_e32 v41, 14, v35
	;; [unrolled: 1-line block ×3, first 2 shown]
	v_lshlrev_b32_e32 v36, 2, v36
	v_and_b32_e32 v37, 0x3fc, v37
	v_and_b32_e32 v38, 0x3fc, v38
	;; [unrolled: 1-line block ×3, first 2 shown]
	v_lshlrev_b32_e32 v39, 2, v39
	v_and_b32_e32 v40, 0x3fc, v40
	v_and_b32_e32 v41, 0x3fc, v41
	;; [unrolled: 1-line block ×3, first 2 shown]
	s_clause 0x7
	global_load_b32 v36, v36, s[4:5]
	global_load_b32 v37, v37, s[4:5]
	;; [unrolled: 1-line block ×8, first 2 shown]
	global_load_u16 v33, v[32:33], off
	s_wait_loadcnt 0x9
	v_and_b32_e32 v32, 0xff, v31
	v_bfe_u32 v44, v31, 14, 8
	v_bfe_u32 v45, v31, 21, 8
	;; [unrolled: 1-line block ×3, first 2 shown]
	s_delay_alu instid0(VALU_DEP_4) | instskip(NEXT) | instid1(VALU_DEP_4)
	v_bcnt_u32_b32 v43, v32, 0
	v_bcnt_u32_b32 v47, v44, 0
	s_delay_alu instid0(VALU_DEP_4) | instskip(NEXT) | instid1(VALU_DEP_4)
	v_bcnt_u32_b32 v48, v45, 0
	v_bcnt_u32_b32 v46, v42, 0
	s_delay_alu instid0(VALU_DEP_4) | instskip(NEXT) | instid1(VALU_DEP_4)
	v_and_b32_e32 v43, 1, v43
	v_and_b32_e32 v47, 1, v47
	s_delay_alu instid0(VALU_DEP_4) | instskip(NEXT) | instid1(VALU_DEP_4)
	v_and_b32_e32 v48, 1, v48
	v_and_b32_e32 v46, 1, v46
	s_delay_alu instid0(VALU_DEP_4) | instskip(NEXT) | instid1(VALU_DEP_2)
	v_lshlrev_b32_e32 v43, 7, v43
	v_lshlrev_b32_e32 v46, 7, v46
	s_delay_alu instid0(VALU_DEP_2) | instskip(SKIP_2) | instid1(VALU_DEP_4)
	v_xor_b32_e32 v32, v43, v32
	v_lshlrev_b32_e32 v43, 7, v47
	v_lshlrev_b32_e32 v47, 7, v48
	v_xor_b32_e32 v42, v46, v42
	s_delay_alu instid0(VALU_DEP_4) | instskip(NEXT) | instid1(VALU_DEP_4)
	v_mul_lo_u32 v32, 0x1010101, v32
	v_xor_b32_e32 v43, v43, v44
	s_delay_alu instid0(VALU_DEP_4) | instskip(NEXT) | instid1(VALU_DEP_4)
	v_xor_b32_e32 v44, v47, v45
	v_mul_lo_u32 v42, 0x1010101, v42
	s_delay_alu instid0(VALU_DEP_3) | instskip(NEXT) | instid1(VALU_DEP_3)
	v_mul_lo_u32 v43, 0x1010101, v43
	v_mul_lo_u32 v44, 0x1010101, v44
	v_and_b32_e32 v45, 0x8040201, v32
	v_and_b32_e32 v48, 0x80402010, v32
	v_lshrrev_b32_e32 v46, 18, v32
	v_and_b32_e32 v49, 0x8040201, v42
	v_and_b32_e32 v52, 0x80402010, v42
	v_lshrrev_b16 v61, 8, v45
	v_lshrrev_b32_e32 v45, 24, v45
	v_lshrrev_b16 v63, 8, v48
	v_lshrrev_b32_e32 v64, 24, v48
	v_lshrrev_b16 v65, 8, v49
	v_cmp_ne_u16_e32 vcc_lo, 0, v61
	v_lshrrev_b32_e32 v49, 24, v49
	v_lshrrev_b16 v67, 8, v52
	v_and_b32_e32 v53, 0x8040201, v43
	v_lshrrev_b32_e32 v68, 24, v52
	s_wait_alu 0xfffd
	v_cndmask_b32_e64 v61, 0, -1, vcc_lo
	v_cmp_ne_u16_e32 vcc_lo, 0, v45
	v_and_b32_e32 v56, 0x80402010, v43
	v_lshrrev_b16 v69, 8, v53
	v_lshrrev_b32_e32 v53, 24, v53
	v_and_b32_e32 v57, 0x8040201, v44
	s_wait_alu 0xfffd
	v_cndmask_b32_e64 v45, 0, -1, vcc_lo
	v_cmp_ne_u16_e32 vcc_lo, 0, v63
	v_lshrrev_b16 v71, 8, v56
	v_lshrrev_b32_e32 v72, 24, v56
	v_lshrrev_b16 v73, 8, v57
	v_bfe_i32 v47, v32, 0, 1
	s_wait_alu 0xfffd
	v_cndmask_b32_e64 v63, 0, -1, vcc_lo
	v_cmp_ne_u16_e32 vcc_lo, 0, v64
	v_lshrrev_b32_e32 v32, 22, v32
	v_lshrrev_b32_e32 v50, 18, v42
	v_and_b32_e32 v60, 0x80402010, v44
	v_bfe_i32 v46, v46, 0, 1
	s_wait_alu 0xfffd
	v_cndmask_b32_e64 v64, 0, -1, vcc_lo
	v_cmp_ne_u16_e32 vcc_lo, 0, v65
	v_lshrrev_b16 v48, 4, v48
	v_lshrrev_b32_e32 v57, 24, v57
	v_bfe_i32 v51, v42, 0, 1
	v_lshrrev_b32_e32 v54, 18, v43
	s_wait_alu 0xfffd
	v_cndmask_b32_e64 v65, 0, -1, vcc_lo
	v_cmp_ne_u16_e32 vcc_lo, 0, v49
	v_lshrrev_b32_e32 v58, 18, v44
	v_and_b32_e32 v62, 0xff, v47
	v_bfe_i32 v32, v32, 0, 1
	v_bfe_i32 v50, v50, 0, 1
	s_wait_alu 0xfffd
	v_cndmask_b32_e64 v49, 0, -1, vcc_lo
	v_cmp_ne_u16_e32 vcc_lo, 0, v67
	v_lshrrev_b16 v75, 8, v60
	v_and_b32_e32 v77, 0xff, v46
	v_bfe_i32 v48, v48, 0, 1
	v_lshlrev_b16 v61, 8, v61
	s_wait_alu 0xfffd
	v_cndmask_b32_e64 v67, 0, -1, vcc_lo
	v_cmp_ne_u16_e32 vcc_lo, 0, v68
	v_lshlrev_b16 v45, 8, v45
	v_lshrrev_b32_e32 v42, 22, v42
	v_bfe_i32 v55, v43, 0, 1
	v_bfe_i32 v59, v44, 0, 1
	s_wait_alu 0xfffd
	v_cndmask_b32_e64 v68, 0, -1, vcc_lo
	v_cmp_ne_u16_e32 vcc_lo, 0, v69
	v_and_b32_e32 v66, 0xff, v51
	v_lshrrev_b16 v52, 4, v52
	v_bfe_i32 v54, v54, 0, 1
	v_bfe_i32 v58, v58, 0, 1
	s_wait_alu 0xfffd
	v_cndmask_b32_e64 v69, 0, -1, vcc_lo
	v_cmp_ne_u16_e32 vcc_lo, 0, v53
	v_lshrrev_b32_e32 v76, 24, v60
	v_and_b32_e32 v78, 0xff, v32
	v_and_b32_e32 v79, 0xff, v50
	;; [unrolled: 1-line block ×3, first 2 shown]
	s_wait_alu 0xfffd
	v_cndmask_b32_e64 v53, 0, -1, vcc_lo
	v_cmp_ne_u16_e32 vcc_lo, 0, v71
	v_lshlrev_b16 v63, 8, v63
	v_lshlrev_b16 v64, 8, v64
	v_lshlrev_b16 v65, 8, v65
	v_lshlrev_b16 v49, 8, v49
	s_wait_alu 0xfffd
	v_cndmask_b32_e64 v71, 0, -1, vcc_lo
	v_cmp_ne_u16_e32 vcc_lo, 0, v72
	v_or_b32_e32 v62, v62, v61
	v_or_b32_e32 v77, v77, v45
	v_lshrrev_b32_e32 v43, 22, v43
	v_lshrrev_b32_e32 v44, 22, v44
	s_wait_alu 0xfffd
	v_cndmask_b32_e64 v72, 0, -1, vcc_lo
	v_cmp_ne_u16_e32 vcc_lo, 0, v73
	v_bfe_i32 v42, v42, 0, 1
	v_and_b32_e32 v70, 0xff, v55
	v_lshrrev_b16 v56, 4, v56
	v_and_b32_e32 v74, 0xff, v59
	s_wait_alu 0xfffd
	v_cndmask_b32_e64 v73, 0, -1, vcc_lo
	v_cmp_ne_u16_e32 vcc_lo, 0, v57
	v_lshrrev_b16 v60, 4, v60
	v_bfe_i32 v52, v52, 0, 1
	v_and_b32_e32 v81, 0xff, v54
	v_and_b32_e32 v83, 0xff, v58
	s_wait_alu 0xfffd
	v_cndmask_b32_e64 v57, 0, -1, vcc_lo
	v_cmp_ne_u16_e32 vcc_lo, 0, v75
	v_lshlrev_b16 v69, 8, v69
	v_lshlrev_b16 v53, 8, v53
	;; [unrolled: 1-line block ×4, first 2 shown]
	s_wait_alu 0xfffd
	v_cndmask_b32_e64 v75, 0, -1, vcc_lo
	v_cmp_ne_u16_e32 vcc_lo, 0, v76
	v_or_b32_e32 v85, v85, v63
	v_or_b32_e32 v78, v78, v64
	;; [unrolled: 1-line block ×4, first 2 shown]
	v_and_b32_e32 v62, 0xffff, v62
	v_lshlrev_b32_e32 v77, 16, v77
	v_bfe_i32 v43, v43, 0, 1
	v_bfe_i32 v44, v44, 0, 1
	v_and_b32_e32 v80, 0xff, v42
	v_bfe_i32 v56, v56, 0, 1
	v_bfe_i32 v60, v60, 0, 1
	s_wait_alu 0xfffd
	v_cndmask_b32_e64 v76, 0, -1, vcc_lo
	v_and_b32_e32 v86, 0xff, v52
	v_lshlrev_b16 v67, 8, v67
	v_lshlrev_b16 v68, 8, v68
	v_or_b32_e32 v70, v70, v69
	v_or_b32_e32 v81, v81, v53
	;; [unrolled: 1-line block ×4, first 2 shown]
	v_and_b32_e32 v85, 0xffff, v85
	v_lshlrev_b32_e32 v78, 16, v78
	v_and_b32_e32 v66, 0xffff, v66
	v_lshlrev_b32_e32 v79, 16, v79
	v_or_b32_e32 v62, v62, v77
	v_and_b32_e32 v82, 0xff, v43
	v_and_b32_e32 v84, 0xff, v44
	;; [unrolled: 1-line block ×3, first 2 shown]
	v_lshlrev_b16 v71, 8, v71
	v_lshlrev_b16 v72, 8, v72
	v_and_b32_e32 v88, 0xff, v60
	v_lshlrev_b16 v75, 8, v75
	v_lshlrev_b16 v76, 8, v76
	v_or_b32_e32 v86, v86, v67
	v_or_b32_e32 v80, v80, v68
	v_and_b32_e32 v70, 0xffff, v70
	v_lshlrev_b32_e32 v81, 16, v81
	v_and_b32_e32 v74, 0xffff, v74
	v_lshlrev_b32_e32 v83, 16, v83
	v_or_b32_e32 v77, v85, v78
	v_or_b32_e32 v66, v66, v79
	v_lshlrev_b16 v47, 8, v47
	v_or_b32_e32 v87, v87, v71
	v_or_b32_e32 v82, v82, v72
	v_or_b32_e32 v88, v88, v75
	v_or_b32_e32 v84, v84, v76
	v_and_b32_e32 v86, 0xffff, v86
	v_lshlrev_b32_e32 v80, 16, v80
	v_or_b32_e32 v70, v70, v81
	v_or_b32_e32 v74, v74, v83
	v_lshlrev_b16 v46, 8, v46
	v_lshlrev_b16 v48, 8, v48
	v_and_b32_e32 v87, 0xffff, v87
	v_lshlrev_b32_e32 v82, 16, v82
	v_and_b32_e32 v88, 0xffff, v88
	v_lshlrev_b32_e32 v84, 16, v84
	v_or_b32_e32 v78, v86, v80
	v_lshlrev_b16 v51, 8, v51
	v_lshlrev_b16 v32, 8, v32
	v_or_b32_e32 v79, v87, v82
	v_or_b32_e32 v80, v88, v84
	v_lshlrev_b16 v50, 8, v50
	v_lshlrev_b16 v52, 8, v52
	;; [unrolled: 1-line block ×11, first 2 shown]
	s_wait_loadcnt 0x8
	v_xor_b32_e32 v36, v36, v62
	s_wait_loadcnt 0x7
	v_xor_b32_e32 v37, v37, v77
	;; [unrolled: 2-line block ×5, first 2 shown]
	v_lshrrev_b32_e32 v62, 16, v36
	v_and_b32_e32 v66, 0xffffff00, v36
	v_lshlrev_b16 v36, 8, v36
	s_wait_loadcnt 0x2
	v_xor_b32_e32 v41, v41, v74
	v_lshrrev_b32_e32 v70, 16, v37
	v_and_b32_e32 v74, 0xffffff00, v37
	v_lshlrev_b16 v37, 8, v37
	v_sub_nc_i16 v36, v36, v47 clamp
	v_and_b32_e32 v47, 0xffffff00, v62
	v_lshlrev_b16 v62, 8, v62
	v_lshrrev_b32_e32 v77, 16, v38
	v_and_b32_e32 v78, 0xffffff00, v38
	v_lshlrev_b16 v38, 8, v38
	v_sub_nc_i16 v61, v66, v61 clamp
	v_sub_nc_i16 v37, v37, v48 clamp
	v_and_b32_e32 v48, 0xffffff00, v70
	v_lshlrev_b16 v66, 8, v70
	v_sub_nc_i16 v45, v47, v45 clamp
	v_sub_nc_i16 v46, v62, v46 clamp
	v_xor_b32_e32 v40, v40, v79
	s_wait_loadcnt 0x1
	v_xor_b32_e32 v35, v35, v80
	v_lshrrev_b32_e32 v79, 16, v34
	v_and_b32_e32 v80, 0xffffff00, v34
	v_lshlrev_b16 v34, 8, v34
	v_sub_nc_i16 v63, v74, v63 clamp
	v_sub_nc_i16 v38, v38, v51 clamp
	v_and_b32_e32 v51, 0xffffff00, v77
	v_lshlrev_b16 v70, 8, v77
	v_perm_b32 v36, v36, v61, 0xc0c0105
	v_sub_nc_i16 v47, v48, v64 clamp
	v_sub_nc_i16 v32, v66, v32 clamp
	v_perm_b32 v45, v46, v45, 0xc0c0105
	v_lshrrev_b32_e32 v81, 16, v39
	v_and_b32_e32 v82, 0xffffff00, v39
	v_lshlrev_b16 v39, 8, v39
	v_sub_nc_i16 v65, v78, v65 clamp
	v_sub_nc_i16 v34, v34, v52 clamp
	v_and_b32_e32 v52, 0xffffff00, v79
	v_lshlrev_b16 v74, 8, v79
	v_perm_b32 v37, v37, v63, 0xc0c0105
	v_sub_nc_i16 v48, v51, v49 clamp
	v_sub_nc_i16 v49, v70, v50 clamp
	v_perm_b32 v32, v32, v47, 0xc0c0105
	v_lshl_or_b32 v36, v45, 16, v36
	v_lshrrev_b32_e32 v83, 16, v40
	v_and_b32_e32 v84, 0xffffff00, v40
	v_lshlrev_b16 v40, 8, v40
	v_sub_nc_i16 v67, v80, v67 clamp
	v_sub_nc_i16 v39, v39, v55 clamp
	v_and_b32_e32 v55, 0xffffff00, v81
	v_lshlrev_b16 v77, 8, v81
	v_perm_b32 v38, v38, v65, 0xc0c0105
	v_sub_nc_i16 v46, v52, v68 clamp
	v_sub_nc_i16 v42, v74, v42 clamp
	v_perm_b32 v47, v49, v48, 0xc0c0105
	v_lshl_or_b32 v32, v32, 16, v37
	v_dot4_i32_iu8 v36, v36, v5, 0 neg_lo:[1,1,0]
	v_lshrrev_b32_e32 v85, 16, v41
	v_and_b32_e32 v86, 0xffffff00, v41
	v_lshlrev_b16 v41, 8, v41
	v_sub_nc_i16 v69, v82, v69 clamp
	v_sub_nc_i16 v40, v40, v56 clamp
	v_and_b32_e32 v56, 0xffffff00, v83
	v_lshlrev_b16 v78, 8, v83
	v_perm_b32 v34, v34, v67, 0xc0c0105
	v_sub_nc_i16 v45, v55, v53 clamp
	v_sub_nc_i16 v37, v77, v54 clamp
	v_perm_b32 v42, v42, v46, 0xc0c0105
	v_lshl_or_b32 v38, v47, 16, v38
	v_dot4_i32_iu8 v32, v32, v6, v36 neg_lo:[1,1,0]
	v_lshrrev_b32_e32 v87, 16, v35
	v_and_b32_e32 v88, 0xffffff00, v35
	v_lshlrev_b16 v35, 8, v35
	v_sub_nc_i16 v71, v84, v71 clamp
	v_sub_nc_i16 v73, v86, v73 clamp
	;; [unrolled: 1-line block ×3, first 2 shown]
	v_and_b32_e32 v59, 0xffffff00, v85
	v_lshlrev_b16 v79, 8, v85
	v_perm_b32 v39, v39, v69, 0xc0c0105
	v_sub_nc_i16 v36, v56, v72 clamp
	v_sub_nc_i16 v43, v78, v43 clamp
	v_perm_b32 v37, v37, v45, 0xc0c0105
	v_lshl_or_b32 v34, v42, 16, v34
	v_dot4_i32_iu8 v32, v38, v7, v32 neg_lo:[1,1,0]
	v_sub_nc_i16 v35, v35, v60 clamp
	v_and_b32_e32 v60, 0xffffff00, v87
	v_lshlrev_b16 v80, 8, v87
	v_perm_b32 v40, v40, v71, 0xc0c0105
	v_perm_b32 v38, v41, v73, 0xc0c0105
	v_sub_nc_i16 v41, v59, v57 clamp
	v_perm_b32 v36, v43, v36, 0xc0c0105
	v_lshl_or_b32 v37, v37, 16, v39
	v_dot4_i32_iu8 v32, v34, v0, v32 neg_lo:[1,1,0]
	v_sub_nc_i16 v34, v79, v58 clamp
	v_sub_nc_i16 v75, v88, v75 clamp
	;; [unrolled: 1-line block ×4, first 2 shown]
	v_lshl_or_b32 v36, v36, 16, v40
	v_dot4_i32_iu8 v32, v37, v1, v32 neg_lo:[1,1,0]
	v_perm_b32 v34, v34, v41, 0xc0c0105
	v_perm_b32 v35, v35, v75, 0xc0c0105
	;; [unrolled: 1-line block ×3, first 2 shown]
	s_delay_alu instid0(VALU_DEP_4) | instskip(NEXT) | instid1(VALU_DEP_4)
	v_dot4_i32_iu8 v32, v36, v2, v32 neg_lo:[1,1,0]
	v_lshl_or_b32 v34, v34, 16, v38
	s_delay_alu instid0(VALU_DEP_3) | instskip(NEXT) | instid1(VALU_DEP_2)
	v_lshl_or_b32 v35, v37, 16, v35
	v_dot4_i32_iu8 v32, v34, v3, v32 neg_lo:[1,1,0]
	s_delay_alu instid0(VALU_DEP_1) | instskip(SKIP_1) | instid1(VALU_DEP_2)
	v_dot4_i32_iu8 v32, v35, v21, v32 neg_lo:[1,1,0]
	v_lshrrev_b32_e32 v35, 28, v31
	v_lshrrev_b32_e32 v34, 31, v32
	s_delay_alu instid0(VALU_DEP_1) | instskip(NEXT) | instid1(VALU_DEP_1)
	v_add_nc_u32_e32 v34, v32, v34
	v_ashrrev_i32_e32 v31, 1, v34
	s_delay_alu instid0(VALU_DEP_1) | instskip(NEXT) | instid1(VALU_DEP_1)
	v_mad_co_u64_u32 v[31:32], null, v32, v35, v[31:32]
	v_lshrrev_b32_e32 v32, 31, v31
	s_delay_alu instid0(VALU_DEP_1) | instskip(SKIP_2) | instid1(VALU_DEP_2)
	v_add_nc_u32_e32 v31, v31, v32
	s_wait_loadcnt 0x0
	v_cvt_f32_f16_e32 v32, v33
	v_ashrrev_i32_e32 v31, 1, v31
	s_delay_alu instid0(VALU_DEP_2) | instskip(NEXT) | instid1(VALU_DEP_2)
	v_mul_f32_e32 v32, v4, v32
	v_cvt_f32_i32_e32 v31, v31
	s_delay_alu instid0(VALU_DEP_1)
	v_fmac_f32_e32 v15, v32, v31
	s_branch .LBB195_11
.LBB195_14:
	s_or_b32 exec_lo, exec_lo, s13
.LBB195_15:
	s_delay_alu instid0(SALU_CYCLE_1)
	s_or_b32 exec_lo, exec_lo, s18
	s_load_b32 s4, s[0:1], 0x30
	s_wait_loadcnt 0x0
	; wave barrier
	global_inv scope:SCOPE_SE
	s_mov_b32 s5, exec_lo
	v_cmpx_eq_u32_e32 0, v13
	s_cbranch_execz .LBB195_43
; %bb.16:
	v_mbcnt_lo_u32_b32 v1, -1, 0
	s_delay_alu instid0(VALU_DEP_1) | instskip(SKIP_2) | instid1(VALU_DEP_3)
	v_xor_b32_e32 v0, 16, v1
	v_xor_b32_e32 v3, 8, v1
	;; [unrolled: 1-line block ×3, first 2 shown]
	v_cmp_gt_i32_e32 vcc_lo, 32, v0
	s_wait_alu 0xfffd
	v_cndmask_b32_e32 v0, v1, v0, vcc_lo
	v_cmp_gt_i32_e32 vcc_lo, 32, v3
	s_wait_alu 0xfffd
	v_cndmask_b32_e32 v3, v1, v3, vcc_lo
	v_cmp_gt_i32_e32 vcc_lo, 32, v4
	s_delay_alu instid0(VALU_DEP_2)
	v_lshlrev_b32_e32 v3, 2, v3
	v_lshlrev_b32_e32 v0, 2, v0
	s_wait_alu 0xfffd
	v_cndmask_b32_e32 v4, v1, v4, vcc_lo
	ds_bpermute_b32 v2, v0, v16
	s_wait_dscnt 0x0
	v_add_f32_e32 v2, v16, v2
	ds_bpermute_b32 v5, v3, v2
	s_wait_dscnt 0x0
	v_add_f32_e32 v2, v2, v5
	v_xor_b32_e32 v5, 2, v1
	s_delay_alu instid0(VALU_DEP_1) | instskip(SKIP_2) | instid1(VALU_DEP_1)
	v_cmp_gt_i32_e32 vcc_lo, 32, v5
	s_wait_alu 0xfffd
	v_cndmask_b32_e32 v5, v1, v5, vcc_lo
	v_lshlrev_b32_e32 v5, 2, v5
	v_lshlrev_b32_e32 v4, 2, v4
	ds_bpermute_b32 v6, v4, v2
	s_wait_dscnt 0x0
	v_add_f32_e32 v2, v2, v6
	v_xor_b32_e32 v6, 1, v1
	ds_bpermute_b32 v7, v5, v2
	v_cmp_gt_i32_e32 vcc_lo, 32, v6
	s_wait_alu 0xfffd
	v_cndmask_b32_e32 v1, v1, v6, vcc_lo
	v_cmp_ne_u32_e32 vcc_lo, 1, v14
	s_delay_alu instid0(VALU_DEP_2)
	v_lshlrev_b32_e32 v6, 2, v1
	s_wait_dscnt 0x0
	v_add_f32_e32 v1, v2, v7
	ds_bpermute_b32 v2, v6, v1
	s_cbranch_vccnz .LBB195_18
; %bb.17:
	ds_bpermute_b32 v0, v0, v15
	s_wait_dscnt 0x0
	v_add_f32_e32 v0, v15, v0
	ds_bpermute_b32 v3, v3, v0
	s_wait_dscnt 0x0
	v_add_f32_e32 v0, v0, v3
	;; [unrolled: 3-line block ×5, first 2 shown]
.LBB195_18:
	v_cmp_eq_u32_e32 vcc_lo, 0, v10
	s_and_b32 exec_lo, exec_lo, vcc_lo
	s_cbranch_execz .LBB195_43
; %bb.19:
	s_wait_dscnt 0x0
	v_add_f32_e32 v0, v1, v2
	v_cmp_ne_u32_e32 vcc_lo, 1, v14
	s_delay_alu instid0(VALU_DEP_2) | instskip(NEXT) | instid1(VALU_DEP_1)
	v_add_f32_e32 v1, v12, v0
	v_cndmask_b32_e64 v0, v0, v1, s2
	s_cbranch_vccnz .LBB195_42
; %bb.20:
	v_add_f32_e32 v1, v11, v15
	s_wait_kmcnt 0x0
	s_cmp_lt_i32 s4, 2
	s_mov_b32 s2, 0
	s_delay_alu instid0(VALU_DEP_1)
	v_cndmask_b32_e64 v1, v15, v1, s3
	s_cbranch_scc1 .LBB195_25
; %bb.21:
	s_cmp_gt_i32 s4, 2
	s_cbranch_scc0 .LBB195_26
; %bb.22:
	s_cmp_eq_u32 s4, 3
	s_cbranch_scc0 .LBB195_27
; %bb.23:
	v_max_num_f32_e32 v2, v1, v1
	s_mov_b32 s3, 0xc0e00000
	s_delay_alu instid0(VALU_DEP_1) | instskip(NEXT) | instid1(VALU_DEP_1)
	v_min_num_f32_e32 v2, 0x40e00000, v2
	v_mul_f32_e32 v3, 0xbfd9db23, v2
	s_delay_alu instid0(VALU_DEP_1) | instskip(NEXT) | instid1(VALU_DEP_1)
	v_mul_f32_e32 v4, 0x3fb8aa3b, v3
	v_fma_f32 v5, 0x3fb8aa3b, v3, -v4
	v_rndne_f32_e32 v6, v4
	s_delay_alu instid0(VALU_DEP_1) | instskip(NEXT) | instid1(VALU_DEP_1)
	v_dual_fmamk_f32 v5, v3, 0x32a5705f, v5 :: v_dual_sub_f32 v4, v4, v6
	v_add_f32_e32 v4, v4, v5
	v_cvt_i32_f32_e32 v5, v6
	v_cmp_ngt_f32_e32 vcc_lo, 0xc2ce8ed0, v3
	s_delay_alu instid0(VALU_DEP_3) | instskip(NEXT) | instid1(TRANS32_DEP_1)
	v_exp_f32_e32 v4, v4
	v_ldexp_f32 v4, v4, v5
	s_wait_alu 0xfffd
	s_delay_alu instid0(VALU_DEP_1) | instskip(SKIP_2) | instid1(VALU_DEP_2)
	v_cndmask_b32_e32 v4, 0, v4, vcc_lo
	v_cmp_nlt_f32_e32 vcc_lo, 0x42b17218, v3
	s_wait_alu 0xfffd
	v_cndmask_b32_e32 v3, 0x7f800000, v4, vcc_lo
	s_delay_alu instid0(VALU_DEP_1) | instskip(NEXT) | instid1(VALU_DEP_1)
	v_add_f32_e32 v3, 1.0, v3
	v_div_scale_f32 v4, null, v3, v3, v2
	v_div_scale_f32 v7, vcc_lo, v2, v3, v2
	s_delay_alu instid0(VALU_DEP_2) | instskip(NEXT) | instid1(TRANS32_DEP_1)
	v_rcp_f32_e32 v5, v4
	v_fma_f32 v6, -v4, v5, 1.0
	s_delay_alu instid0(VALU_DEP_1) | instskip(NEXT) | instid1(VALU_DEP_1)
	v_fmac_f32_e32 v5, v6, v5
	v_mul_f32_e32 v6, v7, v5
	s_delay_alu instid0(VALU_DEP_1) | instskip(NEXT) | instid1(VALU_DEP_1)
	v_fma_f32 v8, -v4, v6, v7
	v_fmac_f32_e32 v6, v8, v5
	s_delay_alu instid0(VALU_DEP_1) | instskip(SKIP_1) | instid1(VALU_DEP_1)
	v_fma_f32 v4, -v4, v6, v7
	s_wait_alu 0xfffd
	v_div_fmas_f32 v4, v4, v5, v6
	s_delay_alu instid0(VALU_DEP_1) | instskip(SKIP_2) | instid1(VALU_DEP_1)
	v_div_fixup_f32 v2, v4, v3, v2
	v_max_num_f32_e32 v7, v0, v0
	s_wait_alu 0xfffe
	v_minmax_num_f32 v5, v7, 0x40e00000, s3
	s_mov_b32 s3, 0
	s_delay_alu instid0(VALU_DEP_1) | instskip(NEXT) | instid1(VALU_DEP_1)
	v_add_f32_e32 v3, 1.0, v5
	v_mul_f32_e32 v2, v3, v2
	s_branch .LBB195_28
.LBB195_24:
                                        ; implicit-def: $sgpr28
	s_clause 0x1
	s_load_b32 s30, s[0:1], 0x50
	s_load_b32 s29, s[0:1], 0x78
	s_branch .LBB195_2
.LBB195_25:
	s_mov_b32 s3, 0
                                        ; implicit-def: $vgpr2
	s_cbranch_execnz .LBB195_32
	s_branch .LBB195_33
.LBB195_26:
	s_mov_b32 s5, -1
	s_mov_b32 s3, 0
                                        ; implicit-def: $vgpr2
	s_branch .LBB195_29
.LBB195_27:
	s_mov_b32 s3, -1
                                        ; implicit-def: $vgpr2
.LBB195_28:
	s_mov_b32 s5, 0
.LBB195_29:
	s_wait_alu 0xfffe
	s_and_b32 vcc_lo, exec_lo, s5
	s_wait_alu 0xfffe
	s_cbranch_vccz .LBB195_31
; %bb.30:
	v_mul_f32_e32 v2, 0xbfb8aa3b, v1
	v_cmp_nlt_f32_e32 vcc_lo, 0x42ce8ed0, v1
	s_delay_alu instid0(VALU_DEP_2) | instskip(SKIP_1) | instid1(VALU_DEP_2)
	v_rndne_f32_e32 v3, v2
	v_fma_f32 v4, 0xbfb8aa3b, v1, -v2
	v_sub_f32_e32 v2, v2, v3
	s_delay_alu instid0(VALU_DEP_2) | instskip(SKIP_1) | instid1(VALU_DEP_2)
	v_fmamk_f32 v4, v1, 0xb2a5705f, v4
	v_cvt_i32_f32_e32 v3, v3
	v_add_f32_e32 v2, v2, v4
	s_delay_alu instid0(VALU_DEP_1) | instskip(NEXT) | instid1(TRANS32_DEP_1)
	v_exp_f32_e32 v2, v2
	v_ldexp_f32 v2, v2, v3
	s_wait_alu 0xfffd
	s_delay_alu instid0(VALU_DEP_1) | instskip(SKIP_2) | instid1(VALU_DEP_2)
	v_cndmask_b32_e32 v2, 0, v2, vcc_lo
	v_cmp_ngt_f32_e32 vcc_lo, 0xc2b17218, v1
	s_wait_alu 0xfffd
	v_cndmask_b32_e32 v2, 0x7f800000, v2, vcc_lo
	s_delay_alu instid0(VALU_DEP_1) | instskip(NEXT) | instid1(VALU_DEP_1)
	v_add_f32_e32 v2, 1.0, v2
	v_div_scale_f32 v3, null, v2, v2, v1
	s_delay_alu instid0(VALU_DEP_1) | instskip(NEXT) | instid1(TRANS32_DEP_1)
	v_rcp_f32_e32 v4, v3
	v_fma_f32 v5, -v3, v4, 1.0
	s_delay_alu instid0(VALU_DEP_1) | instskip(SKIP_1) | instid1(VALU_DEP_1)
	v_fmac_f32_e32 v4, v5, v4
	v_div_scale_f32 v5, vcc_lo, v1, v2, v1
	v_mul_f32_e32 v6, v5, v4
	s_delay_alu instid0(VALU_DEP_1) | instskip(NEXT) | instid1(VALU_DEP_1)
	v_fma_f32 v7, -v3, v6, v5
	v_fmac_f32_e32 v6, v7, v4
	s_delay_alu instid0(VALU_DEP_1) | instskip(SKIP_1) | instid1(VALU_DEP_1)
	v_fma_f32 v3, -v3, v6, v5
	s_wait_alu 0xfffd
	v_div_fmas_f32 v3, v3, v4, v6
	s_delay_alu instid0(VALU_DEP_1) | instskip(NEXT) | instid1(VALU_DEP_1)
	v_div_fixup_f32 v2, v3, v2, v1
	v_mul_f32_e32 v2, v0, v2
.LBB195_31:
	s_branch .LBB195_33
.LBB195_32:
	s_cmp_lg_u32 s4, 1
	s_mov_b32 s2, -1
	s_cselect_b32 s3, -1, 0
.LBB195_33:
	s_wait_alu 0xfffe
	s_and_not1_b32 vcc_lo, exec_lo, s3
	s_wait_alu 0xfffe
	s_cbranch_vccz .LBB195_35
; %bb.34:
	s_and_not1_b32 vcc_lo, exec_lo, s2
	s_wait_alu 0xfffe
	s_cbranch_vccz .LBB195_36
	s_branch .LBB195_41
.LBB195_35:
	v_mul_f32_e32 v2, v1, v0
	s_cbranch_execnz .LBB195_41
.LBB195_36:
	v_mul_f32_e32 v2, 0x3d372713, v1
	v_mul_f32_e32 v3, 0x3f4c422a, v1
	s_delay_alu instid0(VALU_DEP_2) | instskip(NEXT) | instid1(VALU_DEP_1)
	v_fma_f32 v2, v1, v2, 1.0
	v_mul_f32_e32 v2, v3, v2
                                        ; implicit-def: $vgpr3
	s_delay_alu instid0(VALU_DEP_1)
	v_cmp_ngt_f32_e64 s2, 0x3f200000, |v2|
	s_and_saveexec_b32 s3, s2
	s_wait_alu 0xfffe
	s_xor_b32 s2, exec_lo, s3
	s_cbranch_execz .LBB195_38
; %bb.37:
	v_add_f32_e64 v3, |v2|, |v2|
	s_delay_alu instid0(VALU_DEP_1) | instskip(SKIP_1) | instid1(VALU_DEP_2)
	v_mul_f32_e32 v4, 0x3fb8aa3b, v3
	v_cmp_ngt_f32_e32 vcc_lo, 0xc2ce8ed0, v3
	v_rndne_f32_e32 v5, v4
	v_fma_f32 v6, 0x3fb8aa3b, v3, -v4
	s_delay_alu instid0(VALU_DEP_2) | instskip(NEXT) | instid1(VALU_DEP_2)
	v_sub_f32_e32 v4, v4, v5
	v_fmamk_f32 v6, v3, 0x32a5705f, v6
	v_cvt_i32_f32_e32 v5, v5
	s_delay_alu instid0(VALU_DEP_2) | instskip(NEXT) | instid1(VALU_DEP_1)
	v_add_f32_e32 v4, v4, v6
	v_exp_f32_e32 v4, v4
	s_delay_alu instid0(TRANS32_DEP_1) | instskip(SKIP_1) | instid1(VALU_DEP_1)
	v_ldexp_f32 v4, v4, v5
	s_wait_alu 0xfffd
	v_cndmask_b32_e32 v4, 0, v4, vcc_lo
	v_cmp_nlt_f32_e32 vcc_lo, 0x42b17218, v3
	s_wait_alu 0xfffd
	s_delay_alu instid0(VALU_DEP_2) | instskip(NEXT) | instid1(VALU_DEP_1)
	v_cndmask_b32_e32 v3, 0x7f800000, v4, vcc_lo
	v_add_f32_e32 v3, 1.0, v3
	s_delay_alu instid0(VALU_DEP_1) | instskip(NEXT) | instid1(TRANS32_DEP_1)
	v_rcp_f32_e32 v3, v3
	v_fma_f32 v3, v3, -2.0, 1.0
.LBB195_38:
	s_wait_alu 0xfffe
	s_and_not1_saveexec_b32 s2, s2
	s_cbranch_execz .LBB195_40
; %bb.39:
	v_mul_f32_e32 v3, v2, v2
	s_mov_b32 s3, 0xbbbac73d
	s_wait_alu 0xfffe
	s_delay_alu instid0(VALU_DEP_1) | instskip(NEXT) | instid1(VALU_DEP_1)
	v_fmaak_f32 v4, s3, v3, 0x3ca908c9
	v_fmaak_f32 v4, v3, v4, 0xbd5c1c4e
	s_delay_alu instid0(VALU_DEP_1) | instskip(NEXT) | instid1(VALU_DEP_1)
	v_fmaak_f32 v4, v3, v4, 0x3e088382
	v_fmaak_f32 v4, v3, v4, 0xbeaaaa99
	s_delay_alu instid0(VALU_DEP_1) | instskip(NEXT) | instid1(VALU_DEP_1)
	v_mul_f32_e64 v4, |v2|, v4
	v_fma_f32 v3, v3, v4, |v2|
.LBB195_40:
	s_wait_alu 0xfffe
	s_or_b32 exec_lo, exec_lo, s2
	s_delay_alu instid0(VALU_DEP_1) | instskip(NEXT) | instid1(VALU_DEP_1)
	v_bfi_b32 v2, 0x7fffffff, v3, v2
	v_dual_mul_f32 v1, 0.5, v1 :: v_dual_add_f32 v2, 1.0, v2
	s_delay_alu instid0(VALU_DEP_1) | instskip(NEXT) | instid1(VALU_DEP_1)
	v_mul_f32_e32 v1, v1, v2
	v_mul_f32_e32 v2, v0, v1
.LBB195_41:
	s_delay_alu instid0(VALU_DEP_1)
	v_mov_b32_e32 v0, v2
.LBB195_42:
	s_load_b64 s[0:1], s[0:1], 0x38
	s_mul_i32 s2, s6, s27
	s_wait_kmcnt 0x0
	s_mul_i32 s3, s26, s21
	s_wait_alu 0xfffe
	s_add_co_i32 s2, s2, ttmp9
	v_lshlrev_b32_e32 v1, 2, v10
	s_wait_alu 0xfffe
	s_add_co_i32 s2, s2, s3
	s_mov_b32 s3, 0
	s_wait_alu 0xfffe
	s_lshl_b64 s[2:3], s[2:3], 2
	s_wait_alu 0xfffe
	s_add_nc_u64 s[0:1], s[0:1], s[2:3]
	global_store_b32 v1, v0, s[0:1]
.LBB195_43:
	s_endpgm
	.section	.rodata,"a",@progbits
	.p2align	6, 0x0
	.amdhsa_kernel _ZL13mul_mat_vec_qIL9ggml_type18ELi1ELb1ELb0EEvPKvS2_PKi31ggml_cuda_mm_fusion_args_devicePfj15HIP_vector_typeIjLj3EEjjjS8_jjjS8_jjjj
		.amdhsa_group_segment_fixed_size 0
		.amdhsa_private_segment_fixed_size 0
		.amdhsa_kernarg_size 144
		.amdhsa_user_sgpr_count 2
		.amdhsa_user_sgpr_dispatch_ptr 0
		.amdhsa_user_sgpr_queue_ptr 0
		.amdhsa_user_sgpr_kernarg_segment_ptr 1
		.amdhsa_user_sgpr_dispatch_id 0
		.amdhsa_user_sgpr_private_segment_size 0
		.amdhsa_wavefront_size32 1
		.amdhsa_uses_dynamic_stack 0
		.amdhsa_enable_private_segment 0
		.amdhsa_system_sgpr_workgroup_id_x 1
		.amdhsa_system_sgpr_workgroup_id_y 1
		.amdhsa_system_sgpr_workgroup_id_z 1
		.amdhsa_system_sgpr_workgroup_info 0
		.amdhsa_system_vgpr_workitem_id 1
		.amdhsa_next_free_vgpr 89
		.amdhsa_next_free_sgpr 38
		.amdhsa_reserve_vcc 1
		.amdhsa_float_round_mode_32 0
		.amdhsa_float_round_mode_16_64 0
		.amdhsa_float_denorm_mode_32 3
		.amdhsa_float_denorm_mode_16_64 3
		.amdhsa_fp16_overflow 0
		.amdhsa_workgroup_processor_mode 1
		.amdhsa_memory_ordered 1
		.amdhsa_forward_progress 1
		.amdhsa_inst_pref_size 60
		.amdhsa_round_robin_scheduling 0
		.amdhsa_exception_fp_ieee_invalid_op 0
		.amdhsa_exception_fp_denorm_src 0
		.amdhsa_exception_fp_ieee_div_zero 0
		.amdhsa_exception_fp_ieee_overflow 0
		.amdhsa_exception_fp_ieee_underflow 0
		.amdhsa_exception_fp_ieee_inexact 0
		.amdhsa_exception_int_div_zero 0
	.end_amdhsa_kernel
	.section	.text._ZL13mul_mat_vec_qIL9ggml_type18ELi1ELb1ELb0EEvPKvS2_PKi31ggml_cuda_mm_fusion_args_devicePfj15HIP_vector_typeIjLj3EEjjjS8_jjjS8_jjjj,"axG",@progbits,_ZL13mul_mat_vec_qIL9ggml_type18ELi1ELb1ELb0EEvPKvS2_PKi31ggml_cuda_mm_fusion_args_devicePfj15HIP_vector_typeIjLj3EEjjjS8_jjjS8_jjjj,comdat
.Lfunc_end195:
	.size	_ZL13mul_mat_vec_qIL9ggml_type18ELi1ELb1ELb0EEvPKvS2_PKi31ggml_cuda_mm_fusion_args_devicePfj15HIP_vector_typeIjLj3EEjjjS8_jjjS8_jjjj, .Lfunc_end195-_ZL13mul_mat_vec_qIL9ggml_type18ELi1ELb1ELb0EEvPKvS2_PKi31ggml_cuda_mm_fusion_args_devicePfj15HIP_vector_typeIjLj3EEjjjS8_jjjS8_jjjj
                                        ; -- End function
	.set _ZL13mul_mat_vec_qIL9ggml_type18ELi1ELb1ELb0EEvPKvS2_PKi31ggml_cuda_mm_fusion_args_devicePfj15HIP_vector_typeIjLj3EEjjjS8_jjjS8_jjjj.num_vgpr, 89
	.set _ZL13mul_mat_vec_qIL9ggml_type18ELi1ELb1ELb0EEvPKvS2_PKi31ggml_cuda_mm_fusion_args_devicePfj15HIP_vector_typeIjLj3EEjjjS8_jjjS8_jjjj.num_agpr, 0
	.set _ZL13mul_mat_vec_qIL9ggml_type18ELi1ELb1ELb0EEvPKvS2_PKi31ggml_cuda_mm_fusion_args_devicePfj15HIP_vector_typeIjLj3EEjjjS8_jjjS8_jjjj.numbered_sgpr, 38
	.set _ZL13mul_mat_vec_qIL9ggml_type18ELi1ELb1ELb0EEvPKvS2_PKi31ggml_cuda_mm_fusion_args_devicePfj15HIP_vector_typeIjLj3EEjjjS8_jjjS8_jjjj.num_named_barrier, 0
	.set _ZL13mul_mat_vec_qIL9ggml_type18ELi1ELb1ELb0EEvPKvS2_PKi31ggml_cuda_mm_fusion_args_devicePfj15HIP_vector_typeIjLj3EEjjjS8_jjjS8_jjjj.private_seg_size, 0
	.set _ZL13mul_mat_vec_qIL9ggml_type18ELi1ELb1ELb0EEvPKvS2_PKi31ggml_cuda_mm_fusion_args_devicePfj15HIP_vector_typeIjLj3EEjjjS8_jjjS8_jjjj.uses_vcc, 1
	.set _ZL13mul_mat_vec_qIL9ggml_type18ELi1ELb1ELb0EEvPKvS2_PKi31ggml_cuda_mm_fusion_args_devicePfj15HIP_vector_typeIjLj3EEjjjS8_jjjS8_jjjj.uses_flat_scratch, 0
	.set _ZL13mul_mat_vec_qIL9ggml_type18ELi1ELb1ELb0EEvPKvS2_PKi31ggml_cuda_mm_fusion_args_devicePfj15HIP_vector_typeIjLj3EEjjjS8_jjjS8_jjjj.has_dyn_sized_stack, 0
	.set _ZL13mul_mat_vec_qIL9ggml_type18ELi1ELb1ELb0EEvPKvS2_PKi31ggml_cuda_mm_fusion_args_devicePfj15HIP_vector_typeIjLj3EEjjjS8_jjjS8_jjjj.has_recursion, 0
	.set _ZL13mul_mat_vec_qIL9ggml_type18ELi1ELb1ELb0EEvPKvS2_PKi31ggml_cuda_mm_fusion_args_devicePfj15HIP_vector_typeIjLj3EEjjjS8_jjjS8_jjjj.has_indirect_call, 0
	.section	.AMDGPU.csdata,"",@progbits
; Kernel info:
; codeLenInByte = 7672
; TotalNumSgprs: 40
; NumVgprs: 89
; ScratchSize: 0
; MemoryBound: 0
; FloatMode: 240
; IeeeMode: 1
; LDSByteSize: 0 bytes/workgroup (compile time only)
; SGPRBlocks: 0
; VGPRBlocks: 11
; NumSGPRsForWavesPerEU: 40
; NumVGPRsForWavesPerEU: 89
; Occupancy: 16
; WaveLimiterHint : 0
; COMPUTE_PGM_RSRC2:SCRATCH_EN: 0
; COMPUTE_PGM_RSRC2:USER_SGPR: 2
; COMPUTE_PGM_RSRC2:TRAP_HANDLER: 0
; COMPUTE_PGM_RSRC2:TGID_X_EN: 1
; COMPUTE_PGM_RSRC2:TGID_Y_EN: 1
; COMPUTE_PGM_RSRC2:TGID_Z_EN: 1
; COMPUTE_PGM_RSRC2:TIDIG_COMP_CNT: 1
	.section	.text._ZL13mul_mat_vec_qIL9ggml_type18ELi1ELb0ELb0EEvPKvS2_PKi31ggml_cuda_mm_fusion_args_devicePfj15HIP_vector_typeIjLj3EEjjjS8_jjjS8_jjjj,"axG",@progbits,_ZL13mul_mat_vec_qIL9ggml_type18ELi1ELb0ELb0EEvPKvS2_PKi31ggml_cuda_mm_fusion_args_devicePfj15HIP_vector_typeIjLj3EEjjjS8_jjjS8_jjjj,comdat
	.globl	_ZL13mul_mat_vec_qIL9ggml_type18ELi1ELb0ELb0EEvPKvS2_PKi31ggml_cuda_mm_fusion_args_devicePfj15HIP_vector_typeIjLj3EEjjjS8_jjjS8_jjjj ; -- Begin function _ZL13mul_mat_vec_qIL9ggml_type18ELi1ELb0ELb0EEvPKvS2_PKi31ggml_cuda_mm_fusion_args_devicePfj15HIP_vector_typeIjLj3EEjjjS8_jjjS8_jjjj
	.p2align	8
	.type	_ZL13mul_mat_vec_qIL9ggml_type18ELi1ELb0ELb0EEvPKvS2_PKi31ggml_cuda_mm_fusion_args_devicePfj15HIP_vector_typeIjLj3EEjjjS8_jjjS8_jjjj,@function
_ZL13mul_mat_vec_qIL9ggml_type18ELi1ELb0ELb0EEvPKvS2_PKi31ggml_cuda_mm_fusion_args_devicePfj15HIP_vector_typeIjLj3EEjjjS8_jjjS8_jjjj: ; @_ZL13mul_mat_vec_qIL9ggml_type18ELi1ELb0ELb0EEvPKvS2_PKi31ggml_cuda_mm_fusion_args_devicePfj15HIP_vector_typeIjLj3EEjjjS8_jjjS8_jjjj
; %bb.0:
	s_clause 0x1
	s_load_b64 s[2:3], s[0:1], 0x10
	s_load_b128 s[8:11], s[0:1], 0x40
	s_and_b32 s15, ttmp7, 0xffff
	s_wait_kmcnt 0x0
	s_cmp_lg_u64 s[2:3], 0
	s_cselect_b32 s12, -1, 0
	s_cmp_eq_u64 s[2:3], 0
	s_cbranch_scc1 .LBB196_13
; %bb.1:
	s_lshl_b32 s4, s15, 2
	s_load_b32 s19, s[2:3], s4 offset:0x0
	s_clause 0x1
	s_load_b128 s[4:7], s[0:1], 0x68
	s_load_b32 s20, s[0:1], 0x50
	s_cbranch_execnz .LBB196_3
.LBB196_2:
	s_load_b64 s[2:3], s[0:1], 0x5c
	s_wait_kmcnt 0x0
	s_mul_hi_u32 s2, s2, s15
	s_delay_alu instid0(SALU_CYCLE_1) | instskip(NEXT) | instid1(SALU_CYCLE_1)
	s_add_co_i32 s2, s15, s2
	s_lshr_b32 s19, s2, s3
.LBB196_3:
	s_load_b32 s21, s[0:1], 0x78
	s_and_not1_b32 vcc_lo, exec_lo, s12
	s_mov_b32 s2, s15
	s_cbranch_vccnz .LBB196_5
; %bb.4:
	s_mul_hi_u32 s2, s9, s15
	s_delay_alu instid0(SALU_CYCLE_1) | instskip(NEXT) | instid1(SALU_CYCLE_1)
	s_add_co_i32 s2, s15, s2
	s_lshr_b32 s2, s2, s10
	s_delay_alu instid0(SALU_CYCLE_1) | instskip(NEXT) | instid1(SALU_CYCLE_1)
	s_mul_i32 s2, s2, s11
	s_sub_co_i32 s2, s15, s2
.LBB196_5:
	s_load_b96 s[12:14], s[0:1], 0x80
	v_bfe_u32 v7, v0, 10, 10
	v_and_b32_e32 v6, 0x3ff, v0
	v_mov_b32_e32 v8, 0
	s_lshr_b32 s18, s8, 8
	s_lshr_b32 s16, ttmp7, 16
	s_mov_b32 s17, exec_lo
	v_lshl_or_b32 v0, v7, 5, v6
	s_delay_alu instid0(VALU_DEP_1) | instskip(NEXT) | instid1(VALU_DEP_1)
	v_lshrrev_b32_e32 v9, 3, v0
	v_cmpx_gt_u32_e64 s18, v9
	s_cbranch_execz .LBB196_9
; %bb.6:
	v_lshrrev_b32_e32 v0, 3, v0
	s_wait_kmcnt 0x0
	s_mul_i32 s2, s2, s5
	s_mov_b32 s3, 0
	v_and_b32_e32 v2, 7, v6
	s_mul_u64 s[8:9], s[2:3], 36
	s_mul_i32 s2, s13, s16
	v_mad_co_u64_u32 v[0:1], null, 0x120, v0, s[8:9]
	s_load_b128 s[8:11], s[0:1], 0x0
	v_dual_mov_b32 v8, 0 :: v_dual_lshlrev_b32 v3, 1, v6
	s_mul_i32 s20, s20, ttmp9
	v_mad_co_u64_u32 v[0:1], null, s2, 36, v[0:1]
	s_mul_hi_u32 s2, s7, s16
	s_mul_i32 s7, s19, s4
	s_wait_alu 0xfffe
	s_add_co_i32 s2, s16, s2
	s_wait_alu 0xfffe
	s_lshr_b32 s2, s2, s21
	v_mad_co_u64_u32 v[0:1], null, v2, 36, v[0:1]
	v_and_b32_e32 v2, 14, v3
	s_wait_alu 0xfffe
	s_mul_i32 s2, s2, s12
	s_wait_alu 0xfffe
	s_add_co_i32 s2, s2, s20
	v_lshlrev_b32_e32 v3, 1, v2
	s_wait_kmcnt 0x0
	v_add_co_u32 v0, vcc_lo, s10, v0
	s_delay_alu instid0(VALU_DEP_1) | instskip(NEXT) | instid1(VALU_DEP_3)
	v_add_co_ci_u32_e64 v1, null, s11, v1, vcc_lo
	v_lshlrev_b32_e32 v10, 1, v3
	s_delay_alu instid0(VALU_DEP_3) | instskip(SKIP_1) | instid1(VALU_DEP_3)
	v_add_co_u32 v4, vcc_lo, v0, 32
	s_wait_alu 0xfffd
	v_add_co_ci_u32_e64 v5, null, 0, v1, vcc_lo
	v_lshlrev_b32_e32 v11, 1, v2
	s_wait_alu 0xfffe
	s_add_co_i32 s7, s7, s2
.LBB196_7:                              ; =>This Inner Loop Header: Depth=1
	s_delay_alu instid0(SALU_CYCLE_1)
	v_add_nc_u32_e32 v0, s7, v9
	s_getpc_b64 s[4:5]
	s_sext_i32_i16 s5, s5
	s_add_co_u32 s4, s4, _ZL11iq3xxs_grid@rel32@lo+8
	s_add_co_ci_u32 s5, s5, _ZL11iq3xxs_grid@rel32@hi+16
	v_add_nc_u32_e32 v9, 4, v9
	v_mad_co_i64_i32 v[13:14], null, 0x62, v0, s[8:9]
	s_delay_alu instid0(VALU_DEP_2)
	v_cmp_le_u32_e64 s2, s18, v9
	s_or_b32 s3, s2, s3
	v_add_co_u32 v0, vcc_lo, v13, v10
	s_wait_alu 0xfffd
	v_add_co_ci_u32_e64 v1, null, 0, v14, vcc_lo
	v_add_co_u32 v17, vcc_lo, v13, v11
	s_wait_alu 0xfffd
	v_add_co_ci_u32_e64 v18, null, 0, v14, vcc_lo
	global_load_b64 v[15:16], v[0:1], off offset:2
	global_load_b128 v[0:3], v[4:5], off offset:-32
	s_clause 0x1
	global_load_b32 v12, v[17:18], off offset:66
	global_load_u16 v17, v[13:14], off
	s_wait_loadcnt 0x3
	v_lshrrev_b32_e32 v14, 6, v15
	s_wait_loadcnt 0x2
	v_cvt_f32_f16_e32 v0, v0
	v_and_b32_e32 v13, 0xff, v15
	v_lshrrev_b32_e32 v18, 14, v15
	v_lshrrev_b32_e32 v15, 22, v15
	v_and_b32_e32 v19, 0xff, v16
	v_lshrrev_b32_e32 v20, 6, v16
	v_lshrrev_b32_e32 v21, 14, v16
	;; [unrolled: 1-line block ×3, first 2 shown]
	v_lshlrev_b32_e32 v13, 2, v13
	v_and_b32_e32 v14, 0x3fc, v14
	v_and_b32_e32 v18, 0x3fc, v18
	;; [unrolled: 1-line block ×3, first 2 shown]
	v_lshlrev_b32_e32 v19, 2, v19
	v_and_b32_e32 v20, 0x3fc, v20
	v_and_b32_e32 v21, 0x3fc, v21
	;; [unrolled: 1-line block ×3, first 2 shown]
	s_clause 0x7
	global_load_b32 v22, v13, s[4:5]
	global_load_b32 v23, v14, s[4:5]
	;; [unrolled: 1-line block ×8, first 2 shown]
	s_clause 0x1
	global_load_b128 v[13:16], v[4:5], off offset:-16
	global_load_b32 v26, v[4:5], off
	s_wait_loadcnt 0xb
	v_and_b32_e32 v27, 0xff, v12
	v_bfe_u32 v28, v12, 7, 8
	v_bfe_u32 v30, v12, 21, 8
	;; [unrolled: 1-line block ×3, first 2 shown]
	s_delay_alu instid0(VALU_DEP_4) | instskip(NEXT) | instid1(VALU_DEP_4)
	v_bcnt_u32_b32 v31, v27, 0
	v_bcnt_u32_b32 v32, v28, 0
	s_delay_alu instid0(VALU_DEP_4) | instskip(NEXT) | instid1(VALU_DEP_4)
	v_bcnt_u32_b32 v34, v30, 0
	v_bcnt_u32_b32 v33, v29, 0
	s_delay_alu instid0(VALU_DEP_4) | instskip(NEXT) | instid1(VALU_DEP_4)
	v_and_b32_e32 v31, 1, v31
	v_and_b32_e32 v32, 1, v32
	s_delay_alu instid0(VALU_DEP_4) | instskip(NEXT) | instid1(VALU_DEP_4)
	v_and_b32_e32 v34, 1, v34
	v_and_b32_e32 v33, 1, v33
	s_delay_alu instid0(VALU_DEP_4) | instskip(NEXT) | instid1(VALU_DEP_4)
	v_lshlrev_b32_e32 v31, 7, v31
	v_lshlrev_b32_e32 v32, 7, v32
	s_delay_alu instid0(VALU_DEP_4) | instskip(NEXT) | instid1(VALU_DEP_4)
	v_lshlrev_b32_e32 v34, 7, v34
	v_lshlrev_b32_e32 v33, 7, v33
	s_delay_alu instid0(VALU_DEP_4) | instskip(NEXT) | instid1(VALU_DEP_4)
	v_xor_b32_e32 v27, v31, v27
	v_xor_b32_e32 v28, v32, v28
	s_delay_alu instid0(VALU_DEP_4) | instskip(NEXT) | instid1(VALU_DEP_4)
	v_xor_b32_e32 v30, v34, v30
	v_xor_b32_e32 v29, v33, v29
	s_delay_alu instid0(VALU_DEP_4) | instskip(NEXT) | instid1(VALU_DEP_4)
	v_mul_lo_u32 v27, 0x1010101, v27
	v_mul_lo_u32 v28, 0x1010101, v28
	s_delay_alu instid0(VALU_DEP_4) | instskip(NEXT) | instid1(VALU_DEP_4)
	v_mul_lo_u32 v30, 0x1010101, v30
	v_mul_lo_u32 v29, 0x1010101, v29
	s_delay_alu instid0(VALU_DEP_4)
	v_and_b32_e32 v31, 0x8040201, v27
	v_and_b32_e32 v34, 0x80402010, v27
	;; [unrolled: 1-line block ×5, first 2 shown]
	v_lshrrev_b16 v47, 8, v31
	v_lshrrev_b32_e32 v31, 24, v31
	v_lshrrev_b16 v49, 8, v34
	v_lshrrev_b32_e32 v50, 24, v34
	v_lshrrev_b16 v51, 8, v35
	v_cmp_ne_u16_e32 vcc_lo, 0, v47
	v_lshrrev_b32_e32 v35, 24, v35
	v_lshrrev_b16 v53, 8, v38
	v_lshrrev_b32_e32 v54, 24, v38
	v_lshrrev_b16 v55, 8, v39
	s_wait_alu 0xfffd
	v_cndmask_b32_e64 v47, 0, -1, vcc_lo
	v_cmp_ne_u16_e32 vcc_lo, 0, v31
	v_and_b32_e32 v42, 0x80402010, v29
	v_lshrrev_b32_e32 v39, 24, v39
	v_and_b32_e32 v43, 0x8040201, v30
	v_lshrrev_b32_e32 v32, 18, v27
	s_wait_alu 0xfffd
	v_cndmask_b32_e64 v31, 0, -1, vcc_lo
	v_cmp_ne_u16_e32 vcc_lo, 0, v49
	v_lshrrev_b16 v57, 8, v42
	v_lshrrev_b32_e32 v58, 24, v42
	v_lshrrev_b16 v59, 8, v43
	v_bfe_i32 v33, v27, 0, 1
	s_wait_alu 0xfffd
	v_cndmask_b32_e64 v49, 0, -1, vcc_lo
	v_cmp_ne_u16_e32 vcc_lo, 0, v50
	v_lshrrev_b32_e32 v27, 22, v27
	v_lshrrev_b32_e32 v36, 18, v28
	v_and_b32_e32 v46, 0x80402010, v30
	v_bfe_i32 v32, v32, 0, 1
	s_wait_alu 0xfffd
	v_cndmask_b32_e64 v50, 0, -1, vcc_lo
	v_cmp_ne_u16_e32 vcc_lo, 0, v51
	v_lshrrev_b16 v34, 4, v34
	v_lshrrev_b32_e32 v43, 24, v43
	v_bfe_i32 v37, v28, 0, 1
	v_lshrrev_b32_e32 v40, 18, v29
	s_wait_alu 0xfffd
	v_cndmask_b32_e64 v51, 0, -1, vcc_lo
	v_cmp_ne_u16_e32 vcc_lo, 0, v35
	v_lshrrev_b32_e32 v44, 18, v30
	v_and_b32_e32 v48, 0xff, v33
	v_bfe_i32 v27, v27, 0, 1
	v_bfe_i32 v36, v36, 0, 1
	s_wait_alu 0xfffd
	v_cndmask_b32_e64 v35, 0, -1, vcc_lo
	v_cmp_ne_u16_e32 vcc_lo, 0, v53
	v_lshrrev_b16 v61, 8, v46
	v_and_b32_e32 v63, 0xff, v32
	v_bfe_i32 v34, v34, 0, 1
	v_lshlrev_b16 v47, 8, v47
	s_wait_alu 0xfffd
	v_cndmask_b32_e64 v53, 0, -1, vcc_lo
	v_cmp_ne_u16_e32 vcc_lo, 0, v54
	v_lshlrev_b16 v31, 8, v31
	v_lshrrev_b32_e32 v28, 22, v28
	v_bfe_i32 v41, v29, 0, 1
	v_bfe_i32 v45, v30, 0, 1
	s_wait_alu 0xfffd
	v_cndmask_b32_e64 v54, 0, -1, vcc_lo
	v_cmp_ne_u16_e32 vcc_lo, 0, v55
	v_and_b32_e32 v52, 0xff, v37
	v_lshrrev_b16 v38, 4, v38
	v_bfe_i32 v40, v40, 0, 1
	v_bfe_i32 v44, v44, 0, 1
	s_wait_alu 0xfffd
	v_cndmask_b32_e64 v55, 0, -1, vcc_lo
	v_cmp_ne_u16_e32 vcc_lo, 0, v39
	v_lshrrev_b32_e32 v62, 24, v46
	v_and_b32_e32 v64, 0xff, v27
	v_and_b32_e32 v65, 0xff, v36
	;; [unrolled: 1-line block ×3, first 2 shown]
	s_wait_alu 0xfffd
	v_cndmask_b32_e64 v39, 0, -1, vcc_lo
	v_cmp_ne_u16_e32 vcc_lo, 0, v57
	v_lshlrev_b16 v49, 8, v49
	v_lshlrev_b16 v50, 8, v50
	;; [unrolled: 1-line block ×4, first 2 shown]
	s_wait_alu 0xfffd
	v_cndmask_b32_e64 v57, 0, -1, vcc_lo
	v_cmp_ne_u16_e32 vcc_lo, 0, v58
	v_or_b32_e32 v48, v48, v47
	v_or_b32_e32 v63, v63, v31
	v_lshrrev_b32_e32 v29, 22, v29
	v_lshrrev_b32_e32 v30, 22, v30
	s_wait_alu 0xfffd
	v_cndmask_b32_e64 v58, 0, -1, vcc_lo
	v_cmp_ne_u16_e32 vcc_lo, 0, v59
	v_bfe_i32 v28, v28, 0, 1
	v_and_b32_e32 v56, 0xff, v41
	v_lshrrev_b16 v42, 4, v42
	v_and_b32_e32 v60, 0xff, v45
	s_wait_alu 0xfffd
	v_cndmask_b32_e64 v59, 0, -1, vcc_lo
	v_cmp_ne_u16_e32 vcc_lo, 0, v43
	v_lshrrev_b16 v46, 4, v46
	v_bfe_i32 v38, v38, 0, 1
	v_and_b32_e32 v67, 0xff, v40
	v_and_b32_e32 v69, 0xff, v44
	s_wait_alu 0xfffd
	v_cndmask_b32_e64 v43, 0, -1, vcc_lo
	v_cmp_ne_u16_e32 vcc_lo, 0, v61
	v_lshlrev_b16 v55, 8, v55
	v_lshlrev_b16 v39, 8, v39
	;; [unrolled: 1-line block ×4, first 2 shown]
	s_wait_alu 0xfffd
	v_cndmask_b32_e64 v61, 0, -1, vcc_lo
	v_cmp_ne_u16_e32 vcc_lo, 0, v62
	v_or_b32_e32 v71, v71, v49
	v_or_b32_e32 v64, v64, v50
	;; [unrolled: 1-line block ×4, first 2 shown]
	v_and_b32_e32 v48, 0xffff, v48
	v_lshlrev_b32_e32 v63, 16, v63
	v_bfe_i32 v29, v29, 0, 1
	v_bfe_i32 v30, v30, 0, 1
	v_and_b32_e32 v66, 0xff, v28
	v_bfe_i32 v42, v42, 0, 1
	v_bfe_i32 v46, v46, 0, 1
	s_wait_alu 0xfffd
	v_cndmask_b32_e64 v62, 0, -1, vcc_lo
	v_and_b32_e32 v72, 0xff, v38
	v_lshlrev_b16 v53, 8, v53
	v_lshlrev_b16 v54, 8, v54
	v_or_b32_e32 v56, v56, v55
	v_or_b32_e32 v67, v67, v39
	;; [unrolled: 1-line block ×4, first 2 shown]
	v_and_b32_e32 v71, 0xffff, v71
	v_lshlrev_b32_e32 v64, 16, v64
	v_and_b32_e32 v52, 0xffff, v52
	v_lshlrev_b32_e32 v65, 16, v65
	v_or_b32_e32 v48, v48, v63
	v_and_b32_e32 v68, 0xff, v29
	v_and_b32_e32 v70, 0xff, v30
	;; [unrolled: 1-line block ×3, first 2 shown]
	v_lshlrev_b16 v57, 8, v57
	v_lshlrev_b16 v58, 8, v58
	v_and_b32_e32 v74, 0xff, v46
	v_lshlrev_b16 v61, 8, v61
	v_lshlrev_b16 v62, 8, v62
	v_or_b32_e32 v72, v72, v53
	v_or_b32_e32 v66, v66, v54
	v_and_b32_e32 v56, 0xffff, v56
	v_lshlrev_b32_e32 v67, 16, v67
	v_and_b32_e32 v60, 0xffff, v60
	v_lshlrev_b32_e32 v69, 16, v69
	v_or_b32_e32 v63, v71, v64
	v_or_b32_e32 v52, v52, v65
	v_lshlrev_b16 v33, 8, v33
	v_or_b32_e32 v73, v73, v57
	v_or_b32_e32 v68, v68, v58
	;; [unrolled: 1-line block ×4, first 2 shown]
	v_and_b32_e32 v72, 0xffff, v72
	v_lshlrev_b32_e32 v66, 16, v66
	v_or_b32_e32 v56, v56, v67
	v_or_b32_e32 v60, v60, v69
	v_lshlrev_b16 v32, 8, v32
	v_lshlrev_b16 v34, 8, v34
	v_and_b32_e32 v73, 0xffff, v73
	v_lshlrev_b32_e32 v68, 16, v68
	v_and_b32_e32 v74, 0xffff, v74
	v_lshlrev_b32_e32 v70, 16, v70
	v_or_b32_e32 v64, v72, v66
	v_lshlrev_b16 v37, 8, v37
	v_lshlrev_b16 v27, 8, v27
	v_or_b32_e32 v65, v73, v68
	v_or_b32_e32 v66, v74, v70
	v_lshlrev_b16 v36, 8, v36
	v_lshlrev_b16 v38, 8, v38
	v_lshlrev_b16 v41, 8, v41
	v_lshlrev_b16 v28, 8, v28
	v_lshlrev_b16 v40, 8, v40
	v_lshlrev_b16 v42, 8, v42
	v_lshlrev_b16 v45, 8, v45
	v_lshlrev_b16 v29, 8, v29
	v_lshlrev_b16 v44, 8, v44
	v_lshlrev_b16 v46, 8, v46
	v_lshlrev_b16 v30, 8, v30
	v_add_co_u32 v4, vcc_lo, 0x480, v4
	s_wait_alu 0xfffd
	v_add_co_ci_u32_e64 v5, null, 0, v5, vcc_lo
	s_wait_loadcnt 0x9
	v_xor_b32_e32 v22, v22, v48
	s_wait_loadcnt 0x8
	v_xor_b32_e32 v23, v23, v63
	;; [unrolled: 2-line block ×5, first 2 shown]
	v_lshrrev_b32_e32 v48, 16, v22
	v_and_b32_e32 v52, 0xffffff00, v22
	v_lshlrev_b16 v22, 8, v22
	s_wait_loadcnt 0x3
	v_xor_b32_e32 v21, v21, v60
	v_lshrrev_b32_e32 v56, 16, v23
	v_and_b32_e32 v60, 0xffffff00, v23
	v_lshlrev_b16 v23, 8, v23
	v_sub_nc_i16 v22, v22, v33 clamp
	v_and_b32_e32 v33, 0xffffff00, v48
	v_lshlrev_b16 v48, 8, v48
	v_lshrrev_b32_e32 v63, 16, v18
	v_and_b32_e32 v64, 0xffffff00, v18
	v_lshlrev_b16 v18, 8, v18
	v_sub_nc_i16 v47, v52, v47 clamp
	v_sub_nc_i16 v23, v23, v34 clamp
	v_and_b32_e32 v34, 0xffffff00, v56
	v_lshlrev_b16 v52, 8, v56
	v_sub_nc_i16 v31, v33, v31 clamp
	v_sub_nc_i16 v32, v48, v32 clamp
	v_xor_b32_e32 v20, v20, v65
	s_wait_loadcnt 0x2
	v_xor_b32_e32 v25, v25, v66
	v_lshrrev_b32_e32 v65, 16, v24
	v_and_b32_e32 v66, 0xffffff00, v24
	v_lshlrev_b16 v24, 8, v24
	v_sub_nc_i16 v49, v60, v49 clamp
	v_sub_nc_i16 v18, v18, v37 clamp
	v_and_b32_e32 v37, 0xffffff00, v63
	v_lshlrev_b16 v56, 8, v63
	v_perm_b32 v22, v22, v47, 0xc0c0105
	v_sub_nc_i16 v33, v34, v50 clamp
	v_sub_nc_i16 v27, v52, v27 clamp
	v_perm_b32 v31, v32, v31, 0xc0c0105
	v_lshrrev_b32_e32 v67, 16, v19
	v_and_b32_e32 v68, 0xffffff00, v19
	v_lshlrev_b16 v19, 8, v19
	v_sub_nc_i16 v51, v64, v51 clamp
	v_sub_nc_i16 v24, v24, v38 clamp
	v_and_b32_e32 v38, 0xffffff00, v65
	v_lshlrev_b16 v60, 8, v65
	v_perm_b32 v23, v23, v49, 0xc0c0105
	v_sub_nc_i16 v34, v37, v35 clamp
	v_sub_nc_i16 v35, v56, v36 clamp
	v_perm_b32 v27, v27, v33, 0xc0c0105
	v_lshl_or_b32 v22, v31, 16, v22
	v_lshrrev_b32_e32 v69, 16, v20
	v_and_b32_e32 v70, 0xffffff00, v20
	v_lshlrev_b16 v20, 8, v20
	v_sub_nc_i16 v53, v66, v53 clamp
	v_sub_nc_i16 v19, v19, v41 clamp
	v_and_b32_e32 v41, 0xffffff00, v67
	v_lshlrev_b16 v63, 8, v67
	v_perm_b32 v18, v18, v51, 0xc0c0105
	v_sub_nc_i16 v36, v38, v54 clamp
	v_sub_nc_i16 v28, v60, v28 clamp
	v_perm_b32 v31, v35, v34, 0xc0c0105
	v_lshl_or_b32 v23, v27, 16, v23
	v_dot4_i32_iu8 v1, v22, v1, 0 neg_lo:[1,1,0]
	v_lshrrev_b32_e32 v71, 16, v21
	v_and_b32_e32 v72, 0xffffff00, v21
	v_lshlrev_b16 v21, 8, v21
	v_sub_nc_i16 v55, v68, v55 clamp
	v_sub_nc_i16 v20, v20, v42 clamp
	v_and_b32_e32 v42, 0xffffff00, v69
	v_lshlrev_b16 v64, 8, v69
	v_perm_b32 v24, v24, v53, 0xc0c0105
	v_sub_nc_i16 v37, v41, v39 clamp
	v_sub_nc_i16 v38, v63, v40 clamp
	v_perm_b32 v27, v28, v36, 0xc0c0105
	v_lshl_or_b32 v18, v31, 16, v18
	v_dot4_i32_iu8 v1, v23, v2, v1 neg_lo:[1,1,0]
	;; [unrolled: 13-line block ×3, first 2 shown]
	v_sub_nc_i16 v59, v72, v59 clamp
	v_sub_nc_i16 v25, v25, v46 clamp
	v_and_b32_e32 v46, 0xffffff00, v73
	v_lshlrev_b16 v66, 8, v73
	v_perm_b32 v20, v20, v57, 0xc0c0105
	v_sub_nc_i16 v22, v45, v43 clamp
	v_sub_nc_i16 v2, v65, v44 clamp
	v_perm_b32 v18, v29, v32, 0xc0c0105
	v_lshl_or_b32 v19, v23, 16, v19
	s_wait_loadcnt 0x1
	v_dot4_i32_iu8 v1, v24, v13, v1 neg_lo:[1,1,0]
	v_sub_nc_i16 v61, v74, v61 clamp
	v_perm_b32 v21, v21, v59, 0xc0c0105
	v_sub_nc_i16 v3, v46, v62 clamp
	v_sub_nc_i16 v13, v66, v30 clamp
	v_perm_b32 v2, v2, v22, 0xc0c0105
	v_lshl_or_b32 v18, v18, 16, v20
	v_dot4_i32_iu8 v1, v19, v14, v1 neg_lo:[1,1,0]
	v_perm_b32 v14, v25, v61, 0xc0c0105
	v_perm_b32 v3, v13, v3, 0xc0c0105
	v_lshl_or_b32 v2, v2, 16, v21
	s_delay_alu instid0(VALU_DEP_4) | instskip(NEXT) | instid1(VALU_DEP_3)
	v_dot4_i32_iu8 v1, v18, v15, v1 neg_lo:[1,1,0]
	v_lshl_or_b32 v3, v3, 16, v14
	s_delay_alu instid0(VALU_DEP_2) | instskip(SKIP_1) | instid1(VALU_DEP_1)
	v_dot4_i32_iu8 v1, v2, v16, v1 neg_lo:[1,1,0]
	s_wait_loadcnt 0x0
	v_dot4_i32_iu8 v2, v3, v26, v1 neg_lo:[1,1,0]
	v_lshrrev_b32_e32 v3, 28, v12
	s_delay_alu instid0(VALU_DEP_2) | instskip(NEXT) | instid1(VALU_DEP_1)
	v_lshrrev_b32_e32 v1, 31, v2
	v_add_nc_u32_e32 v1, v2, v1
	s_delay_alu instid0(VALU_DEP_1) | instskip(NEXT) | instid1(VALU_DEP_1)
	v_ashrrev_i32_e32 v1, 1, v1
	v_mad_co_u64_u32 v[1:2], null, v2, v3, v[1:2]
	s_delay_alu instid0(VALU_DEP_1) | instskip(NEXT) | instid1(VALU_DEP_1)
	v_lshrrev_b32_e32 v2, 31, v1
	v_add_nc_u32_e32 v1, v1, v2
	v_cvt_f32_f16_e32 v2, v17
	s_delay_alu instid0(VALU_DEP_2) | instskip(NEXT) | instid1(VALU_DEP_2)
	v_ashrrev_i32_e32 v1, 1, v1
	v_mul_f32_e32 v0, v2, v0
	s_delay_alu instid0(VALU_DEP_2) | instskip(NEXT) | instid1(VALU_DEP_1)
	v_cvt_f32_i32_e32 v1, v1
	v_fmac_f32_e32 v8, v0, v1
	s_wait_alu 0xfffe
	s_and_not1_b32 exec_lo, exec_lo, s3
	s_cbranch_execnz .LBB196_7
; %bb.8:
	s_or_b32 exec_lo, exec_lo, s3
.LBB196_9:
	s_delay_alu instid0(SALU_CYCLE_1)
	s_or_b32 exec_lo, exec_lo, s17
	; wave barrier
	global_inv scope:SCOPE_SE
	s_mov_b32 s2, exec_lo
	v_cmpx_eq_u32_e32 0, v7
	s_cbranch_execz .LBB196_12
; %bb.10:
	v_mbcnt_lo_u32_b32 v0, -1, 0
	s_delay_alu instid0(VALU_DEP_1) | instskip(SKIP_2) | instid1(VALU_DEP_3)
	v_xor_b32_e32 v1, 16, v0
	v_xor_b32_e32 v2, 8, v0
	;; [unrolled: 1-line block ×3, first 2 shown]
	v_cmp_gt_i32_e32 vcc_lo, 32, v1
	s_wait_alu 0xfffd
	v_cndmask_b32_e32 v1, v0, v1, vcc_lo
	v_cmp_gt_i32_e32 vcc_lo, 32, v2
	s_wait_alu 0xfffd
	v_cndmask_b32_e32 v2, v0, v2, vcc_lo
	;; [unrolled: 3-line block ×3, first 2 shown]
	s_delay_alu instid0(VALU_DEP_1)
	v_lshlrev_b32_e32 v3, 2, v3
	v_lshlrev_b32_e32 v2, 2, v2
	;; [unrolled: 1-line block ×3, first 2 shown]
	ds_bpermute_b32 v1, v1, v8
	s_wait_dscnt 0x0
	v_add_f32_e32 v1, v8, v1
	ds_bpermute_b32 v2, v2, v1
	s_wait_dscnt 0x0
	v_add_f32_e32 v1, v1, v2
	ds_bpermute_b32 v2, v3, v1
	v_xor_b32_e32 v3, 2, v0
	s_delay_alu instid0(VALU_DEP_1) | instskip(SKIP_2) | instid1(VALU_DEP_1)
	v_cmp_gt_i32_e32 vcc_lo, 32, v3
	s_wait_alu 0xfffd
	v_cndmask_b32_e32 v3, v0, v3, vcc_lo
	v_lshlrev_b32_e32 v3, 2, v3
	s_wait_dscnt 0x0
	v_add_f32_e32 v1, v1, v2
	ds_bpermute_b32 v2, v3, v1
	v_xor_b32_e32 v3, 1, v0
	s_delay_alu instid0(VALU_DEP_1) | instskip(SKIP_4) | instid1(VALU_DEP_2)
	v_cmp_gt_i32_e32 vcc_lo, 32, v3
	s_wait_alu 0xfffd
	v_cndmask_b32_e32 v0, v0, v3, vcc_lo
	v_cmp_eq_u32_e32 vcc_lo, 0, v6
	s_wait_dscnt 0x0
	v_dual_add_f32 v0, v1, v2 :: v_dual_lshlrev_b32 v3, 2, v0
	ds_bpermute_b32 v1, v3, v0
	s_and_b32 exec_lo, exec_lo, vcc_lo
	s_cbranch_execz .LBB196_12
; %bb.11:
	s_load_b64 s[0:1], s[0:1], 0x38
	s_wait_kmcnt 0x0
	s_mul_i32 s2, s6, s15
	s_mul_i32 s3, s14, s16
	s_wait_alu 0xfffe
	s_add_co_i32 s2, s2, ttmp9
	s_wait_dscnt 0x0
	v_dual_add_f32 v0, v0, v1 :: v_dual_mov_b32 v1, 0
	s_wait_alu 0xfffe
	s_add_co_i32 s2, s2, s3
	s_mov_b32 s3, 0
	s_wait_alu 0xfffe
	s_lshl_b64 s[2:3], s[2:3], 2
	s_wait_alu 0xfffe
	s_add_nc_u64 s[0:1], s[0:1], s[2:3]
	global_store_b32 v1, v0, s[0:1]
.LBB196_12:
	s_endpgm
.LBB196_13:
                                        ; implicit-def: $sgpr19
	s_clause 0x1
	s_load_b128 s[4:7], s[0:1], 0x68
	s_load_b32 s20, s[0:1], 0x50
	s_branch .LBB196_2
	.section	.rodata,"a",@progbits
	.p2align	6, 0x0
	.amdhsa_kernel _ZL13mul_mat_vec_qIL9ggml_type18ELi1ELb0ELb0EEvPKvS2_PKi31ggml_cuda_mm_fusion_args_devicePfj15HIP_vector_typeIjLj3EEjjjS8_jjjS8_jjjj
		.amdhsa_group_segment_fixed_size 0
		.amdhsa_private_segment_fixed_size 0
		.amdhsa_kernarg_size 144
		.amdhsa_user_sgpr_count 2
		.amdhsa_user_sgpr_dispatch_ptr 0
		.amdhsa_user_sgpr_queue_ptr 0
		.amdhsa_user_sgpr_kernarg_segment_ptr 1
		.amdhsa_user_sgpr_dispatch_id 0
		.amdhsa_user_sgpr_private_segment_size 0
		.amdhsa_wavefront_size32 1
		.amdhsa_uses_dynamic_stack 0
		.amdhsa_enable_private_segment 0
		.amdhsa_system_sgpr_workgroup_id_x 1
		.amdhsa_system_sgpr_workgroup_id_y 1
		.amdhsa_system_sgpr_workgroup_id_z 1
		.amdhsa_system_sgpr_workgroup_info 0
		.amdhsa_system_vgpr_workitem_id 1
		.amdhsa_next_free_vgpr 75
		.amdhsa_next_free_sgpr 22
		.amdhsa_reserve_vcc 1
		.amdhsa_float_round_mode_32 0
		.amdhsa_float_round_mode_16_64 0
		.amdhsa_float_denorm_mode_32 3
		.amdhsa_float_denorm_mode_16_64 3
		.amdhsa_fp16_overflow 0
		.amdhsa_workgroup_processor_mode 1
		.amdhsa_memory_ordered 1
		.amdhsa_forward_progress 1
		.amdhsa_inst_pref_size 29
		.amdhsa_round_robin_scheduling 0
		.amdhsa_exception_fp_ieee_invalid_op 0
		.amdhsa_exception_fp_denorm_src 0
		.amdhsa_exception_fp_ieee_div_zero 0
		.amdhsa_exception_fp_ieee_overflow 0
		.amdhsa_exception_fp_ieee_underflow 0
		.amdhsa_exception_fp_ieee_inexact 0
		.amdhsa_exception_int_div_zero 0
	.end_amdhsa_kernel
	.section	.text._ZL13mul_mat_vec_qIL9ggml_type18ELi1ELb0ELb0EEvPKvS2_PKi31ggml_cuda_mm_fusion_args_devicePfj15HIP_vector_typeIjLj3EEjjjS8_jjjS8_jjjj,"axG",@progbits,_ZL13mul_mat_vec_qIL9ggml_type18ELi1ELb0ELb0EEvPKvS2_PKi31ggml_cuda_mm_fusion_args_devicePfj15HIP_vector_typeIjLj3EEjjjS8_jjjS8_jjjj,comdat
.Lfunc_end196:
	.size	_ZL13mul_mat_vec_qIL9ggml_type18ELi1ELb0ELb0EEvPKvS2_PKi31ggml_cuda_mm_fusion_args_devicePfj15HIP_vector_typeIjLj3EEjjjS8_jjjS8_jjjj, .Lfunc_end196-_ZL13mul_mat_vec_qIL9ggml_type18ELi1ELb0ELb0EEvPKvS2_PKi31ggml_cuda_mm_fusion_args_devicePfj15HIP_vector_typeIjLj3EEjjjS8_jjjS8_jjjj
                                        ; -- End function
	.set _ZL13mul_mat_vec_qIL9ggml_type18ELi1ELb0ELb0EEvPKvS2_PKi31ggml_cuda_mm_fusion_args_devicePfj15HIP_vector_typeIjLj3EEjjjS8_jjjS8_jjjj.num_vgpr, 75
	.set _ZL13mul_mat_vec_qIL9ggml_type18ELi1ELb0ELb0EEvPKvS2_PKi31ggml_cuda_mm_fusion_args_devicePfj15HIP_vector_typeIjLj3EEjjjS8_jjjS8_jjjj.num_agpr, 0
	.set _ZL13mul_mat_vec_qIL9ggml_type18ELi1ELb0ELb0EEvPKvS2_PKi31ggml_cuda_mm_fusion_args_devicePfj15HIP_vector_typeIjLj3EEjjjS8_jjjS8_jjjj.numbered_sgpr, 22
	.set _ZL13mul_mat_vec_qIL9ggml_type18ELi1ELb0ELb0EEvPKvS2_PKi31ggml_cuda_mm_fusion_args_devicePfj15HIP_vector_typeIjLj3EEjjjS8_jjjS8_jjjj.num_named_barrier, 0
	.set _ZL13mul_mat_vec_qIL9ggml_type18ELi1ELb0ELb0EEvPKvS2_PKi31ggml_cuda_mm_fusion_args_devicePfj15HIP_vector_typeIjLj3EEjjjS8_jjjS8_jjjj.private_seg_size, 0
	.set _ZL13mul_mat_vec_qIL9ggml_type18ELi1ELb0ELb0EEvPKvS2_PKi31ggml_cuda_mm_fusion_args_devicePfj15HIP_vector_typeIjLj3EEjjjS8_jjjS8_jjjj.uses_vcc, 1
	.set _ZL13mul_mat_vec_qIL9ggml_type18ELi1ELb0ELb0EEvPKvS2_PKi31ggml_cuda_mm_fusion_args_devicePfj15HIP_vector_typeIjLj3EEjjjS8_jjjS8_jjjj.uses_flat_scratch, 0
	.set _ZL13mul_mat_vec_qIL9ggml_type18ELi1ELb0ELb0EEvPKvS2_PKi31ggml_cuda_mm_fusion_args_devicePfj15HIP_vector_typeIjLj3EEjjjS8_jjjS8_jjjj.has_dyn_sized_stack, 0
	.set _ZL13mul_mat_vec_qIL9ggml_type18ELi1ELb0ELb0EEvPKvS2_PKi31ggml_cuda_mm_fusion_args_devicePfj15HIP_vector_typeIjLj3EEjjjS8_jjjS8_jjjj.has_recursion, 0
	.set _ZL13mul_mat_vec_qIL9ggml_type18ELi1ELb0ELb0EEvPKvS2_PKi31ggml_cuda_mm_fusion_args_devicePfj15HIP_vector_typeIjLj3EEjjjS8_jjjS8_jjjj.has_indirect_call, 0
	.section	.AMDGPU.csdata,"",@progbits
; Kernel info:
; codeLenInByte = 3600
; TotalNumSgprs: 24
; NumVgprs: 75
; ScratchSize: 0
; MemoryBound: 0
; FloatMode: 240
; IeeeMode: 1
; LDSByteSize: 0 bytes/workgroup (compile time only)
; SGPRBlocks: 0
; VGPRBlocks: 9
; NumSGPRsForWavesPerEU: 24
; NumVGPRsForWavesPerEU: 75
; Occupancy: 16
; WaveLimiterHint : 0
; COMPUTE_PGM_RSRC2:SCRATCH_EN: 0
; COMPUTE_PGM_RSRC2:USER_SGPR: 2
; COMPUTE_PGM_RSRC2:TRAP_HANDLER: 0
; COMPUTE_PGM_RSRC2:TGID_X_EN: 1
; COMPUTE_PGM_RSRC2:TGID_Y_EN: 1
; COMPUTE_PGM_RSRC2:TGID_Z_EN: 1
; COMPUTE_PGM_RSRC2:TIDIG_COMP_CNT: 1
	.section	.text._ZL13mul_mat_vec_qIL9ggml_type18ELi2ELb0ELb0EEvPKvS2_PKi31ggml_cuda_mm_fusion_args_devicePfj15HIP_vector_typeIjLj3EEjjjS8_jjjS8_jjjj,"axG",@progbits,_ZL13mul_mat_vec_qIL9ggml_type18ELi2ELb0ELb0EEvPKvS2_PKi31ggml_cuda_mm_fusion_args_devicePfj15HIP_vector_typeIjLj3EEjjjS8_jjjS8_jjjj,comdat
	.globl	_ZL13mul_mat_vec_qIL9ggml_type18ELi2ELb0ELb0EEvPKvS2_PKi31ggml_cuda_mm_fusion_args_devicePfj15HIP_vector_typeIjLj3EEjjjS8_jjjS8_jjjj ; -- Begin function _ZL13mul_mat_vec_qIL9ggml_type18ELi2ELb0ELb0EEvPKvS2_PKi31ggml_cuda_mm_fusion_args_devicePfj15HIP_vector_typeIjLj3EEjjjS8_jjjS8_jjjj
	.p2align	8
	.type	_ZL13mul_mat_vec_qIL9ggml_type18ELi2ELb0ELb0EEvPKvS2_PKi31ggml_cuda_mm_fusion_args_devicePfj15HIP_vector_typeIjLj3EEjjjS8_jjjS8_jjjj,@function
_ZL13mul_mat_vec_qIL9ggml_type18ELi2ELb0ELb0EEvPKvS2_PKi31ggml_cuda_mm_fusion_args_devicePfj15HIP_vector_typeIjLj3EEjjjS8_jjjS8_jjjj: ; @_ZL13mul_mat_vec_qIL9ggml_type18ELi2ELb0ELb0EEvPKvS2_PKi31ggml_cuda_mm_fusion_args_devicePfj15HIP_vector_typeIjLj3EEjjjS8_jjjS8_jjjj
; %bb.0:
	s_clause 0x5
	s_load_b96 s[16:18], s[0:1], 0x80
	s_load_b32 s2, s[0:1], 0x40
	s_load_b128 s[4:7], s[0:1], 0x50
	s_load_b32 s24, s[0:1], 0x60
	s_load_b128 s[8:11], s[0:1], 0x68
	s_load_b32 s23, s[0:1], 0x78
	v_bfe_u32 v6, v0, 10, 10
	v_dual_mov_b32 v5, 0 :: v_dual_and_b32 v4, 0x3ff, v0
	v_mov_b32_e32 v8, 0
	s_and_b32 s19, ttmp7, 0xffff
	s_lshr_b32 s20, ttmp7, 16
	s_delay_alu instid0(VALU_DEP_2) | instskip(SKIP_1) | instid1(VALU_DEP_1)
	v_lshl_or_b32 v0, v6, 5, v4
	s_mov_b32 s22, exec_lo
	v_lshrrev_b32_e32 v7, 3, v0
	s_wait_kmcnt 0x0
	s_lshr_b32 s21, s2, 8
	s_delay_alu instid0(VALU_DEP_1) | instid1(SALU_CYCLE_1)
	v_cmpx_gt_u32_e64 s21, v7
	s_cbranch_execz .LBB197_4
; %bb.1:
	v_lshl_add_u32 v0, v6, 5, v4
	s_mov_b32 s3, 0
	s_mul_i32 s12, s9, s19
	s_mov_b32 s13, s3
	s_mul_i32 s2, s17, s20
	v_lshrrev_b32_e32 v0, 3, v0
	s_mul_u64 s[26:27], s[12:13], 36
	s_load_b128 s[12:15], s[0:1], 0x0
	v_and_b32_e32 v3, 7, v4
	v_dual_mov_b32 v5, 0 :: v_dual_lshlrev_b32 v2, 1, v4
	v_mad_co_u64_u32 v[0:1], null, 0x120, v0, s[26:27]
	s_mul_i32 s9, s4, ttmp9
	s_mul_hi_u32 s4, s7, s19
	v_and_b32_e32 v8, 14, v2
	s_mul_hi_u32 s7, s11, s20
	v_lshl_add_u32 v9, v7, 3, s5
	s_add_co_i32 s11, s19, s4
	v_mad_co_u64_u32 v[0:1], null, s2, 36, v[0:1]
	s_mul_u64 s[4:5], s[2:3], 36
	v_lshlrev_b32_e32 v10, 1, v8
	s_add_co_i32 s7, s20, s7
	s_lshr_b32 s2, s11, s24
	s_lshr_b32 s7, s7, s23
	s_wait_alu 0xfffe
	s_mul_i32 s2, s2, s8
	v_mad_co_u64_u32 v[0:1], null, v3, 36, v[0:1]
	s_wait_kmcnt 0x0
	s_add_nc_u64 s[4:5], s[14:15], s[4:5]
	v_lshlrev_b32_e32 v10, 1, v10
	s_wait_alu 0xfffe
	s_add_nc_u64 s[4:5], s[4:5], s[26:27]
	s_mul_i32 s7, s7, s16
	s_add_co_i32 s2, s2, s9
	v_add_co_u32 v2, vcc_lo, s14, v0
	s_delay_alu instid0(VALU_DEP_1) | instskip(SKIP_2) | instid1(VALU_DEP_3)
	v_add_co_ci_u32_e64 v11, null, s15, v1, vcc_lo
	s_wait_alu 0xfffe
	v_mad_co_u64_u32 v[0:1], null, v3, 36, s[4:5]
	v_add_co_u32 v2, vcc_lo, v2, 32
	s_wait_alu 0xfffd
	v_add_co_ci_u32_e64 v3, null, 0, v11, vcc_lo
	v_dual_mov_b32 v8, 0 :: v_dual_lshlrev_b32 v11, 1, v8
	s_add_co_i32 s4, s7, s2
.LBB197_2:                              ; =>This Inner Loop Header: Depth=1
	s_wait_alu 0xfffe
	v_add_nc_u32_e32 v12, s4, v7
	v_mad_co_u64_u32 v[24:25], null, v9, 36, v[0:1]
	s_getpc_b64 s[8:9]
	s_sext_i32_i16 s9, s9
	s_add_co_u32 s8, s8, _ZL11iq3xxs_grid@rel32@lo+8
	s_add_co_ci_u32 s9, s9, _ZL11iq3xxs_grid@rel32@hi+16
	v_add_nc_u32_e32 v7, 4, v7
	v_mad_co_i64_i32 v[20:21], null, 0x62, v12, s[12:13]
	v_add_nc_u32_e32 v9, 32, v9
	s_delay_alu instid0(VALU_DEP_3) | instskip(NEXT) | instid1(VALU_DEP_3)
	v_cmp_le_u32_e64 s2, s21, v7
	v_add_co_u32 v12, vcc_lo, v20, v10
	s_wait_alu 0xfffd
	s_delay_alu instid0(VALU_DEP_4)
	v_add_co_ci_u32_e64 v13, null, 0, v21, vcc_lo
	v_add_co_u32 v26, vcc_lo, v20, v11
	s_wait_alu 0xfffd
	v_add_co_ci_u32_e64 v27, null, 0, v21, vcc_lo
	global_load_b64 v[22:23], v[12:13], off offset:2
	global_load_b128 v[12:15], v[2:3], off offset:-32
	global_load_b128 v[16:19], v[24:25], off
	s_clause 0x1
	global_load_b32 v28, v[26:27], off offset:66
	global_load_u16 v29, v[20:21], off
	s_or_b32 s3, s2, s3
	s_wait_loadcnt 0x3
	v_cvt_f32_f16_e32 v12, v12
	v_and_b32_e32 v20, 0xff, v22
	v_lshrrev_b32_e32 v21, 6, v22
	v_lshrrev_b32_e32 v26, 14, v22
	;; [unrolled: 1-line block ×3, first 2 shown]
	v_and_b32_e32 v27, 0xff, v23
	v_lshrrev_b32_e32 v30, 6, v23
	v_lshrrev_b32_e32 v31, 14, v23
	;; [unrolled: 1-line block ×3, first 2 shown]
	v_lshlrev_b32_e32 v20, 2, v20
	v_and_b32_e32 v21, 0x3fc, v21
	v_and_b32_e32 v26, 0x3fc, v26
	;; [unrolled: 1-line block ×3, first 2 shown]
	v_lshlrev_b32_e32 v27, 2, v27
	v_and_b32_e32 v30, 0x3fc, v30
	v_and_b32_e32 v31, 0x3fc, v31
	;; [unrolled: 1-line block ×3, first 2 shown]
	s_clause 0x7
	global_load_b32 v32, v20, s[8:9]
	global_load_b32 v33, v21, s[8:9]
	;; [unrolled: 1-line block ×8, first 2 shown]
	s_clause 0x1
	global_load_b32 v38, v[2:3], off
	global_load_b128 v[20:23], v[2:3], off offset:-16
	s_clause 0x1
	global_load_b32 v39, v[24:25], off offset:32
	global_load_b128 v[24:27], v[24:25], off offset:16
	s_wait_loadcnt 0xd
	v_and_b32_e32 v40, 0xff, v28
	v_bfe_u32 v41, v28, 7, 8
	v_bfe_u32 v43, v28, 21, 8
	v_bfe_u32 v42, v28, 14, 8
	s_delay_alu instid0(VALU_DEP_4) | instskip(NEXT) | instid1(VALU_DEP_4)
	v_bcnt_u32_b32 v44, v40, 0
	v_bcnt_u32_b32 v45, v41, 0
	s_delay_alu instid0(VALU_DEP_4) | instskip(NEXT) | instid1(VALU_DEP_4)
	v_bcnt_u32_b32 v47, v43, 0
	v_bcnt_u32_b32 v46, v42, 0
	s_delay_alu instid0(VALU_DEP_4) | instskip(NEXT) | instid1(VALU_DEP_4)
	v_and_b32_e32 v44, 1, v44
	v_and_b32_e32 v45, 1, v45
	s_delay_alu instid0(VALU_DEP_4) | instskip(NEXT) | instid1(VALU_DEP_4)
	v_and_b32_e32 v47, 1, v47
	v_and_b32_e32 v46, 1, v46
	s_delay_alu instid0(VALU_DEP_4) | instskip(NEXT) | instid1(VALU_DEP_4)
	v_lshlrev_b32_e32 v44, 7, v44
	v_lshlrev_b32_e32 v45, 7, v45
	s_delay_alu instid0(VALU_DEP_4) | instskip(NEXT) | instid1(VALU_DEP_4)
	v_lshlrev_b32_e32 v47, 7, v47
	v_lshlrev_b32_e32 v46, 7, v46
	s_delay_alu instid0(VALU_DEP_4) | instskip(NEXT) | instid1(VALU_DEP_4)
	v_xor_b32_e32 v40, v44, v40
	v_xor_b32_e32 v41, v45, v41
	s_delay_alu instid0(VALU_DEP_4) | instskip(NEXT) | instid1(VALU_DEP_4)
	v_xor_b32_e32 v43, v47, v43
	v_xor_b32_e32 v42, v46, v42
	s_delay_alu instid0(VALU_DEP_4) | instskip(NEXT) | instid1(VALU_DEP_4)
	v_mul_lo_u32 v40, 0x1010101, v40
	v_mul_lo_u32 v41, 0x1010101, v41
	s_delay_alu instid0(VALU_DEP_4) | instskip(NEXT) | instid1(VALU_DEP_4)
	v_mul_lo_u32 v43, 0x1010101, v43
	v_mul_lo_u32 v42, 0x1010101, v42
	s_delay_alu instid0(VALU_DEP_4)
	v_and_b32_e32 v44, 0x8040201, v40
	v_and_b32_e32 v47, 0x80402010, v40
	;; [unrolled: 1-line block ×5, first 2 shown]
	v_lshrrev_b16 v60, 8, v44
	v_lshrrev_b32_e32 v44, 24, v44
	v_lshrrev_b16 v62, 8, v47
	v_lshrrev_b32_e32 v63, 24, v47
	v_lshrrev_b16 v64, 8, v48
	v_cmp_ne_u16_e32 vcc_lo, 0, v60
	v_lshrrev_b32_e32 v48, 24, v48
	v_lshrrev_b16 v66, 8, v51
	v_lshrrev_b32_e32 v67, 24, v51
	v_lshrrev_b16 v68, 8, v52
	s_wait_alu 0xfffd
	v_cndmask_b32_e64 v60, 0, -1, vcc_lo
	v_cmp_ne_u16_e32 vcc_lo, 0, v44
	v_and_b32_e32 v55, 0x80402010, v42
	v_lshrrev_b32_e32 v52, 24, v52
	v_and_b32_e32 v56, 0x8040201, v43
	v_lshrrev_b32_e32 v45, 18, v40
	s_wait_alu 0xfffd
	v_cndmask_b32_e64 v44, 0, -1, vcc_lo
	v_cmp_ne_u16_e32 vcc_lo, 0, v62
	v_lshrrev_b16 v70, 8, v55
	v_lshrrev_b32_e32 v71, 24, v55
	v_lshrrev_b16 v72, 8, v56
	v_bfe_i32 v46, v40, 0, 1
	s_wait_alu 0xfffd
	v_cndmask_b32_e64 v62, 0, -1, vcc_lo
	v_cmp_ne_u16_e32 vcc_lo, 0, v63
	v_lshrrev_b32_e32 v40, 22, v40
	v_lshrrev_b32_e32 v49, 18, v41
	v_and_b32_e32 v59, 0x80402010, v43
	v_bfe_i32 v45, v45, 0, 1
	s_wait_alu 0xfffd
	v_cndmask_b32_e64 v63, 0, -1, vcc_lo
	v_cmp_ne_u16_e32 vcc_lo, 0, v64
	v_lshrrev_b16 v47, 4, v47
	v_lshrrev_b32_e32 v56, 24, v56
	v_bfe_i32 v50, v41, 0, 1
	v_lshrrev_b32_e32 v53, 18, v42
	s_wait_alu 0xfffd
	v_cndmask_b32_e64 v64, 0, -1, vcc_lo
	v_cmp_ne_u16_e32 vcc_lo, 0, v48
	v_lshrrev_b32_e32 v57, 18, v43
	v_and_b32_e32 v61, 0xff, v46
	v_bfe_i32 v40, v40, 0, 1
	v_bfe_i32 v49, v49, 0, 1
	s_wait_alu 0xfffd
	v_cndmask_b32_e64 v48, 0, -1, vcc_lo
	v_cmp_ne_u16_e32 vcc_lo, 0, v66
	v_lshrrev_b16 v74, 8, v59
	v_and_b32_e32 v76, 0xff, v45
	v_bfe_i32 v47, v47, 0, 1
	v_lshlrev_b16 v60, 8, v60
	s_wait_alu 0xfffd
	v_cndmask_b32_e64 v66, 0, -1, vcc_lo
	v_cmp_ne_u16_e32 vcc_lo, 0, v67
	v_lshlrev_b16 v44, 8, v44
	v_lshrrev_b32_e32 v41, 22, v41
	v_bfe_i32 v54, v42, 0, 1
	v_bfe_i32 v58, v43, 0, 1
	s_wait_alu 0xfffd
	v_cndmask_b32_e64 v67, 0, -1, vcc_lo
	v_cmp_ne_u16_e32 vcc_lo, 0, v68
	v_and_b32_e32 v65, 0xff, v50
	v_lshrrev_b16 v51, 4, v51
	v_bfe_i32 v53, v53, 0, 1
	v_bfe_i32 v57, v57, 0, 1
	s_wait_alu 0xfffd
	v_cndmask_b32_e64 v68, 0, -1, vcc_lo
	v_cmp_ne_u16_e32 vcc_lo, 0, v52
	v_lshrrev_b32_e32 v75, 24, v59
	v_and_b32_e32 v77, 0xff, v40
	v_and_b32_e32 v78, 0xff, v49
	;; [unrolled: 1-line block ×3, first 2 shown]
	s_wait_alu 0xfffd
	v_cndmask_b32_e64 v52, 0, -1, vcc_lo
	v_cmp_ne_u16_e32 vcc_lo, 0, v70
	v_lshlrev_b16 v62, 8, v62
	v_lshlrev_b16 v63, 8, v63
	;; [unrolled: 1-line block ×4, first 2 shown]
	s_wait_alu 0xfffd
	v_cndmask_b32_e64 v70, 0, -1, vcc_lo
	v_cmp_ne_u16_e32 vcc_lo, 0, v71
	v_or_b32_e32 v61, v61, v60
	v_or_b32_e32 v76, v76, v44
	v_lshrrev_b32_e32 v42, 22, v42
	v_lshrrev_b32_e32 v43, 22, v43
	s_wait_alu 0xfffd
	v_cndmask_b32_e64 v71, 0, -1, vcc_lo
	v_cmp_ne_u16_e32 vcc_lo, 0, v72
	v_bfe_i32 v41, v41, 0, 1
	v_and_b32_e32 v69, 0xff, v54
	v_lshrrev_b16 v55, 4, v55
	v_and_b32_e32 v73, 0xff, v58
	s_wait_alu 0xfffd
	v_cndmask_b32_e64 v72, 0, -1, vcc_lo
	v_cmp_ne_u16_e32 vcc_lo, 0, v56
	v_lshrrev_b16 v59, 4, v59
	v_bfe_i32 v51, v51, 0, 1
	v_and_b32_e32 v80, 0xff, v53
	v_and_b32_e32 v82, 0xff, v57
	s_wait_alu 0xfffd
	v_cndmask_b32_e64 v56, 0, -1, vcc_lo
	v_cmp_ne_u16_e32 vcc_lo, 0, v74
	v_lshlrev_b16 v68, 8, v68
	v_lshlrev_b16 v52, 8, v52
	;; [unrolled: 1-line block ×4, first 2 shown]
	s_wait_alu 0xfffd
	v_cndmask_b32_e64 v74, 0, -1, vcc_lo
	v_cmp_ne_u16_e32 vcc_lo, 0, v75
	v_or_b32_e32 v84, v84, v62
	v_or_b32_e32 v77, v77, v63
	;; [unrolled: 1-line block ×4, first 2 shown]
	v_and_b32_e32 v61, 0xffff, v61
	v_lshlrev_b32_e32 v76, 16, v76
	v_bfe_i32 v42, v42, 0, 1
	v_bfe_i32 v43, v43, 0, 1
	v_and_b32_e32 v79, 0xff, v41
	v_bfe_i32 v55, v55, 0, 1
	v_bfe_i32 v59, v59, 0, 1
	s_wait_alu 0xfffd
	v_cndmask_b32_e64 v75, 0, -1, vcc_lo
	v_and_b32_e32 v85, 0xff, v51
	v_lshlrev_b16 v66, 8, v66
	v_lshlrev_b16 v67, 8, v67
	v_or_b32_e32 v69, v69, v68
	v_or_b32_e32 v80, v80, v52
	;; [unrolled: 1-line block ×4, first 2 shown]
	v_and_b32_e32 v84, 0xffff, v84
	v_lshlrev_b32_e32 v77, 16, v77
	v_and_b32_e32 v65, 0xffff, v65
	v_lshlrev_b32_e32 v78, 16, v78
	v_or_b32_e32 v61, v61, v76
	v_and_b32_e32 v81, 0xff, v42
	v_and_b32_e32 v83, 0xff, v43
	;; [unrolled: 1-line block ×3, first 2 shown]
	v_lshlrev_b16 v70, 8, v70
	v_lshlrev_b16 v71, 8, v71
	v_and_b32_e32 v87, 0xff, v59
	v_lshlrev_b16 v74, 8, v74
	v_lshlrev_b16 v75, 8, v75
	v_or_b32_e32 v85, v85, v66
	v_or_b32_e32 v79, v79, v67
	v_and_b32_e32 v69, 0xffff, v69
	v_lshlrev_b32_e32 v80, 16, v80
	v_and_b32_e32 v73, 0xffff, v73
	v_lshlrev_b32_e32 v82, 16, v82
	v_or_b32_e32 v76, v84, v77
	v_or_b32_e32 v65, v65, v78
	v_lshlrev_b16 v46, 8, v46
	v_or_b32_e32 v86, v86, v70
	v_or_b32_e32 v81, v81, v71
	;; [unrolled: 1-line block ×4, first 2 shown]
	v_and_b32_e32 v85, 0xffff, v85
	v_lshlrev_b32_e32 v79, 16, v79
	v_or_b32_e32 v69, v69, v80
	v_or_b32_e32 v73, v73, v82
	v_lshlrev_b16 v45, 8, v45
	v_lshlrev_b16 v47, 8, v47
	v_and_b32_e32 v86, 0xffff, v86
	v_lshlrev_b32_e32 v81, 16, v81
	v_and_b32_e32 v87, 0xffff, v87
	v_lshlrev_b32_e32 v83, 16, v83
	v_or_b32_e32 v77, v85, v79
	v_lshlrev_b16 v50, 8, v50
	v_lshlrev_b16 v40, 8, v40
	v_or_b32_e32 v78, v86, v81
	v_or_b32_e32 v79, v87, v83
	v_lshlrev_b16 v49, 8, v49
	v_lshlrev_b16 v51, 8, v51
	v_lshlrev_b16 v54, 8, v54
	v_lshlrev_b16 v41, 8, v41
	v_lshlrev_b16 v53, 8, v53
	v_lshlrev_b16 v55, 8, v55
	v_lshlrev_b16 v58, 8, v58
	v_lshlrev_b16 v42, 8, v42
	v_lshlrev_b16 v57, 8, v57
	v_lshlrev_b16 v59, 8, v59
	v_lshlrev_b16 v43, 8, v43
	v_add_co_u32 v2, vcc_lo, 0x480, v2
	s_wait_alu 0xfffd
	v_add_co_ci_u32_e64 v3, null, 0, v3, vcc_lo
	s_wait_loadcnt 0xb
	v_xor_b32_e32 v32, v32, v61
	s_wait_loadcnt 0xa
	v_xor_b32_e32 v33, v33, v76
	;; [unrolled: 2-line block ×5, first 2 shown]
	v_lshrrev_b32_e32 v61, 16, v32
	v_and_b32_e32 v65, 0xffffff00, v32
	v_lshlrev_b16 v32, 8, v32
	s_wait_loadcnt 0x5
	v_xor_b32_e32 v31, v31, v73
	v_lshrrev_b32_e32 v69, 16, v33
	v_and_b32_e32 v73, 0xffffff00, v33
	v_lshlrev_b16 v33, 8, v33
	v_sub_nc_i16 v32, v32, v46 clamp
	v_and_b32_e32 v46, 0xffffff00, v61
	v_lshlrev_b16 v61, 8, v61
	v_lshrrev_b32_e32 v76, 16, v34
	v_and_b32_e32 v77, 0xffffff00, v34
	v_lshlrev_b16 v34, 8, v34
	v_sub_nc_i16 v60, v65, v60 clamp
	v_sub_nc_i16 v33, v33, v47 clamp
	v_and_b32_e32 v47, 0xffffff00, v69
	v_lshlrev_b16 v65, 8, v69
	v_sub_nc_i16 v44, v46, v44 clamp
	v_sub_nc_i16 v45, v61, v45 clamp
	v_xor_b32_e32 v30, v30, v78
	s_wait_loadcnt 0x4
	v_xor_b32_e32 v37, v37, v79
	v_lshrrev_b32_e32 v78, 16, v35
	v_and_b32_e32 v79, 0xffffff00, v35
	v_lshlrev_b16 v35, 8, v35
	v_sub_nc_i16 v62, v73, v62 clamp
	v_sub_nc_i16 v34, v34, v50 clamp
	v_and_b32_e32 v50, 0xffffff00, v76
	v_lshlrev_b16 v69, 8, v76
	v_perm_b32 v32, v32, v60, 0xc0c0105
	v_sub_nc_i16 v46, v47, v63 clamp
	v_sub_nc_i16 v40, v65, v40 clamp
	v_perm_b32 v44, v45, v44, 0xc0c0105
	v_lshrrev_b32_e32 v80, 16, v36
	v_and_b32_e32 v81, 0xffffff00, v36
	v_lshlrev_b16 v36, 8, v36
	v_sub_nc_i16 v64, v77, v64 clamp
	v_sub_nc_i16 v35, v35, v51 clamp
	v_and_b32_e32 v51, 0xffffff00, v78
	v_lshlrev_b16 v73, 8, v78
	v_perm_b32 v33, v33, v62, 0xc0c0105
	v_sub_nc_i16 v47, v50, v48 clamp
	v_sub_nc_i16 v48, v69, v49 clamp
	v_perm_b32 v40, v40, v46, 0xc0c0105
	v_lshl_or_b32 v32, v44, 16, v32
	v_lshrrev_b32_e32 v82, 16, v30
	v_and_b32_e32 v83, 0xffffff00, v30
	v_lshlrev_b16 v30, 8, v30
	v_sub_nc_i16 v66, v79, v66 clamp
	v_sub_nc_i16 v36, v36, v54 clamp
	v_and_b32_e32 v54, 0xffffff00, v80
	v_lshlrev_b16 v76, 8, v80
	v_perm_b32 v34, v34, v64, 0xc0c0105
	v_sub_nc_i16 v49, v51, v67 clamp
	v_sub_nc_i16 v41, v73, v41 clamp
	v_perm_b32 v45, v48, v47, 0xc0c0105
	v_lshl_or_b32 v33, v40, 16, v33
	v_dot4_i32_iu8 v13, v32, v13, 0 neg_lo:[1,1,0]
	v_dot4_i32_iu8 v17, v32, v17, 0 neg_lo:[1,1,0]
	v_lshrrev_b32_e32 v84, 16, v31
	v_and_b32_e32 v85, 0xffffff00, v31
	v_lshlrev_b16 v31, 8, v31
	v_sub_nc_i16 v68, v81, v68 clamp
	v_sub_nc_i16 v30, v30, v55 clamp
	v_and_b32_e32 v55, 0xffffff00, v82
	v_lshlrev_b16 v77, 8, v82
	v_perm_b32 v35, v35, v66, 0xc0c0105
	v_sub_nc_i16 v50, v54, v52 clamp
	v_sub_nc_i16 v51, v76, v53 clamp
	v_perm_b32 v41, v41, v49, 0xc0c0105
	v_lshl_or_b32 v32, v45, 16, v34
	v_dot4_i32_iu8 v13, v33, v14, v13 neg_lo:[1,1,0]
	v_dot4_i32_iu8 v14, v33, v18, v17 neg_lo:[1,1,0]
	v_lshrrev_b32_e32 v86, 16, v37
	v_and_b32_e32 v87, 0xffffff00, v37
	v_lshlrev_b16 v37, 8, v37
	v_sub_nc_i16 v70, v83, v70 clamp
	v_sub_nc_i16 v31, v31, v58 clamp
	v_and_b32_e32 v58, 0xffffff00, v84
	v_lshlrev_b16 v78, 8, v84
	v_perm_b32 v36, v36, v68, 0xc0c0105
	v_sub_nc_i16 v52, v55, v71 clamp
	v_sub_nc_i16 v42, v77, v42 clamp
	v_perm_b32 v46, v51, v50, 0xc0c0105
	v_lshl_or_b32 v17, v41, 16, v35
	v_dot4_i32_iu8 v13, v32, v15, v13 neg_lo:[1,1,0]
	v_dot4_i32_iu8 v14, v32, v19, v14 neg_lo:[1,1,0]
	v_sub_nc_i16 v72, v85, v72 clamp
	v_sub_nc_i16 v37, v37, v59 clamp
	v_and_b32_e32 v59, 0xffffff00, v86
	v_lshlrev_b16 v79, 8, v86
	v_perm_b32 v30, v30, v70, 0xc0c0105
	v_sub_nc_i16 v53, v58, v56 clamp
	v_sub_nc_i16 v54, v78, v57 clamp
	v_perm_b32 v42, v42, v52, 0xc0c0105
	v_lshl_or_b32 v15, v46, 16, v36
	s_wait_loadcnt 0x2
	v_dot4_i32_iu8 v13, v17, v20, v13 neg_lo:[1,1,0]
	s_wait_loadcnt 0x0
	v_dot4_i32_iu8 v14, v17, v24, v14 neg_lo:[1,1,0]
	v_sub_nc_i16 v74, v87, v74 clamp
	v_perm_b32 v31, v31, v72, 0xc0c0105
	v_sub_nc_i16 v55, v59, v75 clamp
	v_sub_nc_i16 v43, v79, v43 clamp
	v_perm_b32 v47, v54, v53, 0xc0c0105
	v_lshl_or_b32 v17, v42, 16, v30
	v_dot4_i32_iu8 v13, v15, v21, v13 neg_lo:[1,1,0]
	v_dot4_i32_iu8 v14, v15, v25, v14 neg_lo:[1,1,0]
	v_perm_b32 v37, v37, v74, 0xc0c0105
	v_perm_b32 v43, v43, v55, 0xc0c0105
	v_lshl_or_b32 v15, v47, 16, v31
	v_dot4_i32_iu8 v13, v17, v22, v13 neg_lo:[1,1,0]
	v_dot4_i32_iu8 v14, v17, v26, v14 neg_lo:[1,1,0]
	v_lshrrev_b32_e32 v20, 28, v28
	v_lshl_or_b32 v17, v43, 16, v37
	s_delay_alu instid0(VALU_DEP_4) | instskip(NEXT) | instid1(VALU_DEP_4)
	v_dot4_i32_iu8 v13, v15, v23, v13 neg_lo:[1,1,0]
	v_dot4_i32_iu8 v14, v15, v27, v14 neg_lo:[1,1,0]
	s_delay_alu instid0(VALU_DEP_2) | instskip(NEXT) | instid1(VALU_DEP_2)
	v_dot4_i32_iu8 v15, v17, v38, v13 neg_lo:[1,1,0]
	v_dot4_i32_iu8 v19, v17, v39, v14 neg_lo:[1,1,0]
	s_delay_alu instid0(VALU_DEP_2) | instskip(NEXT) | instid1(VALU_DEP_2)
	v_lshrrev_b32_e32 v13, 31, v15
	v_lshrrev_b32_e32 v14, 31, v19
	s_delay_alu instid0(VALU_DEP_2) | instskip(NEXT) | instid1(VALU_DEP_2)
	v_add_nc_u32_e32 v13, v15, v13
	v_add_nc_u32_e32 v14, v19, v14
	s_delay_alu instid0(VALU_DEP_2) | instskip(NEXT) | instid1(VALU_DEP_2)
	v_ashrrev_i32_e32 v13, 1, v13
	v_ashrrev_i32_e32 v14, 1, v14
	s_delay_alu instid0(VALU_DEP_1) | instskip(SKIP_1) | instid1(VALU_DEP_2)
	v_mad_co_u64_u32 v[17:18], null, v15, v20, v[13:14]
	v_mad_co_u64_u32 v[13:14], null, v19, v20, v[14:15]
	v_lshrrev_b32_e32 v14, 31, v17
	s_delay_alu instid0(VALU_DEP_2) | instskip(NEXT) | instid1(VALU_DEP_2)
	v_lshrrev_b32_e32 v15, 31, v13
	v_add_nc_u32_e32 v14, v17, v14
	s_delay_alu instid0(VALU_DEP_2) | instskip(SKIP_2) | instid1(VALU_DEP_4)
	v_add_nc_u32_e32 v13, v13, v15
	v_cvt_f32_f16_e32 v15, v16
	v_cvt_f32_f16_e32 v16, v29
	v_ashrrev_i32_e32 v14, 1, v14
	s_delay_alu instid0(VALU_DEP_4) | instskip(NEXT) | instid1(VALU_DEP_3)
	v_ashrrev_i32_e32 v13, 1, v13
	v_mul_f32_e32 v12, v16, v12
	v_mul_f32_e32 v15, v16, v15
	s_delay_alu instid0(VALU_DEP_4) | instskip(NEXT) | instid1(VALU_DEP_4)
	v_cvt_f32_i32_e32 v14, v14
	v_cvt_f32_i32_e32 v13, v13
	s_delay_alu instid0(VALU_DEP_1)
	v_dual_fmac_f32 v8, v12, v14 :: v_dual_fmac_f32 v5, v15, v13
	s_wait_alu 0xfffe
	s_and_not1_b32 exec_lo, exec_lo, s3
	s_cbranch_execnz .LBB197_2
; %bb.3:
	s_or_b32 exec_lo, exec_lo, s3
.LBB197_4:
	s_delay_alu instid0(SALU_CYCLE_1)
	s_or_b32 exec_lo, exec_lo, s22
	s_mov_b32 s3, 0
	; wave barrier
	global_inv scope:SCOPE_SE
	s_mov_b32 s2, exec_lo
	v_cmpx_eq_u32_e32 0, v6
	s_cbranch_execz .LBB197_9
; %bb.5:
	v_mbcnt_lo_u32_b32 v6, -1, 0
	s_load_b64 s[0:1], s[0:1], 0x38
	s_mul_i32 s2, s10, s19
	s_mul_i32 s4, s18, s20
	s_wait_alu 0xfffe
	s_add_co_i32 s2, s2, ttmp9
	v_xor_b32_e32 v0, 16, v6
	v_xor_b32_e32 v1, 8, v6
	;; [unrolled: 1-line block ×3, first 2 shown]
	s_wait_alu 0xfffe
	s_add_co_i32 s2, s2, s4
	s_wait_alu 0xfffe
	s_lshl_b64 s[2:3], s[2:3], 2
	v_cmp_gt_i32_e32 vcc_lo, 32, v0
	s_wait_alu 0xfffd
	v_cndmask_b32_e32 v0, v6, v0, vcc_lo
	v_cmp_gt_i32_e32 vcc_lo, 32, v1
	s_wait_kmcnt 0x0
	s_wait_alu 0xfffe
	s_add_nc_u64 s[0:1], s[0:1], s[2:3]
	s_wait_alu 0xfffd
	v_cndmask_b32_e32 v1, v6, v1, vcc_lo
	s_delay_alu instid0(VALU_DEP_1)
	v_lshlrev_b32_e32 v1, 2, v1
	v_lshlrev_b32_e32 v0, 2, v0
	ds_bpermute_b32 v2, v0, v8
	s_wait_dscnt 0x0
	v_add_f32_e32 v3, v8, v2
	v_xor_b32_e32 v2, 4, v6
	ds_bpermute_b32 v7, v1, v3
	v_cmp_gt_i32_e32 vcc_lo, 32, v2
	s_wait_dscnt 0x0
	s_wait_alu 0xfffd
	v_dual_cndmask_b32 v2, v6, v2 :: v_dual_add_f32 v7, v3, v7
	s_delay_alu instid0(VALU_DEP_1)
	v_lshlrev_b32_e32 v2, 2, v2
	v_xor_b32_e32 v3, 2, v6
	ds_bpermute_b32 v8, v2, v7
	v_cmp_gt_i32_e32 vcc_lo, 32, v3
	s_wait_alu 0xfffd
	v_cndmask_b32_e32 v3, v6, v3, vcc_lo
	v_cmp_gt_i32_e32 vcc_lo, 32, v9
	s_wait_alu 0xfffd
	v_cndmask_b32_e32 v6, v6, v9, vcc_lo
	v_cmp_eq_u32_e32 vcc_lo, 0, v4
	s_delay_alu instid0(VALU_DEP_2)
	v_lshlrev_b32_e32 v6, 2, v6
	v_lshlrev_b32_e32 v3, 2, v3
	s_wait_dscnt 0x0
	v_add_f32_e32 v7, v7, v8
	ds_bpermute_b32 v8, v3, v7
	s_wait_dscnt 0x0
	v_add_f32_e32 v7, v7, v8
	ds_bpermute_b32 v8, v6, v7
	s_and_saveexec_b32 s2, vcc_lo
	s_cbranch_execz .LBB197_7
; %bb.6:
	s_wait_dscnt 0x0
	v_dual_add_f32 v4, v7, v8 :: v_dual_mov_b32 v7, 0
	global_store_b32 v7, v4, s[0:1]
.LBB197_7:
	s_wait_alu 0xfffe
	s_or_b32 exec_lo, exec_lo, s2
	ds_bpermute_b32 v0, v0, v5
	s_wait_dscnt 0x0
	v_add_f32_e32 v0, v5, v0
	ds_bpermute_b32 v1, v1, v0
	s_wait_dscnt 0x0
	v_add_f32_e32 v0, v0, v1
	;; [unrolled: 3-line block ×4, first 2 shown]
	ds_bpermute_b32 v1, v6, v0
	s_and_b32 exec_lo, exec_lo, vcc_lo
	s_cbranch_execz .LBB197_9
; %bb.8:
	s_mov_b32 s7, 0
	s_wait_dscnt 0x0
	v_dual_add_f32 v0, v0, v1 :: v_dual_mov_b32 v1, 0
	s_lshl_b64 s[2:3], s[6:7], 2
	s_wait_alu 0xfffe
	s_add_nc_u64 s[0:1], s[0:1], s[2:3]
	global_store_b32 v1, v0, s[0:1]
.LBB197_9:
	s_endpgm
	.section	.rodata,"a",@progbits
	.p2align	6, 0x0
	.amdhsa_kernel _ZL13mul_mat_vec_qIL9ggml_type18ELi2ELb0ELb0EEvPKvS2_PKi31ggml_cuda_mm_fusion_args_devicePfj15HIP_vector_typeIjLj3EEjjjS8_jjjS8_jjjj
		.amdhsa_group_segment_fixed_size 0
		.amdhsa_private_segment_fixed_size 0
		.amdhsa_kernarg_size 144
		.amdhsa_user_sgpr_count 2
		.amdhsa_user_sgpr_dispatch_ptr 0
		.amdhsa_user_sgpr_queue_ptr 0
		.amdhsa_user_sgpr_kernarg_segment_ptr 1
		.amdhsa_user_sgpr_dispatch_id 0
		.amdhsa_user_sgpr_private_segment_size 0
		.amdhsa_wavefront_size32 1
		.amdhsa_uses_dynamic_stack 0
		.amdhsa_enable_private_segment 0
		.amdhsa_system_sgpr_workgroup_id_x 1
		.amdhsa_system_sgpr_workgroup_id_y 1
		.amdhsa_system_sgpr_workgroup_id_z 1
		.amdhsa_system_sgpr_workgroup_info 0
		.amdhsa_system_vgpr_workitem_id 1
		.amdhsa_next_free_vgpr 88
		.amdhsa_next_free_sgpr 28
		.amdhsa_reserve_vcc 1
		.amdhsa_float_round_mode_32 0
		.amdhsa_float_round_mode_16_64 0
		.amdhsa_float_denorm_mode_32 3
		.amdhsa_float_denorm_mode_16_64 3
		.amdhsa_fp16_overflow 0
		.amdhsa_workgroup_processor_mode 1
		.amdhsa_memory_ordered 1
		.amdhsa_forward_progress 1
		.amdhsa_inst_pref_size 30
		.amdhsa_round_robin_scheduling 0
		.amdhsa_exception_fp_ieee_invalid_op 0
		.amdhsa_exception_fp_denorm_src 0
		.amdhsa_exception_fp_ieee_div_zero 0
		.amdhsa_exception_fp_ieee_overflow 0
		.amdhsa_exception_fp_ieee_underflow 0
		.amdhsa_exception_fp_ieee_inexact 0
		.amdhsa_exception_int_div_zero 0
	.end_amdhsa_kernel
	.section	.text._ZL13mul_mat_vec_qIL9ggml_type18ELi2ELb0ELb0EEvPKvS2_PKi31ggml_cuda_mm_fusion_args_devicePfj15HIP_vector_typeIjLj3EEjjjS8_jjjS8_jjjj,"axG",@progbits,_ZL13mul_mat_vec_qIL9ggml_type18ELi2ELb0ELb0EEvPKvS2_PKi31ggml_cuda_mm_fusion_args_devicePfj15HIP_vector_typeIjLj3EEjjjS8_jjjS8_jjjj,comdat
.Lfunc_end197:
	.size	_ZL13mul_mat_vec_qIL9ggml_type18ELi2ELb0ELb0EEvPKvS2_PKi31ggml_cuda_mm_fusion_args_devicePfj15HIP_vector_typeIjLj3EEjjjS8_jjjS8_jjjj, .Lfunc_end197-_ZL13mul_mat_vec_qIL9ggml_type18ELi2ELb0ELb0EEvPKvS2_PKi31ggml_cuda_mm_fusion_args_devicePfj15HIP_vector_typeIjLj3EEjjjS8_jjjS8_jjjj
                                        ; -- End function
	.set _ZL13mul_mat_vec_qIL9ggml_type18ELi2ELb0ELb0EEvPKvS2_PKi31ggml_cuda_mm_fusion_args_devicePfj15HIP_vector_typeIjLj3EEjjjS8_jjjS8_jjjj.num_vgpr, 88
	.set _ZL13mul_mat_vec_qIL9ggml_type18ELi2ELb0ELb0EEvPKvS2_PKi31ggml_cuda_mm_fusion_args_devicePfj15HIP_vector_typeIjLj3EEjjjS8_jjjS8_jjjj.num_agpr, 0
	.set _ZL13mul_mat_vec_qIL9ggml_type18ELi2ELb0ELb0EEvPKvS2_PKi31ggml_cuda_mm_fusion_args_devicePfj15HIP_vector_typeIjLj3EEjjjS8_jjjS8_jjjj.numbered_sgpr, 28
	.set _ZL13mul_mat_vec_qIL9ggml_type18ELi2ELb0ELb0EEvPKvS2_PKi31ggml_cuda_mm_fusion_args_devicePfj15HIP_vector_typeIjLj3EEjjjS8_jjjS8_jjjj.num_named_barrier, 0
	.set _ZL13mul_mat_vec_qIL9ggml_type18ELi2ELb0ELb0EEvPKvS2_PKi31ggml_cuda_mm_fusion_args_devicePfj15HIP_vector_typeIjLj3EEjjjS8_jjjS8_jjjj.private_seg_size, 0
	.set _ZL13mul_mat_vec_qIL9ggml_type18ELi2ELb0ELb0EEvPKvS2_PKi31ggml_cuda_mm_fusion_args_devicePfj15HIP_vector_typeIjLj3EEjjjS8_jjjS8_jjjj.uses_vcc, 1
	.set _ZL13mul_mat_vec_qIL9ggml_type18ELi2ELb0ELb0EEvPKvS2_PKi31ggml_cuda_mm_fusion_args_devicePfj15HIP_vector_typeIjLj3EEjjjS8_jjjS8_jjjj.uses_flat_scratch, 0
	.set _ZL13mul_mat_vec_qIL9ggml_type18ELi2ELb0ELb0EEvPKvS2_PKi31ggml_cuda_mm_fusion_args_devicePfj15HIP_vector_typeIjLj3EEjjjS8_jjjS8_jjjj.has_dyn_sized_stack, 0
	.set _ZL13mul_mat_vec_qIL9ggml_type18ELi2ELb0ELb0EEvPKvS2_PKi31ggml_cuda_mm_fusion_args_devicePfj15HIP_vector_typeIjLj3EEjjjS8_jjjS8_jjjj.has_recursion, 0
	.set _ZL13mul_mat_vec_qIL9ggml_type18ELi2ELb0ELb0EEvPKvS2_PKi31ggml_cuda_mm_fusion_args_devicePfj15HIP_vector_typeIjLj3EEjjjS8_jjjS8_jjjj.has_indirect_call, 0
	.section	.AMDGPU.csdata,"",@progbits
; Kernel info:
; codeLenInByte = 3824
; TotalNumSgprs: 30
; NumVgprs: 88
; ScratchSize: 0
; MemoryBound: 0
; FloatMode: 240
; IeeeMode: 1
; LDSByteSize: 0 bytes/workgroup (compile time only)
; SGPRBlocks: 0
; VGPRBlocks: 10
; NumSGPRsForWavesPerEU: 30
; NumVGPRsForWavesPerEU: 88
; Occupancy: 16
; WaveLimiterHint : 0
; COMPUTE_PGM_RSRC2:SCRATCH_EN: 0
; COMPUTE_PGM_RSRC2:USER_SGPR: 2
; COMPUTE_PGM_RSRC2:TRAP_HANDLER: 0
; COMPUTE_PGM_RSRC2:TGID_X_EN: 1
; COMPUTE_PGM_RSRC2:TGID_Y_EN: 1
; COMPUTE_PGM_RSRC2:TGID_Z_EN: 1
; COMPUTE_PGM_RSRC2:TIDIG_COMP_CNT: 1
	.section	.text._ZL13mul_mat_vec_qIL9ggml_type18ELi3ELb0ELb0EEvPKvS2_PKi31ggml_cuda_mm_fusion_args_devicePfj15HIP_vector_typeIjLj3EEjjjS8_jjjS8_jjjj,"axG",@progbits,_ZL13mul_mat_vec_qIL9ggml_type18ELi3ELb0ELb0EEvPKvS2_PKi31ggml_cuda_mm_fusion_args_devicePfj15HIP_vector_typeIjLj3EEjjjS8_jjjS8_jjjj,comdat
	.globl	_ZL13mul_mat_vec_qIL9ggml_type18ELi3ELb0ELb0EEvPKvS2_PKi31ggml_cuda_mm_fusion_args_devicePfj15HIP_vector_typeIjLj3EEjjjS8_jjjS8_jjjj ; -- Begin function _ZL13mul_mat_vec_qIL9ggml_type18ELi3ELb0ELb0EEvPKvS2_PKi31ggml_cuda_mm_fusion_args_devicePfj15HIP_vector_typeIjLj3EEjjjS8_jjjS8_jjjj
	.p2align	8
	.type	_ZL13mul_mat_vec_qIL9ggml_type18ELi3ELb0ELb0EEvPKvS2_PKi31ggml_cuda_mm_fusion_args_devicePfj15HIP_vector_typeIjLj3EEjjjS8_jjjS8_jjjj,@function
_ZL13mul_mat_vec_qIL9ggml_type18ELi3ELb0ELb0EEvPKvS2_PKi31ggml_cuda_mm_fusion_args_devicePfj15HIP_vector_typeIjLj3EEjjjS8_jjjS8_jjjj: ; @_ZL13mul_mat_vec_qIL9ggml_type18ELi3ELb0ELb0EEvPKvS2_PKi31ggml_cuda_mm_fusion_args_devicePfj15HIP_vector_typeIjLj3EEjjjS8_jjjS8_jjjj
; %bb.0:
	s_clause 0x5
	s_load_b96 s[16:18], s[0:1], 0x80
	s_load_b32 s12, s[0:1], 0x40
	s_load_b128 s[4:7], s[0:1], 0x50
	s_load_b32 s3, s[0:1], 0x60
	s_load_b128 s[8:11], s[0:1], 0x68
	s_load_b32 s2, s[0:1], 0x78
	v_bfe_u32 v6, v0, 10, 10
	v_dual_mov_b32 v5, 0 :: v_dual_and_b32 v4, 0x3ff, v0
	v_mov_b32_e32 v7, 0
	v_mov_b32_e32 v9, 0
	s_and_b32 s19, ttmp7, 0xffff
	s_delay_alu instid0(VALU_DEP_3) | instskip(SKIP_2) | instid1(VALU_DEP_1)
	v_lshl_or_b32 v0, v6, 5, v4
	s_lshr_b32 s22, ttmp7, 16
	s_mov_b32 s23, exec_lo
	v_lshrrev_b32_e32 v8, 3, v0
	s_wait_kmcnt 0x0
	s_lshr_b32 s24, s12, 8
	s_delay_alu instid0(VALU_DEP_1) | instid1(SALU_CYCLE_1)
	v_cmpx_gt_u32_e64 s24, v8
	s_cbranch_execz .LBB198_4
; %bb.1:
	v_lshl_add_u32 v0, v6, 5, v4
	s_mov_b32 s21, 0
	s_mul_i32 s26, s9, s19
	s_mov_b32 s27, s21
	s_load_b128 s[12:15], s[0:1], 0x0
	v_lshrrev_b32_e32 v0, 3, v0
	s_mul_u64 s[26:27], s[26:27], 36
	s_mul_i32 s20, s17, s22
	v_dual_mov_b32 v5, 0 :: v_dual_lshlrev_b32 v2, 1, v4
	s_delay_alu instid0(VALU_DEP_2) | instskip(SKIP_2) | instid1(VALU_DEP_3)
	v_mad_co_u64_u32 v[0:1], null, 0x120, v0, s[26:27]
	v_and_b32_e32 v7, 7, v4
	s_mul_hi_u32 s7, s7, s19
	v_and_b32_e32 v9, 14, v2
	s_add_co_i32 s7, s19, s7
	s_mul_hi_u32 s9, s11, s22
	s_lshr_b32 s7, s7, s3
	s_delay_alu instid0(VALU_DEP_3)
	v_mad_co_u64_u32 v[0:1], null, s20, 36, v[0:1]
	s_add_co_i32 s3, s22, s9
	v_lshlrev_b32_e32 v11, 3, v8
	s_lshr_b32 s9, s3, s2
	s_mul_u64 s[2:3], s[20:21], 36
	v_lshlrev_b32_e32 v12, 1, v9
	s_wait_kmcnt 0x0
	s_add_nc_u64 s[2:3], s[14:15], s[2:3]
	v_mad_co_u64_u32 v[2:3], null, v7, 36, v[0:1]
	s_add_nc_u64 s[2:3], s[2:3], s[26:27]
	s_mul_i32 s4, s4, ttmp9
	v_mad_co_u64_u32 v[0:1], null, v7, 36, s[2:3]
	s_mul_i32 s7, s7, s8
	v_add_nc_u32_e32 v10, s5, v11
	v_add_co_u32 v2, vcc_lo, s14, v2
	s_delay_alu instid0(VALU_DEP_1) | instskip(SKIP_1) | instid1(VALU_DEP_3)
	v_add_co_ci_u32_e64 v3, null, s15, v3, vcc_lo
	v_lshl_add_u32 v11, s5, 1, v11
	v_add_co_u32 v2, vcc_lo, v2, 16
	s_wait_alu 0xfffd
	s_delay_alu instid0(VALU_DEP_3)
	v_add_co_ci_u32_e64 v3, null, 0, v3, vcc_lo
	v_lshlrev_b32_e32 v13, 1, v9
	v_dual_mov_b32 v7, 0 :: v_dual_lshlrev_b32 v12, 1, v12
	v_mov_b32_e32 v9, 0
	s_mul_i32 s8, s9, s16
	s_add_co_i32 s7, s7, s4
	s_delay_alu instid0(SALU_CYCLE_1)
	s_add_co_i32 s7, s8, s7
.LBB198_2:                              ; =>This Inner Loop Header: Depth=1
	s_delay_alu instid0(SALU_CYCLE_1) | instskip(SKIP_2) | instid1(VALU_DEP_3)
	v_add_nc_u32_e32 v22, s7, v8
	v_mad_co_u64_u32 v[30:31], null, v10, 36, v[0:1]
	v_mad_co_u64_u32 v[34:35], null, v11, 36, v[0:1]
	v_mad_co_i64_i32 v[38:39], null, 0x62, v22, s[12:13]
	s_clause 0x2
	global_load_b32 v44, v[2:3], off offset:16
	global_load_b128 v[14:17], v[2:3], off offset:-16
	global_load_b128 v[18:21], v[2:3], off
	s_clause 0x5
	global_load_b128 v[22:25], v[30:31], off
	global_load_b128 v[26:29], v[30:31], off offset:16
	global_load_b32 v45, v[30:31], off offset:32
	global_load_b128 v[30:33], v[34:35], off
	global_load_b32 v46, v[34:35], off offset:32
	global_load_b128 v[34:37], v[34:35], off offset:16
	s_getpc_b64 s[4:5]
	s_wait_alu 0xfffe
	s_sext_i32_i16 s5, s5
	s_add_co_u32 s4, s4, _ZL11iq3xxs_grid@rel32@lo+12
	s_wait_alu 0xfffe
	s_add_co_ci_u32 s5, s5, _ZL11iq3xxs_grid@rel32@hi+24
	v_add_co_u32 v2, vcc_lo, 0x480, v2
	v_add_co_u32 v40, s2, v38, v12
	s_wait_alu 0xf1ff
	v_add_co_ci_u32_e64 v41, null, 0, v39, s2
	v_add_co_u32 v42, s2, v38, v13
	s_wait_alu 0xf1ff
	v_add_co_ci_u32_e64 v43, null, 0, v39, s2
	s_clause 0x2
	global_load_b64 v[40:41], v[40:41], off offset:2
	global_load_b32 v42, v[42:43], off offset:66
	global_load_u16 v38, v[38:39], off
	s_wait_alu 0xfffd
	v_add_co_ci_u32_e64 v3, null, 0, v3, vcc_lo
	s_wait_loadcnt 0xa
	v_cvt_f32_f16_e32 v14, v14
	s_wait_loadcnt 0x2
	v_and_b32_e32 v39, 0xff, v40
	v_lshrrev_b32_e32 v43, 6, v40
	v_lshrrev_b32_e32 v48, 14, v40
	;; [unrolled: 1-line block ×3, first 2 shown]
	v_and_b32_e32 v50, 0xff, v41
	v_lshrrev_b32_e32 v51, 6, v41
	v_lshrrev_b32_e32 v53, 14, v41
	;; [unrolled: 1-line block ×3, first 2 shown]
	v_lshlrev_b32_e32 v39, 2, v39
	v_and_b32_e32 v43, 0x3fc, v43
	v_and_b32_e32 v48, 0x3fc, v48
	;; [unrolled: 1-line block ×3, first 2 shown]
	v_lshlrev_b32_e32 v50, 2, v50
	v_and_b32_e32 v51, 0x3fc, v51
	v_and_b32_e32 v53, 0x3fc, v53
	;; [unrolled: 1-line block ×3, first 2 shown]
	s_clause 0x7
	global_load_b32 v39, v39, s[4:5]
	global_load_b32 v43, v43, s[4:5]
	;; [unrolled: 1-line block ×8, first 2 shown]
	s_wait_loadcnt 0x9
	v_and_b32_e32 v47, 0xff, v42
	v_bfe_u32 v49, v42, 7, 8
	v_bfe_u32 v54, v42, 21, 8
	;; [unrolled: 1-line block ×3, first 2 shown]
	v_lshrrev_b32_e32 v42, 28, v42
	v_bcnt_u32_b32 v55, v47, 0
	v_bcnt_u32_b32 v56, v49, 0
	;; [unrolled: 1-line block ×4, first 2 shown]
	s_delay_alu instid0(VALU_DEP_4) | instskip(NEXT) | instid1(VALU_DEP_4)
	v_and_b32_e32 v55, 1, v55
	v_and_b32_e32 v56, 1, v56
	s_delay_alu instid0(VALU_DEP_4) | instskip(NEXT) | instid1(VALU_DEP_4)
	v_and_b32_e32 v58, 1, v58
	v_and_b32_e32 v57, 1, v57
	s_delay_alu instid0(VALU_DEP_4) | instskip(NEXT) | instid1(VALU_DEP_4)
	v_lshlrev_b32_e32 v55, 7, v55
	v_lshlrev_b32_e32 v56, 7, v56
	s_delay_alu instid0(VALU_DEP_4) | instskip(NEXT) | instid1(VALU_DEP_4)
	v_lshlrev_b32_e32 v58, 7, v58
	v_lshlrev_b32_e32 v57, 7, v57
	s_delay_alu instid0(VALU_DEP_4) | instskip(NEXT) | instid1(VALU_DEP_4)
	v_xor_b32_e32 v47, v55, v47
	v_xor_b32_e32 v49, v56, v49
	s_delay_alu instid0(VALU_DEP_4) | instskip(NEXT) | instid1(VALU_DEP_4)
	v_xor_b32_e32 v54, v58, v54
	v_xor_b32_e32 v52, v57, v52
	s_delay_alu instid0(VALU_DEP_4) | instskip(NEXT) | instid1(VALU_DEP_4)
	v_mul_lo_u32 v47, 0x1010101, v47
	v_mul_lo_u32 v49, 0x1010101, v49
	s_delay_alu instid0(VALU_DEP_4) | instskip(NEXT) | instid1(VALU_DEP_4)
	v_mul_lo_u32 v54, 0x1010101, v54
	v_mul_lo_u32 v52, 0x1010101, v52
	s_delay_alu instid0(VALU_DEP_4)
	v_and_b32_e32 v55, 0x8040201, v47
	v_and_b32_e32 v58, 0x80402010, v47
	;; [unrolled: 1-line block ×5, first 2 shown]
	v_lshrrev_b16 v71, 8, v55
	v_lshrrev_b32_e32 v55, 24, v55
	v_lshrrev_b16 v73, 8, v58
	v_lshrrev_b32_e32 v74, 24, v58
	v_lshrrev_b16 v75, 8, v59
	v_cmp_ne_u16_e64 s2, 0, v71
	v_lshrrev_b32_e32 v59, 24, v59
	v_lshrrev_b16 v77, 8, v62
	v_lshrrev_b32_e32 v78, 24, v62
	v_lshrrev_b32_e32 v56, 18, v47
	s_wait_alu 0xf1ff
	v_cndmask_b32_e64 v71, 0, -1, s2
	v_cmp_ne_u16_e64 s2, 0, v55
	v_lshrrev_b16 v79, 8, v63
	v_bfe_i32 v57, v47, 0, 1
	v_and_b32_e32 v66, 0x80402010, v52
	v_bfe_i32 v56, v56, 0, 1
	s_wait_alu 0xf1ff
	v_cndmask_b32_e64 v55, 0, -1, s2
	v_cmp_ne_u16_e64 s2, 0, v73
	v_lshrrev_b32_e32 v63, 24, v63
	v_lshrrev_b32_e32 v60, 18, v49
	v_and_b32_e32 v72, 0xff, v57
	v_lshrrev_b16 v81, 8, v66
	s_wait_alu 0xf1ff
	v_cndmask_b32_e64 v73, 0, -1, s2
	v_cmp_ne_u16_e64 s2, 0, v74
	v_and_b32_e32 v87, 0xff, v56
	v_lshlrev_b16 v71, 8, v71
	v_lshlrev_b16 v55, 8, v55
	v_lshrrev_b32_e32 v47, 22, v47
	s_wait_alu 0xf1ff
	v_cndmask_b32_e64 v74, 0, -1, s2
	v_cmp_ne_u16_e64 s2, 0, v75
	v_bfe_i32 v61, v49, 0, 1
	v_and_b32_e32 v67, 0x8040201, v54
	v_lshrrev_b16 v58, 4, v58
	v_bfe_i32 v60, v60, 0, 1
	s_wait_alu 0xf1ff
	v_cndmask_b32_e64 v75, 0, -1, s2
	v_cmp_ne_u16_e64 s2, 0, v59
	v_lshrrev_b32_e32 v82, 24, v66
	v_or_b32_e32 v72, v72, v71
	v_or_b32_e32 v87, v87, v55
	v_lshrrev_b32_e32 v64, 18, v52
	s_wait_alu 0xf1ff
	v_cndmask_b32_e64 v59, 0, -1, s2
	v_cmp_ne_u16_e64 s2, 0, v77
	v_bfe_i32 v47, v47, 0, 1
	v_and_b32_e32 v76, 0xff, v61
	v_lshrrev_b16 v83, 8, v67
	v_bfe_i32 v58, v58, 0, 1
	s_wait_alu 0xf1ff
	v_cndmask_b32_e64 v77, 0, -1, s2
	v_cmp_ne_u16_e64 s2, 0, v78
	v_and_b32_e32 v89, 0xff, v60
	v_and_b32_e32 v72, 0xffff, v72
	v_lshlrev_b32_e32 v87, 16, v87
	v_lshlrev_b16 v75, 8, v75
	s_wait_alu 0xf1ff
	v_cndmask_b32_e64 v78, 0, -1, s2
	v_cmp_ne_u16_e64 s2, 0, v79
	v_lshlrev_b16 v59, 8, v59
	v_lshrrev_b32_e32 v49, 22, v49
	v_bfe_i32 v65, v52, 0, 1
	v_and_b32_e32 v70, 0x80402010, v54
	s_wait_alu 0xf1ff
	v_cndmask_b32_e64 v79, 0, -1, s2
	v_cmp_ne_u16_e64 s2, 0, v63
	v_lshrrev_b16 v62, 4, v62
	v_bfe_i32 v64, v64, 0, 1
	v_lshrrev_b32_e32 v67, 24, v67
	v_and_b32_e32 v88, 0xff, v47
	s_wait_alu 0xf1ff
	v_cndmask_b32_e64 v63, 0, -1, s2
	v_cmp_ne_u16_e64 s2, 0, v81
	v_or_b32_e32 v72, v72, v87
	v_and_b32_e32 v87, 0xff, v58
	v_lshlrev_b16 v73, 8, v73
	v_lshlrev_b16 v74, 8, v74
	s_wait_alu 0xf1ff
	v_cndmask_b32_e64 v81, 0, -1, s2
	v_cmp_ne_u16_e64 s2, 0, v82
	v_or_b32_e32 v76, v76, v75
	v_or_b32_e32 v89, v89, v59
	v_bfe_i32 v49, v49, 0, 1
	v_and_b32_e32 v80, 0xff, v65
	s_wait_alu 0xf1ff
	v_cndmask_b32_e64 v82, 0, -1, s2
	v_cmp_ne_u16_e64 s2, 0, v83
	v_lshrrev_b16 v85, 8, v70
	v_lshrrev_b32_e32 v86, 24, v70
	v_bfe_i32 v62, v62, 0, 1
	v_and_b32_e32 v91, 0xff, v64
	s_wait_alu 0xf1ff
	v_cndmask_b32_e64 v83, 0, -1, s2
	v_cmp_ne_u16_e64 s2, 0, v67
	v_or_b32_e32 v87, v87, v73
	v_or_b32_e32 v88, v88, v74
	v_and_b32_e32 v76, 0xffff, v76
	v_lshlrev_b32_e32 v89, 16, v89
	v_lshlrev_b16 v79, 8, v79
	v_lshlrev_b16 v63, 8, v63
	v_lshrrev_b32_e32 v68, 18, v54
	v_bfe_i32 v69, v54, 0, 1
	v_lshrrev_b32_e32 v54, 22, v54
	v_lshrrev_b16 v70, 4, v70
	v_and_b32_e32 v90, 0xff, v49
	s_wait_alu 0xf1ff
	v_cndmask_b32_e64 v67, 0, -1, s2
	v_cmp_ne_u16_e64 s2, 0, v86
	v_cmp_ne_u16_e64 s3, 0, v85
	v_and_b32_e32 v87, 0xffff, v87
	v_lshlrev_b32_e32 v88, 16, v88
	v_or_b32_e32 v76, v76, v89
	v_and_b32_e32 v89, 0xff, v62
	v_lshlrev_b16 v77, 8, v77
	v_lshlrev_b16 v78, 8, v78
	v_or_b32_e32 v80, v80, v79
	v_or_b32_e32 v91, v91, v63
	v_lshrrev_b32_e32 v52, 22, v52
	v_lshrrev_b16 v66, 4, v66
	v_bfe_i32 v54, v54, 0, 1
	v_bfe_i32 v70, v70, 0, 1
	s_wait_alu 0xf1ff
	v_cndmask_b32_e64 v85, 0, -1, s3
	v_or_b32_e32 v87, v87, v88
	v_cndmask_b32_e64 v88, 0, -1, s2
	v_or_b32_e32 v89, v89, v77
	v_or_b32_e32 v90, v90, v78
	v_and_b32_e32 v80, 0xffff, v80
	v_lshlrev_b32_e32 v91, 16, v91
	v_bfe_i32 v52, v52, 0, 1
	v_bfe_i32 v66, v66, 0, 1
	v_and_b32_e32 v86, 0xff, v54
	v_and_b32_e32 v89, 0xffff, v89
	v_lshlrev_b32_e32 v90, 16, v90
	v_or_b32_e32 v80, v80, v91
	v_and_b32_e32 v91, 0xff, v70
	v_lshlrev_b16 v85, 8, v85
	v_lshlrev_b16 v88, 8, v88
	v_bfe_i32 v68, v68, 0, 1
	v_and_b32_e32 v92, 0xff, v52
	v_or_b32_e32 v89, v89, v90
	v_and_b32_e32 v90, 0xff, v66
	v_lshlrev_b16 v81, 8, v81
	v_lshlrev_b16 v82, 8, v82
	v_or_b32_e32 v91, v91, v85
	v_or_b32_e32 v86, v86, v88
	v_and_b32_e32 v84, 0xff, v69
	v_and_b32_e32 v93, 0xff, v68
	v_lshlrev_b16 v83, 8, v83
	v_lshlrev_b16 v67, 8, v67
	v_or_b32_e32 v90, v90, v81
	v_or_b32_e32 v92, v92, v82
	v_and_b32_e32 v91, 0xffff, v91
	v_lshlrev_b32_e32 v86, 16, v86
	v_or_b32_e32 v84, v84, v83
	v_or_b32_e32 v93, v93, v67
	v_and_b32_e32 v90, 0xffff, v90
	v_lshlrev_b32_e32 v92, 16, v92
	v_or_b32_e32 v86, v91, v86
	v_lshlrev_b16 v61, 8, v61
	v_and_b32_e32 v84, 0xffff, v84
	v_lshlrev_b32_e32 v93, 16, v93
	v_or_b32_e32 v90, v90, v92
	v_lshlrev_b16 v57, 8, v57
	v_lshlrev_b16 v56, 8, v56
	;; [unrolled: 1-line block ×3, first 2 shown]
	v_or_b32_e32 v84, v84, v93
	v_lshlrev_b16 v58, 8, v58
	v_lshlrev_b16 v62, 8, v62
	;; [unrolled: 1-line block ×12, first 2 shown]
	s_wait_loadcnt 0x7
	v_xor_b32_e32 v39, v39, v72
	s_wait_loadcnt 0x6
	v_xor_b32_e32 v43, v43, v87
	;; [unrolled: 2-line block ×5, first 2 shown]
	v_lshrrev_b32_e32 v72, 16, v39
	s_wait_loadcnt 0x2
	v_xor_b32_e32 v51, v51, v90
	s_wait_loadcnt 0x0
	v_xor_b32_e32 v41, v41, v86
	v_lshrrev_b32_e32 v86, 16, v48
	v_and_b32_e32 v87, 0xffffff00, v48
	v_lshlrev_b16 v48, 8, v48
	v_and_b32_e32 v76, 0xffffff00, v39
	v_lshlrev_b16 v39, 8, v39
	v_lshrrev_b32_e32 v80, 16, v43
	v_and_b32_e32 v90, 0xffffff00, v40
	v_sub_nc_i16 v48, v48, v61 clamp
	v_and_b32_e32 v61, 0xffffff00, v72
	v_lshlrev_b16 v72, 8, v72
	v_xor_b32_e32 v53, v53, v84
	v_and_b32_e32 v84, 0xffffff00, v43
	v_lshlrev_b16 v43, 8, v43
	v_lshrrev_b32_e32 v89, 16, v40
	v_lshlrev_b16 v40, 8, v40
	v_sub_nc_i16 v71, v76, v71 clamp
	v_sub_nc_i16 v39, v39, v57 clamp
	;; [unrolled: 1-line block ×3, first 2 shown]
	v_and_b32_e32 v90, 0xffffff00, v80
	v_lshlrev_b16 v80, 8, v80
	v_sub_nc_i16 v55, v61, v55 clamp
	v_sub_nc_i16 v56, v72, v56 clamp
	v_and_b32_e32 v92, 0xffffff00, v50
	v_sub_nc_i16 v73, v84, v73 clamp
	v_sub_nc_i16 v43, v43, v58 clamp
	;; [unrolled: 1-line block ×3, first 2 shown]
	v_and_b32_e32 v62, 0xffffff00, v86
	v_lshlrev_b16 v86, 8, v86
	v_perm_b32 v39, v39, v71, 0xc0c0105
	v_sub_nc_i16 v61, v90, v74 clamp
	v_sub_nc_i16 v47, v80, v47 clamp
	v_perm_b32 v55, v56, v55, 0xc0c0105
	v_lshrrev_b32_e32 v91, 16, v50
	v_lshlrev_b16 v50, 8, v50
	v_sub_nc_i16 v75, v87, v75 clamp
	v_sub_nc_i16 v79, v92, v79 clamp
	v_and_b32_e32 v92, 0xffffff00, v89
	v_lshlrev_b16 v89, 8, v89
	v_perm_b32 v43, v43, v73, 0xc0c0105
	v_sub_nc_i16 v59, v62, v59 clamp
	v_sub_nc_i16 v60, v86, v60 clamp
	v_perm_b32 v47, v47, v61, 0xc0c0105
	v_lshl_or_b32 v39, v55, 16, v39
	v_lshrrev_b32_e32 v93, 16, v51
	v_and_b32_e32 v76, 0xffffff00, v51
	v_lshlrev_b16 v51, 8, v51
	v_lshrrev_b32_e32 v58, 16, v41
	v_and_b32_e32 v87, 0xffffff00, v41
	v_lshlrev_b16 v41, 8, v41
	v_sub_nc_i16 v50, v50, v65 clamp
	v_and_b32_e32 v65, 0xffffff00, v91
	v_lshlrev_b16 v91, 8, v91
	v_perm_b32 v48, v48, v75, 0xc0c0105
	v_sub_nc_i16 v62, v92, v78 clamp
	v_sub_nc_i16 v49, v89, v49 clamp
	v_perm_b32 v56, v60, v59, 0xc0c0105
	v_lshl_or_b32 v43, v47, 16, v43
	v_dot4_i32_iu8 v15, v39, v15, 0 neg_lo:[1,1,0]
	v_dot4_i32_iu8 v23, v39, v23, 0 neg_lo:[1,1,0]
	v_lshrrev_b32_e32 v57, 16, v53
	v_and_b32_e32 v84, 0xffffff00, v53
	v_lshlrev_b16 v53, 8, v53
	v_sub_nc_i16 v76, v76, v81 clamp
	v_sub_nc_i16 v51, v51, v66 clamp
	v_and_b32_e32 v66, 0xffffff00, v93
	v_lshlrev_b16 v81, 8, v93
	v_sub_nc_i16 v41, v41, v70 clamp
	v_and_b32_e32 v70, 0xffffff00, v58
	v_lshlrev_b16 v58, 8, v58
	v_perm_b32 v40, v40, v77, 0xc0c0105
	v_sub_nc_i16 v63, v65, v63 clamp
	v_sub_nc_i16 v64, v91, v64 clamp
	v_perm_b32 v49, v49, v62, 0xc0c0105
	v_lshl_or_b32 v47, v56, 16, v48
	v_dot4_i32_iu8 v15, v43, v16, v15 neg_lo:[1,1,0]
	v_dot4_i32_iu8 v16, v43, v24, v23 neg_lo:[1,1,0]
	;; [unrolled: 1-line block ×3, first 2 shown]
	v_sub_nc_i16 v53, v53, v69 clamp
	v_and_b32_e32 v69, 0xffffff00, v57
	v_lshlrev_b16 v57, 8, v57
	v_perm_b32 v50, v50, v79, 0xc0c0105
	v_sub_nc_i16 v65, v66, v82 clamp
	v_sub_nc_i16 v52, v81, v52 clamp
	;; [unrolled: 1-line block ×3, first 2 shown]
	v_perm_b32 v58, v64, v63, 0xc0c0105
	v_lshl_or_b32 v40, v49, 16, v40
	v_dot4_i32_iu8 v15, v47, v17, v15 neg_lo:[1,1,0]
	v_dot4_i32_iu8 v16, v47, v25, v16 neg_lo:[1,1,0]
	;; [unrolled: 1-line block ×3, first 2 shown]
	v_sub_nc_i16 v83, v84, v83 clamp
	v_perm_b32 v51, v51, v76, 0xc0c0105
	v_sub_nc_i16 v66, v69, v67 clamp
	v_sub_nc_i16 v57, v57, v68 clamp
	v_perm_b32 v52, v52, v65, 0xc0c0105
	v_lshl_or_b32 v48, v58, 16, v50
	v_dot4_i32_iu8 v15, v40, v18, v15 neg_lo:[1,1,0]
	v_dot4_i32_iu8 v16, v40, v26, v16 neg_lo:[1,1,0]
	;; [unrolled: 1-line block ×3, first 2 shown]
	v_sub_nc_i16 v84, v87, v85 clamp
	v_perm_b32 v53, v53, v83, 0xc0c0105
	v_sub_nc_i16 v67, v70, v88 clamp
	v_perm_b32 v57, v57, v66, 0xc0c0105
	v_lshl_or_b32 v49, v52, 16, v51
	v_dot4_i32_iu8 v15, v48, v19, v15 neg_lo:[1,1,0]
	v_dot4_i32_iu8 v16, v48, v27, v16 neg_lo:[1,1,0]
	;; [unrolled: 1-line block ×3, first 2 shown]
	v_perm_b32 v41, v41, v84, 0xc0c0105
	v_perm_b32 v54, v54, v67, 0xc0c0105
	v_lshl_or_b32 v50, v57, 16, v53
	v_dot4_i32_iu8 v15, v49, v20, v15 neg_lo:[1,1,0]
	v_dot4_i32_iu8 v16, v49, v28, v16 neg_lo:[1,1,0]
	v_dot4_i32_iu8 v17, v48, v35, v17 neg_lo:[1,1,0]
	v_lshl_or_b32 v41, v54, 16, v41
	s_delay_alu instid0(VALU_DEP_4) | instskip(NEXT) | instid1(VALU_DEP_4)
	v_dot4_i32_iu8 v15, v50, v21, v15 neg_lo:[1,1,0]
	v_dot4_i32_iu8 v16, v50, v29, v16 neg_lo:[1,1,0]
	s_delay_alu instid0(VALU_DEP_4) | instskip(NEXT) | instid1(VALU_DEP_3)
	v_dot4_i32_iu8 v17, v49, v36, v17 neg_lo:[1,1,0]
	v_dot4_i32_iu8 v18, v41, v44, v15 neg_lo:[1,1,0]
	s_delay_alu instid0(VALU_DEP_3) | instskip(NEXT) | instid1(VALU_DEP_3)
	v_dot4_i32_iu8 v20, v41, v45, v16 neg_lo:[1,1,0]
	v_dot4_i32_iu8 v17, v50, v37, v17 neg_lo:[1,1,0]
	s_delay_alu instid0(VALU_DEP_3) | instskip(NEXT) | instid1(VALU_DEP_3)
	v_lshrrev_b32_e32 v15, 31, v18
	v_lshrrev_b32_e32 v16, 31, v20
	s_delay_alu instid0(VALU_DEP_3) | instskip(NEXT) | instid1(VALU_DEP_3)
	v_dot4_i32_iu8 v21, v41, v46, v17 neg_lo:[1,1,0]
	v_add_nc_u32_e32 v15, v18, v15
	s_delay_alu instid0(VALU_DEP_3) | instskip(NEXT) | instid1(VALU_DEP_3)
	v_add_nc_u32_e32 v16, v20, v16
	v_lshrrev_b32_e32 v17, 31, v21
	s_delay_alu instid0(VALU_DEP_3) | instskip(NEXT) | instid1(VALU_DEP_3)
	v_ashrrev_i32_e32 v15, 1, v15
	v_ashrrev_i32_e32 v16, 1, v16
	s_delay_alu instid0(VALU_DEP_3) | instskip(NEXT) | instid1(VALU_DEP_2)
	v_add_nc_u32_e32 v17, v21, v17
	v_mad_co_u64_u32 v[18:19], null, v18, v42, v[15:16]
	s_delay_alu instid0(VALU_DEP_2) | instskip(SKIP_1) | instid1(VALU_DEP_2)
	v_ashrrev_i32_e32 v17, 1, v17
	v_cvt_f32_f16_e32 v19, v30
	v_mad_co_u64_u32 v[15:16], null, v20, v42, v[16:17]
	s_delay_alu instid0(VALU_DEP_4)
	v_mad_co_u64_u32 v[16:17], null, v21, v42, v[17:18]
	v_cvt_f32_f16_e32 v17, v22
	v_lshrrev_b32_e32 v21, 31, v18
	v_cvt_f32_f16_e32 v20, v38
	v_add_nc_u32_e32 v8, 4, v8
	v_lshrrev_b32_e32 v22, 31, v15
	v_add_nc_u32_e32 v11, 32, v11
	v_lshrrev_b32_e32 v23, 31, v16
	v_add_nc_u32_e32 v18, v18, v21
	v_mul_f32_e32 v14, v20, v14
	v_add_nc_u32_e32 v15, v15, v22
	v_mul_f32_e32 v17, v20, v17
	v_add_nc_u32_e32 v16, v16, v23
	v_ashrrev_i32_e32 v18, 1, v18
	v_mul_f32_e32 v19, v20, v19
	v_ashrrev_i32_e32 v15, 1, v15
	v_cmp_le_u32_e32 vcc_lo, s24, v8
	v_ashrrev_i32_e32 v16, 1, v16
	v_cvt_f32_i32_e32 v18, v18
	s_delay_alu instid0(VALU_DEP_4) | instskip(SKIP_1) | instid1(VALU_DEP_4)
	v_cvt_f32_i32_e32 v15, v15
	v_add_nc_u32_e32 v10, 32, v10
	v_cvt_f32_i32_e32 v16, v16
	s_delay_alu instid0(VALU_DEP_4) | instskip(SKIP_2) | instid1(VALU_DEP_3)
	v_fmac_f32_e32 v9, v14, v18
	s_or_b32 s21, vcc_lo, s21
	v_fmac_f32_e32 v7, v17, v15
	v_fmac_f32_e32 v5, v19, v16
	s_wait_alu 0xfffe
	s_and_not1_b32 exec_lo, exec_lo, s21
	s_cbranch_execnz .LBB198_2
; %bb.3:
	s_or_b32 exec_lo, exec_lo, s21
.LBB198_4:
	s_delay_alu instid0(SALU_CYCLE_1)
	s_or_b32 exec_lo, exec_lo, s23
	s_mov_b32 s3, 0
	; wave barrier
	global_inv scope:SCOPE_SE
	s_mov_b32 s2, exec_lo
	v_cmpx_eq_u32_e32 0, v6
	s_cbranch_execz .LBB198_11
; %bb.5:
	v_mbcnt_lo_u32_b32 v6, -1, 0
	s_load_b64 s[0:1], s[0:1], 0x38
	s_mul_i32 s2, s10, s19
	s_mul_i32 s4, s18, s22
	s_wait_alu 0xfffe
	s_add_co_i32 s2, s2, ttmp9
	v_xor_b32_e32 v0, 16, v6
	v_xor_b32_e32 v1, 8, v6
	;; [unrolled: 1-line block ×3, first 2 shown]
	s_wait_alu 0xfffe
	s_add_co_i32 s2, s2, s4
	s_wait_alu 0xfffe
	s_lshl_b64 s[2:3], s[2:3], 2
	v_cmp_gt_i32_e32 vcc_lo, 32, v0
	s_wait_alu 0xfffd
	v_cndmask_b32_e32 v0, v6, v0, vcc_lo
	v_cmp_gt_i32_e32 vcc_lo, 32, v1
	s_wait_kmcnt 0x0
	s_wait_alu 0xfffe
	s_add_nc_u64 s[0:1], s[0:1], s[2:3]
	s_wait_alu 0xfffd
	v_cndmask_b32_e32 v1, v6, v1, vcc_lo
	s_delay_alu instid0(VALU_DEP_1)
	v_lshlrev_b32_e32 v1, 2, v1
	v_lshlrev_b32_e32 v0, 2, v0
	ds_bpermute_b32 v2, v0, v9
	s_wait_dscnt 0x0
	v_add_f32_e32 v3, v9, v2
	v_xor_b32_e32 v2, 4, v6
	ds_bpermute_b32 v8, v1, v3
	v_cmp_gt_i32_e32 vcc_lo, 32, v2
	s_wait_alu 0xfffd
	v_cndmask_b32_e32 v2, v6, v2, vcc_lo
	s_wait_dscnt 0x0
	v_add_f32_e32 v8, v3, v8
	v_xor_b32_e32 v3, 2, v6
	s_delay_alu instid0(VALU_DEP_1) | instskip(SKIP_3) | instid1(VALU_DEP_2)
	v_cmp_gt_i32_e32 vcc_lo, 32, v3
	s_wait_alu 0xfffd
	v_cndmask_b32_e32 v3, v6, v3, vcc_lo
	v_cmp_gt_i32_e32 vcc_lo, 32, v10
	v_lshlrev_b32_e32 v3, 2, v3
	v_lshlrev_b32_e32 v2, 2, v2
	s_wait_alu 0xfffd
	v_cndmask_b32_e32 v6, v6, v10, vcc_lo
	v_cmp_eq_u32_e32 vcc_lo, 0, v4
	ds_bpermute_b32 v9, v2, v8
	v_lshlrev_b32_e32 v6, 2, v6
	s_wait_dscnt 0x0
	v_add_f32_e32 v8, v8, v9
	ds_bpermute_b32 v9, v3, v8
	s_wait_dscnt 0x0
	v_add_f32_e32 v8, v8, v9
	ds_bpermute_b32 v9, v6, v8
	s_and_saveexec_b32 s2, vcc_lo
	s_cbranch_execz .LBB198_7
; %bb.6:
	s_wait_dscnt 0x0
	v_add_f32_e32 v4, v8, v9
	v_mov_b32_e32 v8, 0
	global_store_b32 v8, v4, s[0:1]
.LBB198_7:
	s_wait_alu 0xfffe
	s_or_b32 exec_lo, exec_lo, s2
	ds_bpermute_b32 v4, v0, v7
	s_wait_dscnt 0x0
	v_add_f32_e32 v4, v7, v4
	ds_bpermute_b32 v7, v1, v4
	s_wait_dscnt 0x0
	v_add_f32_e32 v4, v4, v7
	;; [unrolled: 3-line block ×4, first 2 shown]
	ds_bpermute_b32 v7, v6, v4
	s_and_saveexec_b32 s2, vcc_lo
	s_cbranch_execz .LBB198_9
; %bb.8:
	s_mov_b32 s7, 0
	s_wait_dscnt 0x0
	v_dual_add_f32 v4, v4, v7 :: v_dual_mov_b32 v7, 0
	s_wait_alu 0xfffe
	s_lshl_b64 s[4:5], s[6:7], 2
	s_wait_alu 0xfffe
	s_add_nc_u64 s[4:5], s[0:1], s[4:5]
	global_store_b32 v7, v4, s[4:5]
.LBB198_9:
	s_wait_alu 0xfffe
	s_or_b32 exec_lo, exec_lo, s2
	ds_bpermute_b32 v0, v0, v5
	s_wait_dscnt 0x0
	v_add_f32_e32 v0, v5, v0
	ds_bpermute_b32 v1, v1, v0
	s_wait_dscnt 0x0
	v_add_f32_e32 v0, v0, v1
	;; [unrolled: 3-line block ×4, first 2 shown]
	ds_bpermute_b32 v1, v6, v0
	s_and_b32 exec_lo, exec_lo, vcc_lo
	s_cbranch_execz .LBB198_11
; %bb.10:
	s_lshl_b32 s2, s6, 1
	s_mov_b32 s3, 0
	s_wait_dscnt 0x0
	v_dual_add_f32 v0, v0, v1 :: v_dual_mov_b32 v1, 0
	s_wait_alu 0xfffe
	s_lshl_b64 s[2:3], s[2:3], 2
	s_wait_alu 0xfffe
	s_add_nc_u64 s[0:1], s[0:1], s[2:3]
	global_store_b32 v1, v0, s[0:1]
.LBB198_11:
	s_endpgm
	.section	.rodata,"a",@progbits
	.p2align	6, 0x0
	.amdhsa_kernel _ZL13mul_mat_vec_qIL9ggml_type18ELi3ELb0ELb0EEvPKvS2_PKi31ggml_cuda_mm_fusion_args_devicePfj15HIP_vector_typeIjLj3EEjjjS8_jjjS8_jjjj
		.amdhsa_group_segment_fixed_size 0
		.amdhsa_private_segment_fixed_size 0
		.amdhsa_kernarg_size 144
		.amdhsa_user_sgpr_count 2
		.amdhsa_user_sgpr_dispatch_ptr 0
		.amdhsa_user_sgpr_queue_ptr 0
		.amdhsa_user_sgpr_kernarg_segment_ptr 1
		.amdhsa_user_sgpr_dispatch_id 0
		.amdhsa_user_sgpr_private_segment_size 0
		.amdhsa_wavefront_size32 1
		.amdhsa_uses_dynamic_stack 0
		.amdhsa_enable_private_segment 0
		.amdhsa_system_sgpr_workgroup_id_x 1
		.amdhsa_system_sgpr_workgroup_id_y 1
		.amdhsa_system_sgpr_workgroup_id_z 1
		.amdhsa_system_sgpr_workgroup_info 0
		.amdhsa_system_vgpr_workitem_id 1
		.amdhsa_next_free_vgpr 94
		.amdhsa_next_free_sgpr 28
		.amdhsa_reserve_vcc 1
		.amdhsa_float_round_mode_32 0
		.amdhsa_float_round_mode_16_64 0
		.amdhsa_float_denorm_mode_32 3
		.amdhsa_float_denorm_mode_16_64 3
		.amdhsa_fp16_overflow 0
		.amdhsa_workgroup_processor_mode 1
		.amdhsa_memory_ordered 1
		.amdhsa_forward_progress 1
		.amdhsa_inst_pref_size 33
		.amdhsa_round_robin_scheduling 0
		.amdhsa_exception_fp_ieee_invalid_op 0
		.amdhsa_exception_fp_denorm_src 0
		.amdhsa_exception_fp_ieee_div_zero 0
		.amdhsa_exception_fp_ieee_overflow 0
		.amdhsa_exception_fp_ieee_underflow 0
		.amdhsa_exception_fp_ieee_inexact 0
		.amdhsa_exception_int_div_zero 0
	.end_amdhsa_kernel
	.section	.text._ZL13mul_mat_vec_qIL9ggml_type18ELi3ELb0ELb0EEvPKvS2_PKi31ggml_cuda_mm_fusion_args_devicePfj15HIP_vector_typeIjLj3EEjjjS8_jjjS8_jjjj,"axG",@progbits,_ZL13mul_mat_vec_qIL9ggml_type18ELi3ELb0ELb0EEvPKvS2_PKi31ggml_cuda_mm_fusion_args_devicePfj15HIP_vector_typeIjLj3EEjjjS8_jjjS8_jjjj,comdat
.Lfunc_end198:
	.size	_ZL13mul_mat_vec_qIL9ggml_type18ELi3ELb0ELb0EEvPKvS2_PKi31ggml_cuda_mm_fusion_args_devicePfj15HIP_vector_typeIjLj3EEjjjS8_jjjS8_jjjj, .Lfunc_end198-_ZL13mul_mat_vec_qIL9ggml_type18ELi3ELb0ELb0EEvPKvS2_PKi31ggml_cuda_mm_fusion_args_devicePfj15HIP_vector_typeIjLj3EEjjjS8_jjjS8_jjjj
                                        ; -- End function
	.set _ZL13mul_mat_vec_qIL9ggml_type18ELi3ELb0ELb0EEvPKvS2_PKi31ggml_cuda_mm_fusion_args_devicePfj15HIP_vector_typeIjLj3EEjjjS8_jjjS8_jjjj.num_vgpr, 94
	.set _ZL13mul_mat_vec_qIL9ggml_type18ELi3ELb0ELb0EEvPKvS2_PKi31ggml_cuda_mm_fusion_args_devicePfj15HIP_vector_typeIjLj3EEjjjS8_jjjS8_jjjj.num_agpr, 0
	.set _ZL13mul_mat_vec_qIL9ggml_type18ELi3ELb0ELb0EEvPKvS2_PKi31ggml_cuda_mm_fusion_args_devicePfj15HIP_vector_typeIjLj3EEjjjS8_jjjS8_jjjj.numbered_sgpr, 28
	.set _ZL13mul_mat_vec_qIL9ggml_type18ELi3ELb0ELb0EEvPKvS2_PKi31ggml_cuda_mm_fusion_args_devicePfj15HIP_vector_typeIjLj3EEjjjS8_jjjS8_jjjj.num_named_barrier, 0
	.set _ZL13mul_mat_vec_qIL9ggml_type18ELi3ELb0ELb0EEvPKvS2_PKi31ggml_cuda_mm_fusion_args_devicePfj15HIP_vector_typeIjLj3EEjjjS8_jjjS8_jjjj.private_seg_size, 0
	.set _ZL13mul_mat_vec_qIL9ggml_type18ELi3ELb0ELb0EEvPKvS2_PKi31ggml_cuda_mm_fusion_args_devicePfj15HIP_vector_typeIjLj3EEjjjS8_jjjS8_jjjj.uses_vcc, 1
	.set _ZL13mul_mat_vec_qIL9ggml_type18ELi3ELb0ELb0EEvPKvS2_PKi31ggml_cuda_mm_fusion_args_devicePfj15HIP_vector_typeIjLj3EEjjjS8_jjjS8_jjjj.uses_flat_scratch, 0
	.set _ZL13mul_mat_vec_qIL9ggml_type18ELi3ELb0ELb0EEvPKvS2_PKi31ggml_cuda_mm_fusion_args_devicePfj15HIP_vector_typeIjLj3EEjjjS8_jjjS8_jjjj.has_dyn_sized_stack, 0
	.set _ZL13mul_mat_vec_qIL9ggml_type18ELi3ELb0ELb0EEvPKvS2_PKi31ggml_cuda_mm_fusion_args_devicePfj15HIP_vector_typeIjLj3EEjjjS8_jjjS8_jjjj.has_recursion, 0
	.set _ZL13mul_mat_vec_qIL9ggml_type18ELi3ELb0ELb0EEvPKvS2_PKi31ggml_cuda_mm_fusion_args_devicePfj15HIP_vector_typeIjLj3EEjjjS8_jjjS8_jjjj.has_indirect_call, 0
	.section	.AMDGPU.csdata,"",@progbits
; Kernel info:
; codeLenInByte = 4188
; TotalNumSgprs: 30
; NumVgprs: 94
; ScratchSize: 0
; MemoryBound: 0
; FloatMode: 240
; IeeeMode: 1
; LDSByteSize: 0 bytes/workgroup (compile time only)
; SGPRBlocks: 0
; VGPRBlocks: 11
; NumSGPRsForWavesPerEU: 30
; NumVGPRsForWavesPerEU: 94
; Occupancy: 16
; WaveLimiterHint : 0
; COMPUTE_PGM_RSRC2:SCRATCH_EN: 0
; COMPUTE_PGM_RSRC2:USER_SGPR: 2
; COMPUTE_PGM_RSRC2:TRAP_HANDLER: 0
; COMPUTE_PGM_RSRC2:TGID_X_EN: 1
; COMPUTE_PGM_RSRC2:TGID_Y_EN: 1
; COMPUTE_PGM_RSRC2:TGID_Z_EN: 1
; COMPUTE_PGM_RSRC2:TIDIG_COMP_CNT: 1
	.section	.text._ZL13mul_mat_vec_qIL9ggml_type18ELi4ELb0ELb0EEvPKvS2_PKi31ggml_cuda_mm_fusion_args_devicePfj15HIP_vector_typeIjLj3EEjjjS8_jjjS8_jjjj,"axG",@progbits,_ZL13mul_mat_vec_qIL9ggml_type18ELi4ELb0ELb0EEvPKvS2_PKi31ggml_cuda_mm_fusion_args_devicePfj15HIP_vector_typeIjLj3EEjjjS8_jjjS8_jjjj,comdat
	.globl	_ZL13mul_mat_vec_qIL9ggml_type18ELi4ELb0ELb0EEvPKvS2_PKi31ggml_cuda_mm_fusion_args_devicePfj15HIP_vector_typeIjLj3EEjjjS8_jjjS8_jjjj ; -- Begin function _ZL13mul_mat_vec_qIL9ggml_type18ELi4ELb0ELb0EEvPKvS2_PKi31ggml_cuda_mm_fusion_args_devicePfj15HIP_vector_typeIjLj3EEjjjS8_jjjS8_jjjj
	.p2align	8
	.type	_ZL13mul_mat_vec_qIL9ggml_type18ELi4ELb0ELb0EEvPKvS2_PKi31ggml_cuda_mm_fusion_args_devicePfj15HIP_vector_typeIjLj3EEjjjS8_jjjS8_jjjj,@function
_ZL13mul_mat_vec_qIL9ggml_type18ELi4ELb0ELb0EEvPKvS2_PKi31ggml_cuda_mm_fusion_args_devicePfj15HIP_vector_typeIjLj3EEjjjS8_jjjS8_jjjj: ; @_ZL13mul_mat_vec_qIL9ggml_type18ELi4ELb0ELb0EEvPKvS2_PKi31ggml_cuda_mm_fusion_args_devicePfj15HIP_vector_typeIjLj3EEjjjS8_jjjS8_jjjj
; %bb.0:
	s_clause 0x5
	s_load_b96 s[16:18], s[0:1], 0x80
	s_load_b32 s3, s[0:1], 0x40
	s_load_b128 s[4:7], s[0:1], 0x50
	s_load_b32 s2, s[0:1], 0x60
	s_load_b128 s[8:11], s[0:1], 0x68
	s_load_b32 s23, s[0:1], 0x78
	v_bfe_u32 v8, v0, 10, 10
	v_dual_mov_b32 v6, 0 :: v_dual_and_b32 v5, 0x3ff, v0
	v_mov_b32_e32 v7, 0
	v_mov_b32_e32 v9, 0
	;; [unrolled: 1-line block ×3, first 2 shown]
	s_delay_alu instid0(VALU_DEP_4) | instskip(SKIP_3) | instid1(VALU_DEP_1)
	v_lshl_or_b32 v0, v8, 5, v5
	s_and_b32 s19, ttmp7, 0xffff
	s_lshr_b32 s20, ttmp7, 16
	s_mov_b32 s21, exec_lo
	v_lshrrev_b32_e32 v10, 3, v0
	s_wait_kmcnt 0x0
	s_lshr_b32 s22, s3, 8
	s_delay_alu instid0(VALU_DEP_1) | instid1(SALU_CYCLE_1)
	v_cmpx_gt_u32_e64 s22, v10
	s_cbranch_execz .LBB199_4
; %bb.1:
	v_lshl_add_u32 v0, v8, 5, v5
	s_mul_hi_u32 s3, s7, s19
	s_mul_i32 s24, s9, s19
	s_add_co_i32 s7, s19, s3
	s_mov_b32 s3, 0
	v_lshrrev_b32_e32 v0, 3, v0
	s_mov_b32 s25, s3
	s_load_b128 s[12:15], s[0:1], 0x0
	s_mul_u64 s[24:25], s[24:25], 36
	s_lshr_b32 s2, s7, s2
	v_mad_co_u64_u32 v[0:1], null, 0x120, v0, s[24:25]
	s_mul_i32 s7, s2, s8
	s_mul_hi_u32 s2, s11, s20
	v_lshlrev_b32_e32 v2, 1, v5
	s_add_co_i32 s8, s20, s2
	s_mul_i32 s2, s17, s20
	s_lshr_b32 s11, s8, s23
	v_mad_co_u64_u32 v[0:1], null, s2, 36, v[0:1]
	v_dual_mov_b32 v6, 0 :: v_dual_and_b32 v7, 14, v2
	v_and_b32_e32 v2, 7, v5
	s_mul_u64 s[8:9], s[2:3], 36
	v_lshlrev_b32_e32 v4, 3, v10
	s_delay_alu instid0(VALU_DEP_3)
	v_lshlrev_b32_e32 v9, 1, v7
	s_mul_i32 s4, s4, ttmp9
	v_mad_co_u64_u32 v[13:14], null, v2, 36, v[0:1]
	s_wait_kmcnt 0x0
	s_add_nc_u64 s[8:9], s[14:15], s[8:9]
	v_add_nc_u32_e32 v12, s5, v4
	s_add_nc_u64 s[8:9], s[8:9], s[24:25]
	v_lshlrev_b32_e32 v15, 1, v7
	v_mad_co_u64_u32 v[0:1], null, v2, 36, s[8:9]
	v_mad_co_u64_u32 v[2:3], null, s5, 3, v[4:5]
	v_add_co_u32 v3, vcc_lo, s14, v13
	s_delay_alu instid0(VALU_DEP_1) | instskip(SKIP_1) | instid1(VALU_DEP_3)
	v_add_co_ci_u32_e64 v11, null, s15, v14, vcc_lo
	v_lshl_add_u32 v13, s5, 1, v4
	v_add_co_u32 v3, vcc_lo, v3, 16
	s_wait_alu 0xfffd
	s_delay_alu instid0(VALU_DEP_3)
	v_add_co_ci_u32_e64 v4, null, 0, v11, vcc_lo
	v_dual_mov_b32 v7, 0 :: v_dual_lshlrev_b32 v14, 1, v9
	v_mov_b32_e32 v9, 0
	v_mov_b32_e32 v11, 0
	s_mul_i32 s2, s11, s16
	s_add_co_i32 s7, s7, s4
	s_wait_alu 0xfffe
	s_add_co_i32 s2, s2, s7
.LBB199_2:                              ; =>This Inner Loop Header: Depth=1
	s_wait_alu 0xfffe
	v_add_nc_u32_e32 v24, s2, v10
	v_mad_co_u64_u32 v[36:37], null, v12, 36, v[0:1]
	v_mad_co_u64_u32 v[40:41], null, v13, 36, v[0:1]
	s_delay_alu instid0(VALU_DEP_3)
	v_mad_co_i64_i32 v[32:33], null, 0x62, v24, s[12:13]
	s_clause 0x1
	global_load_b128 v[16:19], v[3:4], off offset:-16
	global_load_b128 v[20:23], v[3:4], off
	s_clause 0x2
	global_load_b128 v[24:27], v[36:37], off
	global_load_b32 v48, v[36:37], off offset:32
	global_load_b128 v[28:31], v[40:41], off
	v_mad_co_u64_u32 v[44:45], null, v2, 36, v[0:1]
	s_getpc_b64 s[4:5]
	s_wait_alu 0xfffe
	s_sext_i32_i16 s5, s5
	s_add_co_u32 s4, s4, _ZL11iq3xxs_grid@rel32@lo+12
	s_wait_alu 0xfffe
	s_add_co_ci_u32 s5, s5, _ZL11iq3xxs_grid@rel32@hi+24
	v_add_co_u32 v34, vcc_lo, v32, v14
	s_wait_alu 0xfffd
	v_add_co_ci_u32_e64 v35, null, 0, v33, vcc_lo
	v_add_co_u32 v38, vcc_lo, v32, v15
	s_wait_alu 0xfffd
	v_add_co_ci_u32_e64 v39, null, 0, v33, vcc_lo
	s_clause 0x2
	global_load_b64 v[34:35], v[34:35], off offset:2
	global_load_b32 v49, v[38:39], off offset:66
	global_load_u16 v50, v[32:33], off
	v_add_nc_u32_e32 v10, 4, v10
	v_add_nc_u32_e32 v12, 32, v12
	;; [unrolled: 1-line block ×4, first 2 shown]
	s_wait_loadcnt 0x5
	v_cvt_f32_f16_e32 v24, v24
	s_wait_loadcnt 0x3
	v_cvt_f32_f16_e32 v28, v28
	s_wait_loadcnt 0x2
	v_and_b32_e32 v46, 0xff, v35
	s_wait_loadcnt 0x1
	v_and_b32_e32 v32, 0xff, v49
	v_lshrrev_b32_e32 v47, 6, v35
	v_lshrrev_b32_e32 v51, 14, v35
	;; [unrolled: 1-line block ×3, first 2 shown]
	v_bfe_u32 v35, v49, 21, 8
	v_bcnt_u32_b32 v53, v32, 0
	v_bfe_u32 v33, v49, 7, 8
	v_and_b32_e32 v38, 0xff, v34
	v_lshrrev_b32_e32 v39, 6, v34
	v_bcnt_u32_b32 v56, v35, 0
	v_and_b32_e32 v53, 1, v53
	v_bcnt_u32_b32 v54, v33, 0
	v_lshrrev_b32_e32 v42, 14, v34
	v_lshrrev_b32_e32 v43, 22, v34
	v_and_b32_e32 v56, 1, v56
	v_lshlrev_b32_e32 v53, 7, v53
	v_and_b32_e32 v54, 1, v54
	v_bfe_u32 v34, v49, 14, 8
	v_lshlrev_b32_e32 v38, 2, v38
	v_lshlrev_b32_e32 v56, 7, v56
	v_xor_b32_e32 v32, v53, v32
	v_lshlrev_b32_e32 v54, 7, v54
	v_bcnt_u32_b32 v55, v34, 0
	v_and_b32_e32 v39, 0x3fc, v39
	v_xor_b32_e32 v35, v56, v35
	v_mul_lo_u32 v32, 0x1010101, v32
	v_xor_b32_e32 v33, v54, v33
	v_and_b32_e32 v55, 1, v55
	v_and_b32_e32 v42, 0x3fc, v42
	v_mul_lo_u32 v35, 0x1010101, v35
	v_and_b32_e32 v43, 0x3fc, v43
	v_mul_lo_u32 v33, 0x1010101, v33
	v_lshlrev_b32_e32 v55, 7, v55
	v_and_b32_e32 v53, 0x8040201, v32
	v_and_b32_e32 v56, 0x80402010, v32
	v_lshrrev_b32_e32 v54, 18, v32
	v_lshlrev_b32_e32 v46, 2, v46
	v_and_b32_e32 v65, 0x8040201, v35
	v_lshrrev_b16 v69, 8, v53
	v_lshrrev_b32_e32 v66, 18, v35
	v_bfe_i32 v67, v35, 0, 1
	v_and_b32_e32 v68, 0x80402010, v35
	v_lshrrev_b32_e32 v35, 22, v35
	v_lshrrev_b32_e32 v53, 24, v53
	v_cmp_ne_u16_e32 vcc_lo, 0, v69
	v_lshrrev_b16 v71, 8, v56
	v_xor_b32_e32 v34, v55, v34
	v_bfe_i32 v85, v35, 0, 1
	v_bfe_i32 v55, v32, 0, 1
	s_wait_alu 0xfffd
	v_cndmask_b32_e64 v35, 0, -1, vcc_lo
	v_cmp_ne_u16_e32 vcc_lo, 0, v53
	v_lshrrev_b32_e32 v32, 22, v32
	v_and_b32_e32 v57, 0x8040201, v33
	v_lshrrev_b32_e32 v72, 24, v56
	v_and_b32_e32 v60, 0x80402010, v33
	s_wait_alu 0xfffd
	v_cndmask_b32_e64 v53, 0, -1, vcc_lo
	v_cmp_ne_u16_e32 vcc_lo, 0, v71
	v_bfe_i32 v73, v32, 0, 1
	v_lshrrev_b16 v32, 8, v57
	v_lshrrev_b32_e32 v57, 24, v57
	v_mul_lo_u32 v34, 0x1010101, v34
	s_wait_alu 0xfffd
	v_cndmask_b32_e64 v71, 0, -1, vcc_lo
	v_cmp_ne_u16_e32 vcc_lo, 0, v72
	v_lshrrev_b16 v75, 8, v60
	v_lshrrev_b32_e32 v58, 18, v33
	v_bfe_i32 v59, v33, 0, 1
	v_lshrrev_b32_e32 v33, 22, v33
	s_wait_alu 0xfffd
	v_cndmask_b32_e64 v72, 0, -1, vcc_lo
	v_cmp_ne_u16_e32 vcc_lo, 0, v32
	v_and_b32_e32 v61, 0x8040201, v34
	v_lshrrev_b32_e32 v76, 24, v60
	v_bfe_i32 v54, v54, 0, 1
	v_bfe_i32 v77, v33, 0, 1
	s_wait_alu 0xfffd
	v_cndmask_b32_e64 v32, 0, -1, vcc_lo
	v_cmp_ne_u16_e32 vcc_lo, 0, v57
	v_lshrrev_b16 v33, 8, v61
	v_and_b32_e32 v64, 0x80402010, v34
	v_and_b32_e32 v70, 0xff, v55
	v_lshrrev_b32_e32 v61, 24, v61
	s_wait_alu 0xfffd
	v_cndmask_b32_e64 v57, 0, -1, vcc_lo
	v_cmp_ne_u16_e32 vcc_lo, 0, v75
	v_and_b32_e32 v69, 0xff, v54
	v_lshlrev_b16 v93, 8, v35
	v_lshlrev_b16 v53, 8, v53
	v_lshrrev_b16 v56, 4, v56
	s_wait_alu 0xfffd
	v_cndmask_b32_e64 v75, 0, -1, vcc_lo
	v_cmp_ne_u16_e32 vcc_lo, 0, v76
	v_lshrrev_b16 v79, 8, v64
	v_or_b32_e32 v35, v70, v93
	v_or_b32_e32 v69, v69, v53
	v_lshrrev_b32_e32 v62, 18, v34
	s_wait_alu 0xfffd
	v_cndmask_b32_e64 v76, 0, -1, vcc_lo
	v_cmp_ne_u16_e32 vcc_lo, 0, v33
	v_bfe_i32 v63, v34, 0, 1
	v_lshrrev_b32_e32 v34, 22, v34
	v_lshrrev_b32_e32 v80, 24, v64
	v_bfe_i32 v56, v56, 0, 1
	s_wait_alu 0xfffd
	v_cndmask_b32_e64 v33, 0, -1, vcc_lo
	v_cmp_ne_u16_e32 vcc_lo, 0, v61
	v_and_b32_e32 v35, 0xffff, v35
	v_lshlrev_b32_e32 v69, 16, v69
	v_bfe_i32 v81, v34, 0, 1
	v_lshrrev_b16 v34, 8, v65
	s_wait_alu 0xfffd
	v_cndmask_b32_e64 v61, 0, -1, vcc_lo
	v_cmp_ne_u16_e32 vcc_lo, 0, v79
	v_and_b32_e32 v86, 0xff, v73
	v_or_b32_e32 v69, v35, v69
	v_and_b32_e32 v35, 0xff, v56
	v_lshlrev_b16 v70, 8, v71
	s_wait_alu 0xfffd
	v_cndmask_b32_e64 v79, 0, -1, vcc_lo
	v_cmp_ne_u16_e32 vcc_lo, 0, v80
	v_lshlrev_b16 v71, 8, v72
	v_lshrrev_b16 v60, 4, v60
	v_lshrrev_b32_e32 v65, 24, v65
	v_lshlrev_b16 v72, 8, v32
	s_wait_alu 0xfffd
	v_cndmask_b32_e64 v80, 0, -1, vcc_lo
	v_cmp_ne_u16_e32 vcc_lo, 0, v34
	v_or_b32_e32 v32, v35, v70
	v_or_b32_e32 v35, v86, v71
	v_bfe_i32 v58, v58, 0, 1
	v_lshrrev_b16 v83, 8, v68
	v_bfe_i32 v60, v60, 0, 1
	s_wait_alu 0xfffd
	v_cndmask_b32_e64 v34, 0, -1, vcc_lo
	v_cmp_ne_u16_e32 vcc_lo, 0, v65
	v_and_b32_e32 v32, 0xffff, v32
	v_lshlrev_b32_e32 v35, 16, v35
	v_and_b32_e32 v74, 0xff, v59
	v_lshrrev_b32_e32 v84, 24, v68
	v_and_b32_e32 v87, 0xff, v58
	v_and_b32_e32 v88, 0xff, v77
	s_wait_alu 0xfffd
	v_cndmask_b32_e64 v65, 0, -1, vcc_lo
	v_cmp_ne_u16_e32 vcc_lo, 0, v83
	v_lshlrev_b16 v57, 8, v57
	v_or_b32_e32 v86, v32, v35
	v_and_b32_e32 v32, 0xff, v60
	v_lshlrev_b16 v75, 8, v75
	v_lshlrev_b16 v76, 8, v76
	v_lshrrev_b16 v64, 4, v64
	v_lshrrev_b16 v68, 4, v68
	s_wait_alu 0xfffd
	v_cndmask_b32_e64 v83, 0, -1, vcc_lo
	v_cmp_ne_u16_e32 vcc_lo, 0, v84
	v_lshlrev_b16 v94, 8, v33
	v_or_b32_e32 v33, v74, v72
	v_or_b32_e32 v35, v87, v57
	v_lshlrev_b16 v87, 8, v34
	v_or_b32_e32 v32, v32, v75
	v_or_b32_e32 v34, v88, v76
	v_bfe_i32 v62, v62, 0, 1
	v_bfe_i32 v66, v66, 0, 1
	;; [unrolled: 1-line block ×4, first 2 shown]
	s_wait_alu 0xfffd
	v_cndmask_b32_e64 v84, 0, -1, vcc_lo
	v_and_b32_e32 v33, 0xffff, v33
	v_lshlrev_b32_e32 v35, 16, v35
	v_and_b32_e32 v32, 0xffff, v32
	v_lshlrev_b32_e32 v34, 16, v34
	v_and_b32_e32 v78, 0xff, v63
	v_and_b32_e32 v82, 0xff, v67
	;; [unrolled: 1-line block ×6, first 2 shown]
	v_lshlrev_b16 v61, 8, v61
	v_or_b32_e32 v74, v33, v35
	v_and_b32_e32 v33, 0xff, v64
	v_lshlrev_b16 v79, 8, v79
	v_lshlrev_b16 v80, 8, v80
	;; [unrolled: 1-line block ×3, first 2 shown]
	v_or_b32_e32 v88, v32, v34
	v_and_b32_e32 v32, 0xff, v68
	v_lshlrev_b16 v83, 8, v83
	v_lshlrev_b16 v84, 8, v84
	v_or_b32_e32 v34, v78, v94
	v_or_b32_e32 v35, v89, v61
	;; [unrolled: 1-line block ×8, first 2 shown]
	v_and_b32_e32 v34, 0xffff, v34
	v_lshlrev_b32_e32 v35, 16, v35
	v_and_b32_e32 v33, 0xffff, v33
	v_lshlrev_b32_e32 v78, 16, v78
	v_and_b32_e32 v82, 0xffff, v82
	v_lshlrev_b32_e32 v89, 16, v89
	v_and_b32_e32 v32, 0xffff, v32
	v_lshlrev_b32_e32 v90, 16, v90
	v_and_b32_e32 v47, 0x3fc, v47
	v_and_b32_e32 v51, 0x3fc, v51
	;; [unrolled: 1-line block ×3, first 2 shown]
	v_or_b32_e32 v91, v34, v35
	v_or_b32_e32 v78, v33, v78
	;; [unrolled: 1-line block ×4, first 2 shown]
	global_load_b128 v[32:35], v[44:45], off
	s_clause 0x7
	global_load_b32 v38, v38, s[4:5]
	global_load_b32 v39, v39, s[4:5]
	;; [unrolled: 1-line block ×8, first 2 shown]
	v_lshlrev_b16 v56, 8, v56
	v_lshlrev_b16 v60, 8, v60
	s_clause 0x1
	global_load_b32 v90, v[40:41], off offset:32
	global_load_b32 v92, v[44:45], off offset:32
	v_lshlrev_b16 v54, 8, v54
	v_lshlrev_b16 v58, 8, v58
	;; [unrolled: 1-line block ×4, first 2 shown]
	v_lshrrev_b32_e32 v49, 28, v49
	s_wait_loadcnt 0x9
	v_xor_b32_e32 v69, v38, v69
	s_wait_loadcnt 0x8
	v_xor_b32_e32 v86, v39, v86
	;; [unrolled: 2-line block ×5, first 2 shown]
	v_lshlrev_b16 v46, 8, v55
	v_lshlrev_b16 v55, 8, v63
	;; [unrolled: 1-line block ×5, first 2 shown]
	s_wait_loadcnt 0x4
	v_xor_b32_e32 v78, v47, v78
	v_lshlrev_b16 v47, 8, v59
	s_wait_loadcnt 0x3
	v_xor_b32_e32 v51, v51, v82
	v_and_b32_e32 v82, 0xffffff00, v86
	v_sub_nc_i16 v68, v68, v46 clamp
	v_lshlrev_b16 v46, 8, v86
	s_wait_loadcnt 0x2
	v_xor_b32_e32 v52, v52, v89
	v_lshlrev_b16 v59, 8, v67
	v_sub_nc_i16 v70, v82, v70 clamp
	v_and_b32_e32 v82, 0xffffff00, v74
	v_sub_nc_i16 v56, v46, v56 clamp
	v_lshlrev_b16 v46, 8, v74
	global_load_b128 v[36:39], v[36:37], off offset:16
	v_and_b32_e32 v67, 0xffffff00, v69
	v_sub_nc_i16 v72, v82, v72 clamp
	v_and_b32_e32 v82, 0xffffff00, v88
	v_sub_nc_i16 v89, v46, v47 clamp
	v_lshlrev_b16 v46, 8, v88
	v_and_b32_e32 v47, 0xffffff00, v91
	v_sub_nc_i16 v67, v67, v93 clamp
	v_sub_nc_i16 v75, v82, v75 clamp
	v_lshrrev_b32_e32 v69, 16, v69
	v_sub_nc_i16 v60, v46, v60 clamp
	v_lshlrev_b16 v46, 8, v91
	v_sub_nc_i16 v82, v47, v94 clamp
	v_and_b32_e32 v47, 0xffffff00, v78
	v_perm_b32 v67, v68, v67, 0xc0c0105
	v_and_b32_e32 v68, 0xffffff00, v69
	v_sub_nc_i16 v55, v46, v55 clamp
	v_lshlrev_b16 v46, 8, v78
	v_sub_nc_i16 v79, v47, v79 clamp
	v_and_b32_e32 v47, 0xffffff00, v51
	v_sub_nc_i16 v53, v68, v53 clamp
	global_load_b32 v68, v[3:4], off offset:16
	v_sub_nc_i16 v63, v46, v63 clamp
	v_lshlrev_b16 v46, 8, v51
	v_sub_nc_i16 v87, v47, v87 clamp
	v_and_b32_e32 v47, 0xffffff00, v52
	v_lshlrev_b16 v69, 8, v69
	v_perm_b32 v56, v56, v70, 0xc0c0105
	v_sub_nc_i16 v59, v46, v59 clamp
	v_lshlrev_b16 v46, 8, v52
	v_sub_nc_i16 v83, v47, v83 clamp
	v_sub_nc_i16 v54, v69, v54 clamp
	v_cvt_f32_f16_e32 v69, v16
	v_lshrrev_b32_e32 v16, 16, v86
	v_sub_nc_i16 v64, v46, v64 clamp
	s_clause 0x1
	global_load_b128 v[44:47], v[44:45], off offset:16
	global_load_b128 v[40:43], v[40:41], off offset:16
	v_perm_b32 v53, v54, v53, 0xc0c0105
	v_and_b32_e32 v70, 0xffffff00, v16
	v_lshlrev_b16 v16, 8, v16
	v_perm_b32 v72, v89, v72, 0xc0c0105
	v_lshrrev_b32_e32 v78, 16, v78
	v_lshl_or_b32 v53, v53, 16, v67
	v_sub_nc_i16 v70, v70, v71 clamp
	v_lshlrev_b16 v71, 8, v73
	v_perm_b32 v60, v60, v75, 0xc0c0105
	v_lshrrev_b32_e32 v51, 16, v51
	v_dot4_i32_iu8 v17, v53, v17, 0 neg_lo:[1,1,0]
	v_dot4_i32_iu8 v25, v53, v25, 0 neg_lo:[1,1,0]
	v_sub_nc_i16 v16, v16, v71 clamp
	v_lshrrev_b32_e32 v71, 16, v74
	v_lshlrev_b16 v74, 8, v81
	v_lshrrev_b32_e32 v81, 16, v88
	v_dot4_i32_iu8 v29, v53, v29, 0 neg_lo:[1,1,0]
	v_perm_b32 v16, v16, v70, 0xc0c0105
	v_and_b32_e32 v73, 0xffffff00, v71
	v_lshlrev_b16 v71, 8, v71
	v_dot4_i32_iu8 v33, v53, v33, 0 neg_lo:[1,1,0]
	v_lshrrev_b32_e32 v52, 16, v52
	v_lshl_or_b32 v16, v16, 16, v56
	v_sub_nc_i16 v57, v73, v57 clamp
	v_lshlrev_b16 v73, 8, v77
	v_lshlrev_b16 v77, 8, v85
	v_lshrrev_b32_e32 v85, 16, v91
	v_sub_nc_i16 v58, v71, v58 clamp
	v_and_b32_e32 v71, 0xffffff00, v81
	v_lshlrev_b16 v81, 8, v81
	v_dot4_i32_iu8 v17, v16, v18, v17 neg_lo:[1,1,0]
	v_and_b32_e32 v75, 0xffffff00, v85
	v_lshlrev_b16 v85, 8, v85
	v_sub_nc_i16 v71, v71, v76 clamp
	v_sub_nc_i16 v73, v81, v73 clamp
	v_perm_b32 v54, v58, v57, 0xc0c0105
	v_and_b32_e32 v76, 0xffffff00, v78
	v_lshlrev_b16 v78, 8, v78
	v_sub_nc_i16 v61, v75, v61 clamp
	v_sub_nc_i16 v62, v85, v62 clamp
	v_perm_b32 v57, v73, v71, 0xc0c0105
	v_lshl_or_b32 v54, v54, 16, v72
	v_dot4_i32_iu8 v18, v16, v26, v25 neg_lo:[1,1,0]
	v_and_b32_e32 v81, 0xffffff00, v51
	v_lshlrev_b16 v51, 8, v51
	v_perm_b32 v55, v55, v82, 0xc0c0105
	v_sub_nc_i16 v75, v76, v80 clamp
	v_sub_nc_i16 v74, v78, v74 clamp
	v_perm_b32 v58, v62, v61, 0xc0c0105
	v_lshl_or_b32 v56, v57, 16, v60
	v_dot4_i32_iu8 v25, v16, v30, v29 neg_lo:[1,1,0]
	v_dot4_i32_iu8 v16, v16, v34, v33 neg_lo:[1,1,0]
	;; [unrolled: 1-line block ×4, first 2 shown]
	v_and_b32_e32 v82, 0xffffff00, v52
	v_lshlrev_b16 v52, 8, v52
	v_perm_b32 v63, v63, v79, 0xc0c0105
	v_sub_nc_i16 v65, v81, v65 clamp
	v_sub_nc_i16 v51, v51, v66 clamp
	v_perm_b32 v61, v74, v75, 0xc0c0105
	v_lshl_or_b32 v55, v58, 16, v55
	v_dot4_i32_iu8 v16, v54, v35, v16 neg_lo:[1,1,0]
	v_dot4_i32_iu8 v17, v56, v20, v17 neg_lo:[1,1,0]
	;; [unrolled: 1-line block ×3, first 2 shown]
	v_perm_b32 v59, v59, v87, 0xc0c0105
	v_sub_nc_i16 v66, v82, v84 clamp
	v_sub_nc_i16 v52, v52, v77 clamp
	v_perm_b32 v51, v51, v65, 0xc0c0105
	v_lshl_or_b32 v57, v61, 16, v63
	v_dot4_i32_iu8 v17, v55, v21, v17 neg_lo:[1,1,0]
	v_perm_b32 v64, v64, v83, 0xc0c0105
	v_perm_b32 v52, v52, v66, 0xc0c0105
	v_lshl_or_b32 v51, v51, 16, v59
	v_cvt_f32_f16_e32 v32, v32
	v_dot4_i32_iu8 v17, v57, v22, v17 neg_lo:[1,1,0]
	v_add_co_u32 v3, vcc_lo, 0x480, v3
	v_lshl_or_b32 v52, v52, 16, v64
	s_wait_alu 0xfffd
	v_add_co_ci_u32_e64 v4, null, 0, v4, vcc_lo
	v_dot4_i32_iu8 v17, v51, v23, v17 neg_lo:[1,1,0]
	v_cmp_le_u32_e32 vcc_lo, s22, v10
	s_or_b32 s3, vcc_lo, s3
	s_wait_loadcnt 0x3
	v_dot4_i32_iu8 v18, v56, v36, v18 neg_lo:[1,1,0]
	s_delay_alu instid0(VALU_DEP_1) | instskip(NEXT) | instid1(VALU_DEP_1)
	v_dot4_i32_iu8 v18, v55, v37, v18 neg_lo:[1,1,0]
	v_dot4_i32_iu8 v18, v57, v38, v18 neg_lo:[1,1,0]
	s_delay_alu instid0(VALU_DEP_1) | instskip(NEXT) | instid1(VALU_DEP_1)
	v_dot4_i32_iu8 v18, v51, v39, v18 neg_lo:[1,1,0]
	v_dot4_i32_iu8 v22, v52, v48, v18 neg_lo:[1,1,0]
	s_wait_loadcnt 0x2
	v_dot4_i32_iu8 v20, v52, v68, v17 neg_lo:[1,1,0]
	s_delay_alu instid0(VALU_DEP_2) | instskip(NEXT) | instid1(VALU_DEP_1)
	v_lshrrev_b32_e32 v17, 31, v22
	v_add_nc_u32_e32 v17, v22, v17
	s_wait_loadcnt 0x1
	v_dot4_i32_iu8 v16, v56, v44, v16 neg_lo:[1,1,0]
	s_wait_loadcnt 0x0
	v_dot4_i32_iu8 v19, v56, v40, v19 neg_lo:[1,1,0]
	v_ashrrev_i32_e32 v17, 1, v17
	s_delay_alu instid0(VALU_DEP_3) | instskip(NEXT) | instid1(VALU_DEP_3)
	v_dot4_i32_iu8 v16, v55, v45, v16 neg_lo:[1,1,0]
	v_dot4_i32_iu8 v19, v55, v41, v19 neg_lo:[1,1,0]
	s_delay_alu instid0(VALU_DEP_2) | instskip(NEXT) | instid1(VALU_DEP_2)
	v_dot4_i32_iu8 v16, v57, v46, v16 neg_lo:[1,1,0]
	v_dot4_i32_iu8 v19, v57, v42, v19 neg_lo:[1,1,0]
	s_delay_alu instid0(VALU_DEP_2) | instskip(NEXT) | instid1(VALU_DEP_2)
	v_dot4_i32_iu8 v16, v51, v47, v16 neg_lo:[1,1,0]
	v_dot4_i32_iu8 v19, v51, v43, v19 neg_lo:[1,1,0]
	s_delay_alu instid0(VALU_DEP_2) | instskip(SKIP_1) | instid1(VALU_DEP_3)
	v_dot4_i32_iu8 v25, v52, v92, v16 neg_lo:[1,1,0]
	v_lshrrev_b32_e32 v16, 31, v20
	v_dot4_i32_iu8 v23, v52, v90, v19 neg_lo:[1,1,0]
	s_delay_alu instid0(VALU_DEP_3) | instskip(NEXT) | instid1(VALU_DEP_3)
	v_lshrrev_b32_e32 v19, 31, v25
	v_add_nc_u32_e32 v16, v20, v16
	s_delay_alu instid0(VALU_DEP_3) | instskip(NEXT) | instid1(VALU_DEP_3)
	v_lshrrev_b32_e32 v18, 31, v23
	v_add_nc_u32_e32 v19, v25, v19
	s_delay_alu instid0(VALU_DEP_3) | instskip(NEXT) | instid1(VALU_DEP_3)
	v_ashrrev_i32_e32 v16, 1, v16
	v_add_nc_u32_e32 v18, v23, v18
	s_delay_alu instid0(VALU_DEP_3) | instskip(NEXT) | instid1(VALU_DEP_3)
	v_ashrrev_i32_e32 v19, 1, v19
	v_mad_co_u64_u32 v[20:21], null, v20, v49, v[16:17]
	s_delay_alu instid0(VALU_DEP_3) | instskip(NEXT) | instid1(VALU_DEP_1)
	v_ashrrev_i32_e32 v18, 1, v18
	v_mad_co_u64_u32 v[16:17], null, v22, v49, v[17:18]
	s_delay_alu instid0(VALU_DEP_4) | instskip(NEXT) | instid1(VALU_DEP_4)
	v_mad_co_u64_u32 v[17:18], null, v23, v49, v[18:19]
	v_mad_co_u64_u32 v[18:19], null, v25, v49, v[19:20]
	v_lshrrev_b32_e32 v22, 31, v20
	v_cvt_f32_f16_e32 v19, v50
	v_lshrrev_b32_e32 v23, 31, v16
	v_lshrrev_b32_e32 v25, 31, v17
	s_delay_alu instid0(VALU_DEP_4) | instskip(SKIP_1) | instid1(VALU_DEP_4)
	v_add_nc_u32_e32 v20, v20, v22
	v_lshrrev_b32_e32 v26, 31, v18
	v_dual_mul_f32 v21, v19, v69 :: v_dual_add_nc_u32 v16, v16, v23
	s_delay_alu instid0(VALU_DEP_4) | instskip(NEXT) | instid1(VALU_DEP_4)
	v_add_nc_u32_e32 v17, v17, v25
	v_ashrrev_i32_e32 v20, 1, v20
	s_delay_alu instid0(VALU_DEP_4) | instskip(NEXT) | instid1(VALU_DEP_4)
	v_add_nc_u32_e32 v18, v18, v26
	v_ashrrev_i32_e32 v16, 1, v16
	v_mul_f32_e32 v24, v19, v24
	v_ashrrev_i32_e32 v17, 1, v17
	v_mul_f32_e32 v22, v19, v28
	;; [unrolled: 2-line block ×3, first 2 shown]
	v_cvt_f32_i32_e32 v20, v20
	v_cvt_f32_i32_e32 v16, v16
	;; [unrolled: 1-line block ×4, first 2 shown]
	s_delay_alu instid0(VALU_DEP_4) | instskip(NEXT) | instid1(VALU_DEP_4)
	v_fmac_f32_e32 v11, v21, v20
	v_fmac_f32_e32 v9, v24, v16
	s_delay_alu instid0(VALU_DEP_3)
	v_dual_fmac_f32 v7, v22, v17 :: v_dual_fmac_f32 v6, v19, v18
	s_wait_alu 0xfffe
	s_and_not1_b32 exec_lo, exec_lo, s3
	s_cbranch_execnz .LBB199_2
; %bb.3:
	s_or_b32 exec_lo, exec_lo, s3
.LBB199_4:
	s_delay_alu instid0(SALU_CYCLE_1)
	s_or_b32 exec_lo, exec_lo, s21
	s_mov_b32 s3, 0
	; wave barrier
	global_inv scope:SCOPE_SE
	s_mov_b32 s2, exec_lo
	v_cmpx_eq_u32_e32 0, v8
	s_cbranch_execz .LBB199_13
; %bb.5:
	v_mbcnt_lo_u32_b32 v4, -1, 0
	s_load_b64 s[0:1], s[0:1], 0x38
	s_mul_i32 s2, s10, s19
	s_mul_i32 s4, s18, s20
	s_wait_alu 0xfffe
	s_add_co_i32 s2, s2, ttmp9
	v_xor_b32_e32 v0, 16, v4
	v_xor_b32_e32 v1, 8, v4
	s_wait_alu 0xfffe
	s_add_co_i32 s2, s2, s4
	s_wait_alu 0xfffe
	s_lshl_b64 s[2:3], s[2:3], 2
	v_cmp_gt_i32_e32 vcc_lo, 32, v0
	s_wait_alu 0xfffd
	v_cndmask_b32_e32 v0, v4, v0, vcc_lo
	v_cmp_gt_i32_e32 vcc_lo, 32, v1
	s_wait_alu 0xfffd
	v_cndmask_b32_e32 v1, v4, v1, vcc_lo
	s_wait_kmcnt 0x0
	s_wait_alu 0xfffe
	s_add_nc_u64 s[0:1], s[0:1], s[2:3]
	s_delay_alu instid0(VALU_DEP_1)
	v_lshlrev_b32_e32 v1, 2, v1
	v_lshlrev_b32_e32 v0, 2, v0
	ds_bpermute_b32 v2, v0, v11
	s_wait_dscnt 0x0
	v_add_f32_e32 v3, v11, v2
	v_xor_b32_e32 v2, 4, v4
	v_xor_b32_e32 v11, 1, v4
	ds_bpermute_b32 v8, v1, v3
	v_cmp_gt_i32_e32 vcc_lo, 32, v2
	s_wait_alu 0xfffd
	v_cndmask_b32_e32 v2, v4, v2, vcc_lo
	s_wait_dscnt 0x0
	v_add_f32_e32 v8, v3, v8
	v_xor_b32_e32 v3, 2, v4
	s_delay_alu instid0(VALU_DEP_1) | instskip(SKIP_3) | instid1(VALU_DEP_2)
	v_cmp_gt_i32_e32 vcc_lo, 32, v3
	s_wait_alu 0xfffd
	v_cndmask_b32_e32 v3, v4, v3, vcc_lo
	v_cmp_gt_i32_e32 vcc_lo, 32, v11
	v_lshlrev_b32_e32 v3, 2, v3
	v_lshlrev_b32_e32 v2, 2, v2
	s_wait_alu 0xfffd
	v_cndmask_b32_e32 v4, v4, v11, vcc_lo
	v_cmp_eq_u32_e32 vcc_lo, 0, v5
	ds_bpermute_b32 v10, v2, v8
	v_lshlrev_b32_e32 v4, 2, v4
	s_wait_dscnt 0x0
	v_add_f32_e32 v8, v8, v10
	ds_bpermute_b32 v10, v3, v8
	s_wait_dscnt 0x0
	v_add_f32_e32 v8, v8, v10
	ds_bpermute_b32 v10, v4, v8
	s_and_saveexec_b32 s2, vcc_lo
	s_cbranch_execz .LBB199_7
; %bb.6:
	s_wait_dscnt 0x0
	v_dual_add_f32 v5, v8, v10 :: v_dual_mov_b32 v8, 0
	global_store_b32 v8, v5, s[0:1]
.LBB199_7:
	s_wait_alu 0xfffe
	s_or_b32 exec_lo, exec_lo, s2
	ds_bpermute_b32 v5, v0, v9
	s_wait_dscnt 0x0
	v_add_f32_e32 v5, v9, v5
	ds_bpermute_b32 v8, v1, v5
	s_wait_dscnt 0x0
	v_add_f32_e32 v5, v5, v8
	;; [unrolled: 3-line block ×4, first 2 shown]
	ds_bpermute_b32 v8, v4, v5
	s_and_saveexec_b32 s2, vcc_lo
	s_cbranch_execz .LBB199_9
; %bb.8:
	s_mov_b32 s7, 0
	s_wait_dscnt 0x0
	v_dual_add_f32 v5, v5, v8 :: v_dual_mov_b32 v8, 0
	s_lshl_b64 s[4:5], s[6:7], 2
	s_wait_alu 0xfffe
	s_add_nc_u64 s[4:5], s[0:1], s[4:5]
	global_store_b32 v8, v5, s[4:5]
.LBB199_9:
	s_wait_alu 0xfffe
	s_or_b32 exec_lo, exec_lo, s2
	ds_bpermute_b32 v5, v0, v7
	s_wait_dscnt 0x0
	v_add_f32_e32 v5, v7, v5
	ds_bpermute_b32 v7, v1, v5
	s_wait_dscnt 0x0
	v_add_f32_e32 v5, v5, v7
	;; [unrolled: 3-line block ×4, first 2 shown]
	ds_bpermute_b32 v7, v4, v5
	s_and_saveexec_b32 s2, vcc_lo
	s_cbranch_execz .LBB199_11
; %bb.10:
	s_lshl_b32 s4, s6, 1
	s_mov_b32 s5, 0
	s_wait_dscnt 0x0
	v_add_f32_e32 v5, v5, v7
	v_mov_b32_e32 v7, 0
	s_wait_alu 0xfffe
	s_lshl_b64 s[4:5], s[4:5], 2
	s_wait_alu 0xfffe
	s_add_nc_u64 s[4:5], s[0:1], s[4:5]
	global_store_b32 v7, v5, s[4:5]
.LBB199_11:
	s_wait_alu 0xfffe
	s_or_b32 exec_lo, exec_lo, s2
	ds_bpermute_b32 v0, v0, v6
	s_wait_dscnt 0x0
	v_add_f32_e32 v0, v6, v0
	ds_bpermute_b32 v1, v1, v0
	s_wait_dscnt 0x0
	v_add_f32_e32 v0, v0, v1
	;; [unrolled: 3-line block ×4, first 2 shown]
	ds_bpermute_b32 v1, v4, v0
	s_and_b32 exec_lo, exec_lo, vcc_lo
	s_cbranch_execz .LBB199_13
; %bb.12:
	s_mul_i32 s2, s6, 3
	s_mov_b32 s3, 0
	s_wait_dscnt 0x0
	v_dual_add_f32 v0, v0, v1 :: v_dual_mov_b32 v1, 0
	s_wait_alu 0xfffe
	s_lshl_b64 s[2:3], s[2:3], 2
	s_wait_alu 0xfffe
	s_add_nc_u64 s[0:1], s[0:1], s[2:3]
	global_store_b32 v1, v0, s[0:1]
.LBB199_13:
	s_endpgm
	.section	.rodata,"a",@progbits
	.p2align	6, 0x0
	.amdhsa_kernel _ZL13mul_mat_vec_qIL9ggml_type18ELi4ELb0ELb0EEvPKvS2_PKi31ggml_cuda_mm_fusion_args_devicePfj15HIP_vector_typeIjLj3EEjjjS8_jjjS8_jjjj
		.amdhsa_group_segment_fixed_size 0
		.amdhsa_private_segment_fixed_size 0
		.amdhsa_kernarg_size 144
		.amdhsa_user_sgpr_count 2
		.amdhsa_user_sgpr_dispatch_ptr 0
		.amdhsa_user_sgpr_queue_ptr 0
		.amdhsa_user_sgpr_kernarg_segment_ptr 1
		.amdhsa_user_sgpr_dispatch_id 0
		.amdhsa_user_sgpr_private_segment_size 0
		.amdhsa_wavefront_size32 1
		.amdhsa_uses_dynamic_stack 0
		.amdhsa_enable_private_segment 0
		.amdhsa_system_sgpr_workgroup_id_x 1
		.amdhsa_system_sgpr_workgroup_id_y 1
		.amdhsa_system_sgpr_workgroup_id_z 1
		.amdhsa_system_sgpr_workgroup_info 0
		.amdhsa_system_vgpr_workitem_id 1
		.amdhsa_next_free_vgpr 95
		.amdhsa_next_free_sgpr 26
		.amdhsa_reserve_vcc 1
		.amdhsa_float_round_mode_32 0
		.amdhsa_float_round_mode_16_64 0
		.amdhsa_float_denorm_mode_32 3
		.amdhsa_float_denorm_mode_16_64 3
		.amdhsa_fp16_overflow 0
		.amdhsa_workgroup_processor_mode 1
		.amdhsa_memory_ordered 1
		.amdhsa_forward_progress 1
		.amdhsa_inst_pref_size 35
		.amdhsa_round_robin_scheduling 0
		.amdhsa_exception_fp_ieee_invalid_op 0
		.amdhsa_exception_fp_denorm_src 0
		.amdhsa_exception_fp_ieee_div_zero 0
		.amdhsa_exception_fp_ieee_overflow 0
		.amdhsa_exception_fp_ieee_underflow 0
		.amdhsa_exception_fp_ieee_inexact 0
		.amdhsa_exception_int_div_zero 0
	.end_amdhsa_kernel
	.section	.text._ZL13mul_mat_vec_qIL9ggml_type18ELi4ELb0ELb0EEvPKvS2_PKi31ggml_cuda_mm_fusion_args_devicePfj15HIP_vector_typeIjLj3EEjjjS8_jjjS8_jjjj,"axG",@progbits,_ZL13mul_mat_vec_qIL9ggml_type18ELi4ELb0ELb0EEvPKvS2_PKi31ggml_cuda_mm_fusion_args_devicePfj15HIP_vector_typeIjLj3EEjjjS8_jjjS8_jjjj,comdat
.Lfunc_end199:
	.size	_ZL13mul_mat_vec_qIL9ggml_type18ELi4ELb0ELb0EEvPKvS2_PKi31ggml_cuda_mm_fusion_args_devicePfj15HIP_vector_typeIjLj3EEjjjS8_jjjS8_jjjj, .Lfunc_end199-_ZL13mul_mat_vec_qIL9ggml_type18ELi4ELb0ELb0EEvPKvS2_PKi31ggml_cuda_mm_fusion_args_devicePfj15HIP_vector_typeIjLj3EEjjjS8_jjjS8_jjjj
                                        ; -- End function
	.set _ZL13mul_mat_vec_qIL9ggml_type18ELi4ELb0ELb0EEvPKvS2_PKi31ggml_cuda_mm_fusion_args_devicePfj15HIP_vector_typeIjLj3EEjjjS8_jjjS8_jjjj.num_vgpr, 95
	.set _ZL13mul_mat_vec_qIL9ggml_type18ELi4ELb0ELb0EEvPKvS2_PKi31ggml_cuda_mm_fusion_args_devicePfj15HIP_vector_typeIjLj3EEjjjS8_jjjS8_jjjj.num_agpr, 0
	.set _ZL13mul_mat_vec_qIL9ggml_type18ELi4ELb0ELb0EEvPKvS2_PKi31ggml_cuda_mm_fusion_args_devicePfj15HIP_vector_typeIjLj3EEjjjS8_jjjS8_jjjj.numbered_sgpr, 26
	.set _ZL13mul_mat_vec_qIL9ggml_type18ELi4ELb0ELb0EEvPKvS2_PKi31ggml_cuda_mm_fusion_args_devicePfj15HIP_vector_typeIjLj3EEjjjS8_jjjS8_jjjj.num_named_barrier, 0
	.set _ZL13mul_mat_vec_qIL9ggml_type18ELi4ELb0ELb0EEvPKvS2_PKi31ggml_cuda_mm_fusion_args_devicePfj15HIP_vector_typeIjLj3EEjjjS8_jjjS8_jjjj.private_seg_size, 0
	.set _ZL13mul_mat_vec_qIL9ggml_type18ELi4ELb0ELb0EEvPKvS2_PKi31ggml_cuda_mm_fusion_args_devicePfj15HIP_vector_typeIjLj3EEjjjS8_jjjS8_jjjj.uses_vcc, 1
	.set _ZL13mul_mat_vec_qIL9ggml_type18ELi4ELb0ELb0EEvPKvS2_PKi31ggml_cuda_mm_fusion_args_devicePfj15HIP_vector_typeIjLj3EEjjjS8_jjjS8_jjjj.uses_flat_scratch, 0
	.set _ZL13mul_mat_vec_qIL9ggml_type18ELi4ELb0ELb0EEvPKvS2_PKi31ggml_cuda_mm_fusion_args_devicePfj15HIP_vector_typeIjLj3EEjjjS8_jjjS8_jjjj.has_dyn_sized_stack, 0
	.set _ZL13mul_mat_vec_qIL9ggml_type18ELi4ELb0ELb0EEvPKvS2_PKi31ggml_cuda_mm_fusion_args_devicePfj15HIP_vector_typeIjLj3EEjjjS8_jjjS8_jjjj.has_recursion, 0
	.set _ZL13mul_mat_vec_qIL9ggml_type18ELi4ELb0ELb0EEvPKvS2_PKi31ggml_cuda_mm_fusion_args_devicePfj15HIP_vector_typeIjLj3EEjjjS8_jjjS8_jjjj.has_indirect_call, 0
	.section	.AMDGPU.csdata,"",@progbits
; Kernel info:
; codeLenInByte = 4456
; TotalNumSgprs: 28
; NumVgprs: 95
; ScratchSize: 0
; MemoryBound: 0
; FloatMode: 240
; IeeeMode: 1
; LDSByteSize: 0 bytes/workgroup (compile time only)
; SGPRBlocks: 0
; VGPRBlocks: 11
; NumSGPRsForWavesPerEU: 28
; NumVGPRsForWavesPerEU: 95
; Occupancy: 16
; WaveLimiterHint : 0
; COMPUTE_PGM_RSRC2:SCRATCH_EN: 0
; COMPUTE_PGM_RSRC2:USER_SGPR: 2
; COMPUTE_PGM_RSRC2:TRAP_HANDLER: 0
; COMPUTE_PGM_RSRC2:TGID_X_EN: 1
; COMPUTE_PGM_RSRC2:TGID_Y_EN: 1
; COMPUTE_PGM_RSRC2:TGID_Z_EN: 1
; COMPUTE_PGM_RSRC2:TIDIG_COMP_CNT: 1
	.section	.text._ZL13mul_mat_vec_qIL9ggml_type18ELi5ELb0ELb0EEvPKvS2_PKi31ggml_cuda_mm_fusion_args_devicePfj15HIP_vector_typeIjLj3EEjjjS8_jjjS8_jjjj,"axG",@progbits,_ZL13mul_mat_vec_qIL9ggml_type18ELi5ELb0ELb0EEvPKvS2_PKi31ggml_cuda_mm_fusion_args_devicePfj15HIP_vector_typeIjLj3EEjjjS8_jjjS8_jjjj,comdat
	.globl	_ZL13mul_mat_vec_qIL9ggml_type18ELi5ELb0ELb0EEvPKvS2_PKi31ggml_cuda_mm_fusion_args_devicePfj15HIP_vector_typeIjLj3EEjjjS8_jjjS8_jjjj ; -- Begin function _ZL13mul_mat_vec_qIL9ggml_type18ELi5ELb0ELb0EEvPKvS2_PKi31ggml_cuda_mm_fusion_args_devicePfj15HIP_vector_typeIjLj3EEjjjS8_jjjS8_jjjj
	.p2align	8
	.type	_ZL13mul_mat_vec_qIL9ggml_type18ELi5ELb0ELb0EEvPKvS2_PKi31ggml_cuda_mm_fusion_args_devicePfj15HIP_vector_typeIjLj3EEjjjS8_jjjS8_jjjj,@function
_ZL13mul_mat_vec_qIL9ggml_type18ELi5ELb0ELb0EEvPKvS2_PKi31ggml_cuda_mm_fusion_args_devicePfj15HIP_vector_typeIjLj3EEjjjS8_jjjS8_jjjj: ; @_ZL13mul_mat_vec_qIL9ggml_type18ELi5ELb0ELb0EEvPKvS2_PKi31ggml_cuda_mm_fusion_args_devicePfj15HIP_vector_typeIjLj3EEjjjS8_jjjS8_jjjj
; %bb.0:
	s_clause 0x5
	s_load_b96 s[16:18], s[0:1], 0x80
	s_load_b32 s2, s[0:1], 0x40
	s_load_b128 s[4:7], s[0:1], 0x50
	s_load_b32 s23, s[0:1], 0x60
	s_load_b128 s[8:11], s[0:1], 0x68
	s_load_b32 s24, s[0:1], 0x78
	v_bfe_u32 v13, v0, 10, 10
	v_dual_mov_b32 v9, 0 :: v_dual_and_b32 v10, 0x3ff, v0
	v_dual_mov_b32 v11, 0 :: v_dual_mov_b32 v12, 0
	v_mov_b32_e32 v14, 0
	s_delay_alu instid0(VALU_DEP_3)
	v_lshl_or_b32 v0, v13, 5, v10
	v_mov_b32_e32 v16, 0
	s_and_b32 s19, ttmp7, 0xffff
	s_lshr_b32 s20, ttmp7, 16
	s_mov_b32 s21, exec_lo
	v_lshrrev_b32_e32 v15, 3, v0
	s_wait_kmcnt 0x0
	s_lshr_b32 s22, s2, 8
	s_delay_alu instid0(VALU_DEP_1) | instid1(SALU_CYCLE_1)
	v_cmpx_gt_u32_e64 s22, v15
	s_cbranch_execz .LBB200_4
; %bb.1:
	v_lshl_add_u32 v0, v13, 5, v10
	s_mov_b32 s3, 0
	s_mul_i32 s26, s9, s19
	s_mov_b32 s27, s3
	v_dual_mov_b32 v9, 0 :: v_dual_lshlrev_b32 v2, 1, v10
	v_lshrrev_b32_e32 v0, 3, v0
	s_mul_u64 s[26:27], s[26:27], 36
	s_load_b128 s[12:15], s[0:1], 0x0
	s_mul_i32 s2, s17, s20
	v_dual_mov_b32 v12, 0 :: v_dual_and_b32 v3, 14, v2
	v_mad_co_u64_u32 v[0:1], null, 0x120, v0, s[26:27]
	v_and_b32_e32 v4, 7, v10
	s_delay_alu instid0(VALU_DEP_3) | instskip(SKIP_3) | instid1(VALU_DEP_3)
	v_dual_mov_b32 v14, 0 :: v_dual_lshlrev_b32 v11, 1, v3
	s_mul_hi_u32 s7, s7, s19
	s_mul_hi_u32 s11, s11, s20
	s_add_co_i32 s7, s19, s7
	v_mad_co_u64_u32 v[0:1], null, s2, 36, v[0:1]
	v_dual_mov_b32 v11, 0 :: v_dual_lshlrev_b32 v20, 1, v11
	s_mul_u64 s[28:29], s[2:3], 36
	s_add_co_i32 s9, s20, s11
	s_lshr_b32 s7, s7, s23
	v_lshlrev_b32_e32 v2, 3, v15
	s_delay_alu instid0(VALU_DEP_3)
	v_mad_co_u64_u32 v[0:1], null, v4, 36, v[0:1]
	s_lshr_b32 s11, s9, s24
	s_mul_i32 s7, s7, s8
	s_wait_kmcnt 0x0
	s_add_nc_u64 s[8:9], s[14:15], s[28:29]
	v_mad_co_u64_u32 v[6:7], null, s5, 3, v[2:3]
	s_add_nc_u64 s[8:9], s[8:9], s[26:27]
	v_add_co_u32 v0, vcc_lo, s14, v0
	s_delay_alu instid0(VALU_DEP_1) | instskip(SKIP_1) | instid1(VALU_DEP_3)
	v_add_co_ci_u32_e64 v1, null, s15, v1, vcc_lo
	v_mad_co_u64_u32 v[4:5], null, v4, 36, s[8:9]
	v_add_co_u32 v7, vcc_lo, v0, 16
	s_mul_i32 s4, s4, ttmp9
	v_dual_mov_b32 v16, 0 :: v_dual_add_nc_u32 v17, s5, v2
	v_lshl_add_u32 v18, s5, 2, v2
	v_lshl_add_u32 v19, s5, 1, v2
	s_wait_alu 0xfffd
	v_add_co_ci_u32_e64 v8, null, 0, v1, vcc_lo
	v_lshlrev_b32_e32 v21, 1, v3
	s_mul_i32 s2, s11, s16
	s_wait_alu 0xfffe
	s_add_co_i32 s7, s7, s4
	s_delay_alu instid0(SALU_CYCLE_1)
	s_add_co_i32 s7, s2, s7
.LBB200_2:                              ; =>This Inner Loop Header: Depth=1
	s_delay_alu instid0(SALU_CYCLE_1)
	v_add_nc_u32_e32 v26, s7, v15
	v_mad_co_u64_u32 v[30:31], null, v17, 36, v[4:5]
	s_clause 0x1
	global_load_b128 v[22:25], v[7:8], off offset:-16
	global_load_b128 v[0:3], v[7:8], off
	s_getpc_b64 s[4:5]
	s_wait_alu 0xfffe
	s_sext_i32_i16 s5, s5
	s_add_co_u32 s4, s4, _ZL11iq3xxs_grid@rel32@lo+12
	s_wait_alu 0xfffe
	s_add_co_ci_u32 s5, s5, _ZL11iq3xxs_grid@rel32@hi+24
	v_mad_co_i64_i32 v[34:35], null, 0x62, v26, s[12:13]
	v_mad_co_u64_u32 v[46:47], null, v19, 36, v[4:5]
	s_clause 0x2
	global_load_b32 v58, v[30:31], off offset:32
	global_load_b128 v[26:29], v[30:31], off
	global_load_b128 v[30:33], v[30:31], off offset:16
	v_mad_co_u64_u32 v[50:51], null, v6, 36, v[4:5]
	v_mad_co_u64_u32 v[54:55], null, v18, 36, v[4:5]
	v_add_co_u32 v36, vcc_lo, v34, v20
	s_wait_alu 0xfffd
	v_add_co_ci_u32_e64 v37, null, 0, v35, vcc_lo
	v_add_co_u32 v38, vcc_lo, v34, v21
	s_wait_alu 0xfffd
	v_add_co_ci_u32_e64 v39, null, 0, v35, vcc_lo
	s_clause 0x2
	global_load_b64 v[36:37], v[36:37], off offset:2
	global_load_b32 v59, v[38:39], off offset:66
	global_load_u16 v60, v[34:35], off
	v_add_nc_u32_e32 v15, 4, v15
	v_add_nc_u32_e32 v17, 32, v17
	;; [unrolled: 1-line block ×5, first 2 shown]
	s_wait_loadcnt 0x7
	v_cvt_f32_f16_e32 v22, v22
	s_wait_loadcnt 0x4
	v_cvt_f32_f16_e32 v26, v26
	s_wait_loadcnt 0x2
	v_lshrrev_b32_e32 v35, 6, v36
	v_lshrrev_b32_e32 v39, 14, v36
	s_wait_loadcnt 0x0
	v_cvt_f32_f16_e32 v60, v60
	v_and_b32_e32 v34, 0xff, v36
	v_lshrrev_b32_e32 v36, 22, v36
	v_and_b32_e32 v41, 0xff, v37
	v_lshrrev_b32_e32 v42, 6, v37
	v_lshrrev_b32_e32 v44, 14, v37
	;; [unrolled: 1-line block ×3, first 2 shown]
	v_lshlrev_b32_e32 v34, 2, v34
	v_dual_mul_f32 v26, v60, v26 :: v_dual_and_b32 v35, 0x3fc, v35
	v_and_b32_e32 v39, 0x3fc, v39
	v_and_b32_e32 v36, 0x3fc, v36
	v_lshlrev_b32_e32 v41, 2, v41
	v_and_b32_e32 v42, 0x3fc, v42
	v_and_b32_e32 v44, 0x3fc, v44
	;; [unrolled: 1-line block ×3, first 2 shown]
	s_clause 0x7
	global_load_b32 v34, v34, s[4:5]
	global_load_b32 v35, v35, s[4:5]
	;; [unrolled: 1-line block ×8, first 2 shown]
	v_and_b32_e32 v38, 0xff, v59
	v_bfe_u32 v40, v59, 7, 8
	v_bfe_u32 v45, v59, 21, 8
	;; [unrolled: 1-line block ×3, first 2 shown]
	v_lshrrev_b32_e32 v59, 28, v59
	v_bcnt_u32_b32 v48, v38, 0
	v_bcnt_u32_b32 v49, v40, 0
	;; [unrolled: 1-line block ×4, first 2 shown]
	global_load_b32 v94, v[46:47], off offset:32
	v_and_b32_e32 v36, 1, v48
	v_and_b32_e32 v37, 1, v49
	;; [unrolled: 1-line block ×4, first 2 shown]
	s_delay_alu instid0(VALU_DEP_4) | instskip(NEXT) | instid1(VALU_DEP_4)
	v_lshlrev_b32_e32 v36, 7, v36
	v_lshlrev_b32_e32 v37, 7, v37
	s_delay_alu instid0(VALU_DEP_4) | instskip(NEXT) | instid1(VALU_DEP_4)
	v_lshlrev_b32_e32 v49, 7, v49
	v_lshlrev_b32_e32 v48, 7, v48
	s_delay_alu instid0(VALU_DEP_4) | instskip(NEXT) | instid1(VALU_DEP_4)
	v_xor_b32_e32 v36, v36, v38
	v_xor_b32_e32 v37, v37, v40
	s_delay_alu instid0(VALU_DEP_4) | instskip(NEXT) | instid1(VALU_DEP_4)
	v_xor_b32_e32 v40, v49, v45
	v_xor_b32_e32 v38, v48, v43
	s_delay_alu instid0(VALU_DEP_4) | instskip(NEXT) | instid1(VALU_DEP_4)
	v_mul_lo_u32 v36, 0x1010101, v36
	v_mul_lo_u32 v37, 0x1010101, v37
	s_delay_alu instid0(VALU_DEP_4) | instskip(NEXT) | instid1(VALU_DEP_4)
	v_mul_lo_u32 v40, 0x1010101, v40
	v_mul_lo_u32 v38, 0x1010101, v38
	s_delay_alu instid0(VALU_DEP_4) | instskip(SKIP_1) | instid1(VALU_DEP_4)
	v_and_b32_e32 v43, 0x8040201, v36
	v_and_b32_e32 v49, 0x80402010, v36
	;; [unrolled: 1-line block ×3, first 2 shown]
	v_lshrrev_b32_e32 v68, 18, v40
	v_bfe_i32 v69, v40, 0, 1
	v_lshrrev_b16 v71, 8, v43
	v_and_b32_e32 v70, 0x80402010, v40
	v_lshrrev_b32_e32 v40, 22, v40
	v_lshrrev_b32_e32 v43, 24, v43
	v_lshrrev_b16 v73, 8, v49
	v_cmp_ne_u16_e32 vcc_lo, 0, v71
	v_lshrrev_b32_e32 v45, 18, v36
	v_bfe_i32 v87, v40, 0, 1
	v_bfe_i32 v48, v36, 0, 1
	v_lshrrev_b32_e32 v36, 22, v36
	s_wait_alu 0xfffd
	v_cndmask_b32_e64 v40, 0, -1, vcc_lo
	v_cmp_ne_u16_e32 vcc_lo, 0, v43
	v_and_b32_e32 v52, 0x8040201, v37
	v_lshrrev_b32_e32 v74, 24, v49
	v_bfe_i32 v75, v36, 0, 1
	v_and_b32_e32 v62, 0x80402010, v37
	s_wait_alu 0xfffd
	v_cndmask_b32_e64 v43, 0, -1, vcc_lo
	v_cmp_ne_u16_e32 vcc_lo, 0, v73
	v_lshrrev_b16 v36, 8, v52
	v_lshrrev_b32_e32 v52, 24, v52
	v_lshrrev_b16 v77, 8, v62
	v_lshrrev_b32_e32 v53, 18, v37
	s_wait_alu 0xfffd
	v_cndmask_b32_e64 v73, 0, -1, vcc_lo
	v_cmp_ne_u16_e32 vcc_lo, 0, v74
	v_bfe_i32 v61, v37, 0, 1
	v_lshrrev_b32_e32 v37, 22, v37
	v_and_b32_e32 v63, 0x8040201, v38
	v_lshrrev_b32_e32 v78, 24, v62
	s_wait_alu 0xfffd
	v_cndmask_b32_e64 v74, 0, -1, vcc_lo
	v_cmp_ne_u16_e32 vcc_lo, 0, v36
	v_bfe_i32 v79, v37, 0, 1
	v_lshrrev_b16 v37, 8, v63
	v_and_b32_e32 v72, 0xff, v48
	v_lshrrev_b32_e32 v63, 24, v63
	s_wait_alu 0xfffd
	v_cndmask_b32_e64 v36, 0, -1, vcc_lo
	v_cmp_ne_u16_e32 vcc_lo, 0, v52
	v_lshlrev_b16 v93, 8, v40
	v_lshrrev_b32_e32 v64, 18, v38
	v_and_b32_e32 v66, 0x80402010, v38
	v_bfe_i32 v53, v53, 0, 1
	s_wait_alu 0xfffd
	v_cndmask_b32_e64 v52, 0, -1, vcc_lo
	v_cmp_ne_u16_e32 vcc_lo, 0, v77
	v_and_b32_e32 v88, 0xff, v75
	v_or_b32_e32 v40, v72, v93
	v_lshlrev_b16 v72, 8, v73
	v_lshlrev_b16 v73, 8, v74
	s_wait_alu 0xfffd
	v_cndmask_b32_e64 v77, 0, -1, vcc_lo
	v_cmp_ne_u16_e32 vcc_lo, 0, v78
	v_bfe_i32 v65, v38, 0, 1
	v_bfe_i32 v45, v45, 0, 1
	v_and_b32_e32 v76, 0xff, v61
	v_bfe_i32 v64, v64, 0, 1
	s_wait_alu 0xfffd
	v_cndmask_b32_e64 v78, 0, -1, vcc_lo
	v_cmp_ne_u16_e32 vcc_lo, 0, v37
	v_lshrrev_b16 v81, 8, v66
	v_and_b32_e32 v89, 0xff, v53
	v_and_b32_e32 v90, 0xff, v79
	v_or_b32_e32 v74, v88, v73
	s_wait_alu 0xfffd
	v_cndmask_b32_e64 v37, 0, -1, vcc_lo
	v_cmp_ne_u16_e32 vcc_lo, 0, v63
	v_lshlrev_b16 v88, 8, v36
	v_lshlrev_b16 v52, 8, v52
	;; [unrolled: 1-line block ×3, first 2 shown]
	v_lshrrev_b32_e32 v38, 22, v38
	s_wait_alu 0xfffd
	v_cndmask_b32_e64 v63, 0, -1, vcc_lo
	v_lshrrev_b16 v62, 4, v62
	v_and_b32_e32 v80, 0xff, v65
	v_lshrrev_b32_e32 v82, 24, v66
	v_and_b32_e32 v71, 0xff, v45
	v_and_b32_e32 v91, 0xff, v64
	v_cmp_ne_u16_e32 vcc_lo, 0, v81
	v_lshlrev_b16 v43, 8, v43
	v_or_b32_e32 v36, v76, v88
	v_or_b32_e32 v76, v89, v52
	;; [unrolled: 1-line block ×3, first 2 shown]
	v_lshlrev_b16 v90, 8, v37
	v_lshlrev_b16 v63, 8, v63
	v_lshrrev_b16 v49, 4, v49
	v_lshrrev_b16 v66, 4, v66
	v_bfe_i32 v83, v38, 0, 1
	v_lshrrev_b16 v38, 8, v67
	v_bfe_i32 v62, v62, 0, 1
	s_wait_alu 0xfffd
	v_cndmask_b32_e64 v81, 0, -1, vcc_lo
	v_cmp_ne_u16_e32 vcc_lo, 0, v82
	v_or_b32_e32 v71, v71, v43
	v_and_b32_e32 v36, 0xffff, v36
	v_lshlrev_b32_e32 v76, 16, v76
	v_or_b32_e32 v37, v80, v90
	v_or_b32_e32 v80, v91, v63
	v_lshrrev_b32_e32 v67, 24, v67
	v_bfe_i32 v49, v49, 0, 1
	v_bfe_i32 v66, v66, 0, 1
	s_wait_alu 0xfffd
	v_cndmask_b32_e64 v82, 0, -1, vcc_lo
	v_cmp_ne_u16_e32 vcc_lo, 0, v38
	v_and_b32_e32 v40, 0xffff, v40
	v_lshlrev_b32_e32 v71, 16, v71
	v_or_b32_e32 v76, v36, v76
	v_and_b32_e32 v36, 0xff, v62
	v_lshlrev_b16 v77, 8, v77
	v_and_b32_e32 v37, 0xffff, v37
	v_lshlrev_b32_e32 v80, 16, v80
	v_lshrrev_b16 v85, 8, v70
	v_lshrrev_b32_e32 v86, 24, v70
	v_and_b32_e32 v92, 0xff, v83
	s_wait_alu 0xfffd
	v_cndmask_b32_e64 v38, 0, -1, vcc_lo
	v_cmp_ne_u16_e64 s2, 0, v67
	v_or_b32_e32 v40, v40, v71
	v_and_b32_e32 v71, 0xff, v49
	v_or_b32_e32 v36, v36, v77
	v_or_b32_e32 v80, v37, v80
	v_and_b32_e32 v37, 0xff, v66
	v_lshlrev_b16 v81, 8, v81
	v_lshlrev_b16 v82, 8, v82
	v_lshrrev_b16 v70, 4, v70
	v_cmp_ne_u16_e32 vcc_lo, 0, v86
	s_wait_alu 0xf1ff
	v_cndmask_b32_e64 v67, 0, -1, s2
	v_cmp_ne_u16_e64 s2, 0, v85
	v_or_b32_e32 v71, v71, v72
	v_and_b32_e32 v36, 0xffff, v36
	v_lshlrev_b32_e32 v89, 16, v89
	v_lshlrev_b16 v91, 8, v38
	v_or_b32_e32 v37, v37, v81
	v_or_b32_e32 v38, v92, v82
	v_bfe_i32 v68, v68, 0, 1
	v_bfe_i32 v70, v70, 0, 1
	s_wait_alu 0xf1ff
	v_cndmask_b32_e64 v85, 0, -1, s2
	v_and_b32_e32 v71, 0xffff, v71
	v_lshlrev_b32_e32 v74, 16, v74
	v_or_b32_e32 v89, v36, v89
	s_wait_alu 0xfffd
	v_cndmask_b32_e64 v36, 0, -1, vcc_lo
	v_and_b32_e32 v37, 0xffff, v37
	v_lshlrev_b32_e32 v38, 16, v38
	v_and_b32_e32 v84, 0xff, v69
	v_and_b32_e32 v86, 0xff, v68
	v_or_b32_e32 v71, v71, v74
	v_and_b32_e32 v74, 0xff, v87
	v_lshlrev_b16 v67, 8, v67
	v_or_b32_e32 v38, v37, v38
	v_and_b32_e32 v37, 0xff, v70
	v_lshlrev_b16 v85, 8, v85
	v_lshlrev_b16 v92, 8, v36
	v_or_b32_e32 v36, v84, v91
	v_or_b32_e32 v84, v86, v67
	v_lshlrev_b16 v49, 8, v49
	v_or_b32_e32 v37, v37, v85
	v_or_b32_e32 v74, v74, v92
	v_and_b32_e32 v36, 0xffff, v36
	v_lshlrev_b32_e32 v84, 16, v84
	v_lshlrev_b16 v62, 8, v62
	v_and_b32_e32 v37, 0xffff, v37
	v_lshlrev_b32_e32 v74, 16, v74
	v_lshlrev_b16 v68, 8, v68
	v_or_b32_e32 v84, v36, v84
	s_delay_alu instid0(VALU_DEP_3)
	v_or_b32_e32 v74, v37, v74
	s_wait_loadcnt 0x8
	v_xor_b32_e32 v86, v34, v40
	s_wait_loadcnt 0x7
	v_xor_b32_e32 v71, v35, v71
	;; [unrolled: 2-line block ×7, first 2 shown]
	v_lshlrev_b16 v42, 8, v48
	v_lshlrev_b16 v44, 8, v61
	;; [unrolled: 1-line block ×6, first 2 shown]
	s_wait_loadcnt 0x1
	v_xor_b32_e32 v69, v57, v74
	v_lshlrev_b16 v70, 8, v86
	v_lshlrev_b16 v74, 8, v76
	v_and_b32_e32 v57, 0xffffff00, v86
	s_clause 0x1
	global_load_b128 v[34:37], v[46:47], off
	global_load_b128 v[38:41], v[50:51], off
	v_sub_nc_i16 v42, v70, v42 clamp
	v_and_b32_e32 v70, 0xffffff00, v71
	v_sub_nc_i16 v74, v74, v44 clamp
	v_and_b32_e32 v44, 0xffffff00, v56
	v_sub_nc_i16 v57, v57, v93 clamp
	global_load_b32 v93, v[50:51], off offset:32
	v_sub_nc_i16 v70, v70, v72 clamp
	v_lshlrev_b16 v72, 8, v71
	v_sub_nc_i16 v77, v44, v77 clamp
	v_lshlrev_b16 v44, 8, v56
	v_lshrrev_b32_e32 v71, 16, v71
	s_delay_alu instid0(VALU_DEP_4) | instskip(SKIP_1) | instid1(VALU_DEP_4)
	v_sub_nc_i16 v49, v72, v49 clamp
	v_and_b32_e32 v72, 0xffffff00, v76
	v_sub_nc_i16 v62, v44, v62 clamp
	v_and_b32_e32 v44, 0xffffff00, v80
	s_delay_alu instid0(VALU_DEP_4) | instskip(NEXT) | instid1(VALU_DEP_4)
	v_perm_b32 v70, v49, v70, 0xc0c0105
	v_sub_nc_i16 v72, v72, v88 clamp
	v_lshrrev_b32_e32 v49, 16, v76
	s_delay_alu instid0(VALU_DEP_4) | instskip(SKIP_3) | instid1(VALU_DEP_3)
	v_sub_nc_i16 v88, v44, v90 clamp
	v_lshlrev_b16 v44, 8, v80
	v_perm_b32 v62, v62, v77, 0xc0c0105
	v_perm_b32 v72, v74, v72, 0xc0c0105
	v_sub_nc_i16 v90, v44, v48 clamp
	v_and_b32_e32 v44, 0xffffff00, v89
	v_lshrrev_b32_e32 v48, 16, v86
	s_delay_alu instid0(VALU_DEP_2) | instskip(SKIP_1) | instid1(VALU_DEP_1)
	v_sub_nc_i16 v81, v44, v81 clamp
	v_lshlrev_b16 v44, 8, v89
	v_sub_nc_i16 v65, v44, v65 clamp
	v_and_b32_e32 v44, 0xffffff00, v84
	s_delay_alu instid0(VALU_DEP_2) | instskip(NEXT) | instid1(VALU_DEP_2)
	v_perm_b32 v65, v65, v81, 0xc0c0105
	v_sub_nc_i16 v91, v44, v91 clamp
	v_lshlrev_b16 v44, 8, v84
	s_delay_alu instid0(VALU_DEP_1) | instskip(SKIP_1) | instid1(VALU_DEP_2)
	v_sub_nc_i16 v61, v44, v61 clamp
	v_and_b32_e32 v44, 0xffffff00, v69
	v_perm_b32 v61, v61, v91, 0xc0c0105
	s_delay_alu instid0(VALU_DEP_2) | instskip(SKIP_2) | instid1(VALU_DEP_2)
	v_sub_nc_i16 v85, v44, v85 clamp
	v_lshlrev_b16 v44, 8, v69
	v_lshrrev_b32_e32 v69, 16, v69
	v_sub_nc_i16 v66, v44, v66 clamp
	v_lshlrev_b16 v44, 8, v45
	v_lshlrev_b16 v45, 8, v75
	v_perm_b32 v75, v42, v57, 0xc0c0105
	v_and_b32_e32 v42, 0xffffff00, v48
	v_lshlrev_b16 v48, 8, v48
	v_perm_b32 v66, v66, v85, 0xc0c0105
	s_delay_alu instid0(VALU_DEP_3)
	v_sub_nc_i16 v86, v42, v43 clamp
	v_and_b32_e32 v42, 0xffffff00, v71
	v_lshlrev_b16 v43, 8, v71
	v_sub_nc_i16 v71, v48, v44 clamp
	v_lshlrev_b16 v48, 8, v53
	v_and_b32_e32 v53, 0xffffff00, v49
	v_sub_nc_i16 v73, v42, v73 clamp
	v_sub_nc_i16 v95, v43, v45 clamp
	global_load_b128 v[42:45], v[54:55], off
	v_lshlrev_b16 v49, 8, v49
	v_sub_nc_i16 v74, v53, v52 clamp
	v_lshrrev_b32_e32 v53, 16, v56
	v_lshlrev_b16 v52, 8, v79
	v_perm_b32 v79, v90, v88, 0xc0c0105
	v_sub_nc_i16 v76, v49, v48 clamp
	v_perm_b32 v71, v71, v86, 0xc0c0105
	v_and_b32_e32 v56, 0xffffff00, v53
	v_lshlrev_b16 v53, 8, v53
	s_delay_alu instid0(VALU_DEP_2) | instskip(SKIP_1) | instid1(VALU_DEP_3)
	v_sub_nc_i16 v77, v56, v78 clamp
	v_lshrrev_b32_e32 v56, 16, v80
	v_sub_nc_i16 v78, v53, v52 clamp
	s_clause 0x2
	global_load_b32 v80, v[54:55], off offset:32
	global_load_b128 v[46:49], v[46:47], off offset:16
	global_load_b128 v[50:53], v[50:51], off offset:16
	v_and_b32_e32 v57, 0xffffff00, v56
	v_lshlrev_b16 v56, 8, v56
	s_delay_alu instid0(VALU_DEP_2) | instskip(SKIP_2) | instid1(VALU_DEP_2)
	v_sub_nc_i16 v63, v57, v63 clamp
	v_lshlrev_b16 v57, 8, v64
	v_lshrrev_b32_e32 v64, 16, v89
	v_sub_nc_i16 v88, v56, v57 clamp
	s_delay_alu instid0(VALU_DEP_2) | instskip(SKIP_1) | instid1(VALU_DEP_3)
	v_and_b32_e32 v56, 0xffffff00, v64
	v_lshlrev_b16 v64, 8, v64
	v_perm_b32 v63, v88, v63, 0xc0c0105
	s_delay_alu instid0(VALU_DEP_3) | instskip(SKIP_4) | instid1(VALU_DEP_3)
	v_sub_nc_i16 v81, v56, v82 clamp
	global_load_b128 v[54:57], v[54:55], off offset:16
	v_lshlrev_b16 v82, 8, v83
	v_lshrrev_b32_e32 v83, 16, v84
	v_lshl_or_b32 v63, v63, 16, v79
	v_sub_nc_i16 v64, v64, v82 clamp
	global_load_b32 v82, v[7:8], off offset:16
	v_and_b32_e32 v84, 0xffffff00, v83
	v_lshlrev_b16 v83, 8, v83
	v_add_co_u32 v7, vcc_lo, 0x480, v7
	v_perm_b32 v64, v64, v81, 0xc0c0105
	s_delay_alu instid0(VALU_DEP_4) | instskip(NEXT) | instid1(VALU_DEP_4)
	v_sub_nc_i16 v67, v84, v67 clamp
	v_sub_nc_i16 v68, v83, v68 clamp
	v_and_b32_e32 v83, 0xffffff00, v69
	v_lshlrev_b16 v84, 8, v87
	v_lshlrev_b16 v69, 8, v69
	v_lshl_or_b32 v64, v64, 16, v65
	v_perm_b32 v67, v68, v67, 0xc0c0105
	v_sub_nc_i16 v83, v83, v92 clamp
	s_wait_alu 0xfffd
	v_add_co_ci_u32_e64 v8, null, 0, v8, vcc_lo
	v_sub_nc_i16 v69, v69, v84 clamp
	v_mul_f32_e32 v84, v60, v22
	v_perm_b32 v22, v95, v73, 0xc0c0105
	v_perm_b32 v73, v76, v74, 0xc0c0105
	;; [unrolled: 1-line block ×4, first 2 shown]
	v_lshl_or_b32 v69, v71, 16, v75
	v_lshl_or_b32 v22, v22, 16, v70
	;; [unrolled: 1-line block ×5, first 2 shown]
	v_dot4_i32_iu8 v23, v69, v23, 0 neg_lo:[1,1,0]
	v_dot4_i32_iu8 v27, v69, v27, 0 neg_lo:[1,1,0]
	v_lshl_or_b32 v65, v68, 16, v66
	v_cmp_le_u32_e32 vcc_lo, s22, v15
	s_delay_alu instid0(VALU_DEP_4) | instskip(NEXT) | instid1(VALU_DEP_4)
	v_dot4_i32_iu8 v23, v22, v24, v23 neg_lo:[1,1,0]
	v_dot4_i32_iu8 v24, v22, v28, v27 neg_lo:[1,1,0]
	s_or_b32 s3, vcc_lo, s3
	s_delay_alu instid0(VALU_DEP_2) | instskip(NEXT) | instid1(VALU_DEP_2)
	v_dot4_i32_iu8 v23, v70, v25, v23 neg_lo:[1,1,0]
	v_dot4_i32_iu8 v24, v70, v29, v24 neg_lo:[1,1,0]
	s_delay_alu instid0(VALU_DEP_2) | instskip(NEXT) | instid1(VALU_DEP_2)
	v_dot4_i32_iu8 v0, v62, v0, v23 neg_lo:[1,1,0]
	v_dot4_i32_iu8 v23, v62, v30, v24 neg_lo:[1,1,0]
	s_delay_alu instid0(VALU_DEP_2) | instskip(NEXT) | instid1(VALU_DEP_2)
	v_dot4_i32_iu8 v0, v63, v1, v0 neg_lo:[1,1,0]
	v_dot4_i32_iu8 v1, v63, v31, v23 neg_lo:[1,1,0]
	s_delay_alu instid0(VALU_DEP_2) | instskip(NEXT) | instid1(VALU_DEP_2)
	v_dot4_i32_iu8 v0, v64, v2, v0 neg_lo:[1,1,0]
	v_dot4_i32_iu8 v1, v64, v32, v1 neg_lo:[1,1,0]
	s_delay_alu instid0(VALU_DEP_2) | instskip(NEXT) | instid1(VALU_DEP_2)
	v_dot4_i32_iu8 v0, v61, v3, v0 neg_lo:[1,1,0]
	v_dot4_i32_iu8 v1, v61, v33, v1 neg_lo:[1,1,0]
	s_wait_loadcnt 0x8
	v_dot4_i32_iu8 v35, v69, v35, 0 neg_lo:[1,1,0]
	s_wait_loadcnt 0x7
	v_dot4_i32_iu8 v39, v69, v39, 0 neg_lo:[1,1,0]
	v_cvt_f32_f16_e32 v34, v34
	v_cvt_f32_f16_e32 v38, v38
	v_dot4_i32_iu8 v27, v22, v36, v35 neg_lo:[1,1,0]
	s_delay_alu instid0(VALU_DEP_4) | instskip(NEXT) | instid1(VALU_DEP_2)
	v_dot4_i32_iu8 v28, v22, v40, v39 neg_lo:[1,1,0]
	v_dot4_i32_iu8 v25, v70, v37, v27 neg_lo:[1,1,0]
	s_delay_alu instid0(VALU_DEP_2) | instskip(SKIP_3) | instid1(VALU_DEP_2)
	v_dot4_i32_iu8 v27, v70, v41, v28 neg_lo:[1,1,0]
	s_wait_loadcnt 0x5
	v_dot4_i32_iu8 v43, v69, v43, 0 neg_lo:[1,1,0]
	v_cvt_f32_f16_e32 v42, v42
	v_dot4_i32_iu8 v22, v22, v44, v43 neg_lo:[1,1,0]
	s_delay_alu instid0(VALU_DEP_1) | instskip(SKIP_4) | instid1(VALU_DEP_2)
	v_dot4_i32_iu8 v22, v70, v45, v22 neg_lo:[1,1,0]
	s_wait_loadcnt 0x3
	v_dot4_i32_iu8 v24, v62, v46, v25 neg_lo:[1,1,0]
	s_wait_loadcnt 0x2
	v_dot4_i32_iu8 v25, v62, v50, v27 neg_lo:[1,1,0]
	v_dot4_i32_iu8 v23, v63, v47, v24 neg_lo:[1,1,0]
	s_delay_alu instid0(VALU_DEP_2) | instskip(SKIP_1) | instid1(VALU_DEP_3)
	v_dot4_i32_iu8 v24, v63, v51, v25 neg_lo:[1,1,0]
	v_dot4_i32_iu8 v25, v65, v58, v1 neg_lo:[1,1,0]
	;; [unrolled: 1-line block ×3, first 2 shown]
	s_delay_alu instid0(VALU_DEP_3) | instskip(NEXT) | instid1(VALU_DEP_3)
	v_dot4_i32_iu8 v23, v64, v52, v24 neg_lo:[1,1,0]
	v_lshrrev_b32_e32 v1, 31, v25
	s_delay_alu instid0(VALU_DEP_3) | instskip(NEXT) | instid1(VALU_DEP_3)
	v_dot4_i32_iu8 v2, v61, v49, v2 neg_lo:[1,1,0]
	v_dot4_i32_iu8 v3, v61, v53, v23 neg_lo:[1,1,0]
	s_delay_alu instid0(VALU_DEP_3)
	v_add_nc_u32_e32 v1, v25, v1
	s_wait_loadcnt 0x1
	v_dot4_i32_iu8 v22, v62, v54, v22 neg_lo:[1,1,0]
	v_dot4_i32_iu8 v27, v65, v94, v2 neg_lo:[1,1,0]
	;; [unrolled: 1-line block ×3, first 2 shown]
	v_ashrrev_i32_e32 v1, 1, v1
	s_delay_alu instid0(VALU_DEP_4) | instskip(NEXT) | instid1(VALU_DEP_4)
	v_dot4_i32_iu8 v22, v63, v55, v22 neg_lo:[1,1,0]
	v_lshrrev_b32_e32 v2, 31, v27
	s_wait_loadcnt 0x0
	v_dot4_i32_iu8 v23, v65, v82, v0 neg_lo:[1,1,0]
	v_lshrrev_b32_e32 v3, 31, v28
	v_dot4_i32_iu8 v22, v64, v56, v22 neg_lo:[1,1,0]
	v_add_nc_u32_e32 v2, v27, v2
	s_delay_alu instid0(VALU_DEP_4) | instskip(NEXT) | instid1(VALU_DEP_4)
	v_lshrrev_b32_e32 v0, 31, v23
	v_add_nc_u32_e32 v3, v28, v3
	s_delay_alu instid0(VALU_DEP_4) | instskip(NEXT) | instid1(VALU_DEP_4)
	v_dot4_i32_iu8 v22, v61, v57, v22 neg_lo:[1,1,0]
	v_ashrrev_i32_e32 v2, 1, v2
	s_delay_alu instid0(VALU_DEP_4) | instskip(NEXT) | instid1(VALU_DEP_4)
	v_add_nc_u32_e32 v0, v23, v0
	v_ashrrev_i32_e32 v3, 1, v3
	s_delay_alu instid0(VALU_DEP_4) | instskip(NEXT) | instid1(VALU_DEP_3)
	v_dot4_i32_iu8 v29, v65, v80, v22 neg_lo:[1,1,0]
	v_ashrrev_i32_e32 v0, 1, v0
	s_delay_alu instid0(VALU_DEP_2) | instskip(NEXT) | instid1(VALU_DEP_2)
	v_lshrrev_b32_e32 v22, 31, v29
	v_mad_co_u64_u32 v[23:24], null, v23, v59, v[0:1]
	v_mad_co_u64_u32 v[0:1], null, v25, v59, v[1:2]
	s_delay_alu instid0(VALU_DEP_3) | instskip(SKIP_2) | instid1(VALU_DEP_3)
	v_add_nc_u32_e32 v22, v29, v22
	v_mad_co_u64_u32 v[1:2], null, v27, v59, v[2:3]
	v_mad_co_u64_u32 v[2:3], null, v28, v59, v[3:4]
	v_ashrrev_i32_e32 v22, 1, v22
	v_lshrrev_b32_e32 v27, 31, v23
	v_lshrrev_b32_e32 v28, 31, v0
	v_mul_f32_e32 v3, v60, v34
	s_delay_alu instid0(VALU_DEP_4) | instskip(SKIP_4) | instid1(VALU_DEP_4)
	v_mad_co_u64_u32 v[24:25], null, v29, v59, v[22:23]
	v_lshrrev_b32_e32 v29, 31, v1
	v_lshrrev_b32_e32 v30, 31, v2
	v_add_nc_u32_e32 v23, v23, v27
	v_add_nc_u32_e32 v0, v0, v28
	v_dual_mul_f32 v22, v60, v38 :: v_dual_add_nc_u32 v1, v1, v29
	v_lshrrev_b32_e32 v31, 31, v24
	v_add_nc_u32_e32 v2, v2, v30
	v_ashrrev_i32_e32 v23, 1, v23
	v_ashrrev_i32_e32 v0, 1, v0
	;; [unrolled: 1-line block ×3, first 2 shown]
	v_add_nc_u32_e32 v24, v24, v31
	v_ashrrev_i32_e32 v2, 1, v2
	v_mul_f32_e32 v25, v60, v42
	v_cvt_f32_i32_e32 v23, v23
	v_cvt_f32_i32_e32 v0, v0
	v_ashrrev_i32_e32 v24, 1, v24
	v_cvt_f32_i32_e32 v1, v1
	v_cvt_f32_i32_e32 v2, v2
	v_fmac_f32_e32 v16, v84, v23
	v_fmac_f32_e32 v14, v26, v0
	v_cvt_f32_i32_e32 v24, v24
	s_delay_alu instid0(VALU_DEP_4) | instskip(NEXT) | instid1(VALU_DEP_2)
	v_dual_fmac_f32 v12, v3, v1 :: v_dual_fmac_f32 v11, v22, v2
	v_fmac_f32_e32 v9, v25, v24
	s_wait_alu 0xfffe
	s_and_not1_b32 exec_lo, exec_lo, s3
	s_cbranch_execnz .LBB200_2
; %bb.3:
	s_or_b32 exec_lo, exec_lo, s3
.LBB200_4:
	s_delay_alu instid0(SALU_CYCLE_1)
	s_or_b32 exec_lo, exec_lo, s21
	s_mov_b32 s3, 0
	; wave barrier
	global_inv scope:SCOPE_SE
	s_mov_b32 s2, exec_lo
	v_cmpx_eq_u32_e32 0, v13
	s_cbranch_execz .LBB200_15
; %bb.5:
	v_mbcnt_lo_u32_b32 v4, -1, 0
	s_load_b64 s[0:1], s[0:1], 0x38
	s_mul_i32 s2, s10, s19
	s_mul_i32 s4, s18, s20
	s_wait_alu 0xfffe
	s_add_co_i32 s2, s2, ttmp9
	v_xor_b32_e32 v0, 16, v4
	v_xor_b32_e32 v1, 8, v4
	;; [unrolled: 1-line block ×3, first 2 shown]
	s_wait_alu 0xfffe
	s_add_co_i32 s2, s2, s4
	s_wait_alu 0xfffe
	s_lshl_b64 s[2:3], s[2:3], 2
	v_cmp_gt_i32_e32 vcc_lo, 32, v0
	s_wait_alu 0xfffd
	v_cndmask_b32_e32 v0, v4, v0, vcc_lo
	v_cmp_gt_i32_e32 vcc_lo, 32, v1
	s_wait_kmcnt 0x0
	s_wait_alu 0xfffe
	s_add_nc_u64 s[0:1], s[0:1], s[2:3]
	s_wait_alu 0xfffd
	v_cndmask_b32_e32 v1, v4, v1, vcc_lo
	s_delay_alu instid0(VALU_DEP_1)
	v_lshlrev_b32_e32 v1, 2, v1
	v_lshlrev_b32_e32 v0, 2, v0
	ds_bpermute_b32 v2, v0, v16
	s_wait_dscnt 0x0
	v_add_f32_e32 v3, v16, v2
	v_xor_b32_e32 v2, 4, v4
	ds_bpermute_b32 v5, v1, v3
	v_cmp_gt_i32_e32 vcc_lo, 32, v2
	s_wait_dscnt 0x0
	s_wait_alu 0xfffd
	v_dual_cndmask_b32 v2, v4, v2 :: v_dual_add_f32 v5, v3, v5
	s_delay_alu instid0(VALU_DEP_1)
	v_lshlrev_b32_e32 v2, 2, v2
	v_xor_b32_e32 v3, 2, v4
	ds_bpermute_b32 v6, v2, v5
	v_cmp_gt_i32_e32 vcc_lo, 32, v3
	s_wait_alu 0xfffd
	v_cndmask_b32_e32 v3, v4, v3, vcc_lo
	v_cmp_gt_i32_e32 vcc_lo, 32, v7
	s_wait_alu 0xfffd
	v_cndmask_b32_e32 v4, v4, v7, vcc_lo
	v_cmp_eq_u32_e32 vcc_lo, 0, v10
	s_delay_alu instid0(VALU_DEP_2)
	v_lshlrev_b32_e32 v4, 2, v4
	v_lshlrev_b32_e32 v3, 2, v3
	s_wait_dscnt 0x0
	v_add_f32_e32 v5, v5, v6
	ds_bpermute_b32 v6, v3, v5
	s_wait_dscnt 0x0
	v_add_f32_e32 v5, v5, v6
	ds_bpermute_b32 v6, v4, v5
	s_and_saveexec_b32 s2, vcc_lo
	s_cbranch_execz .LBB200_7
; %bb.6:
	s_wait_dscnt 0x0
	v_dual_add_f32 v5, v5, v6 :: v_dual_mov_b32 v6, 0
	global_store_b32 v6, v5, s[0:1]
.LBB200_7:
	s_wait_alu 0xfffe
	s_or_b32 exec_lo, exec_lo, s2
	ds_bpermute_b32 v5, v0, v14
	s_wait_dscnt 0x0
	v_add_f32_e32 v5, v14, v5
	ds_bpermute_b32 v6, v1, v5
	s_wait_dscnt 0x0
	v_add_f32_e32 v5, v5, v6
	ds_bpermute_b32 v6, v2, v5
	s_wait_dscnt 0x0
	v_add_f32_e32 v5, v5, v6
	ds_bpermute_b32 v6, v3, v5
	s_wait_dscnt 0x0
	v_add_f32_e32 v5, v5, v6
	ds_bpermute_b32 v6, v4, v5
	s_and_saveexec_b32 s2, vcc_lo
	s_cbranch_execz .LBB200_9
; %bb.8:
	s_mov_b32 s7, 0
	s_wait_dscnt 0x0
	v_dual_add_f32 v5, v5, v6 :: v_dual_mov_b32 v6, 0
	s_wait_alu 0xfffe
	s_lshl_b64 s[4:5], s[6:7], 2
	s_wait_alu 0xfffe
	s_add_nc_u64 s[4:5], s[0:1], s[4:5]
	global_store_b32 v6, v5, s[4:5]
.LBB200_9:
	s_wait_alu 0xfffe
	s_or_b32 exec_lo, exec_lo, s2
	ds_bpermute_b32 v5, v0, v12
	s_wait_dscnt 0x0
	v_add_f32_e32 v5, v12, v5
	ds_bpermute_b32 v6, v1, v5
	s_wait_dscnt 0x0
	v_add_f32_e32 v5, v5, v6
	;; [unrolled: 3-line block ×4, first 2 shown]
	ds_bpermute_b32 v6, v4, v5
	s_and_saveexec_b32 s2, vcc_lo
	s_cbranch_execz .LBB200_11
; %bb.10:
	s_lshl_b32 s4, s6, 1
	s_mov_b32 s5, 0
	s_wait_dscnt 0x0
	v_dual_add_f32 v5, v5, v6 :: v_dual_mov_b32 v6, 0
	s_wait_alu 0xfffe
	s_lshl_b64 s[4:5], s[4:5], 2
	s_wait_alu 0xfffe
	s_add_nc_u64 s[4:5], s[0:1], s[4:5]
	global_store_b32 v6, v5, s[4:5]
.LBB200_11:
	s_wait_alu 0xfffe
	s_or_b32 exec_lo, exec_lo, s2
	ds_bpermute_b32 v5, v0, v11
	s_wait_dscnt 0x0
	v_add_f32_e32 v5, v11, v5
	ds_bpermute_b32 v6, v1, v5
	s_wait_dscnt 0x0
	v_add_f32_e32 v5, v5, v6
	;; [unrolled: 3-line block ×4, first 2 shown]
	ds_bpermute_b32 v6, v4, v5
	s_and_saveexec_b32 s2, vcc_lo
	s_cbranch_execz .LBB200_13
; %bb.12:
	s_mul_i32 s4, s6, 3
	s_mov_b32 s5, 0
	s_wait_dscnt 0x0
	v_dual_add_f32 v5, v5, v6 :: v_dual_mov_b32 v6, 0
	s_wait_alu 0xfffe
	s_lshl_b64 s[4:5], s[4:5], 2
	s_wait_alu 0xfffe
	s_add_nc_u64 s[4:5], s[0:1], s[4:5]
	global_store_b32 v6, v5, s[4:5]
.LBB200_13:
	s_wait_alu 0xfffe
	s_or_b32 exec_lo, exec_lo, s2
	ds_bpermute_b32 v0, v0, v9
	s_wait_dscnt 0x0
	v_add_f32_e32 v0, v9, v0
	ds_bpermute_b32 v1, v1, v0
	s_wait_dscnt 0x0
	v_add_f32_e32 v0, v0, v1
	;; [unrolled: 3-line block ×4, first 2 shown]
	ds_bpermute_b32 v1, v4, v0
	s_and_b32 exec_lo, exec_lo, vcc_lo
	s_cbranch_execz .LBB200_15
; %bb.14:
	s_lshl_b32 s2, s6, 2
	s_mov_b32 s3, 0
	s_wait_dscnt 0x0
	v_dual_add_f32 v0, v0, v1 :: v_dual_mov_b32 v1, 0
	s_wait_alu 0xfffe
	s_lshl_b64 s[2:3], s[2:3], 2
	s_wait_alu 0xfffe
	s_add_nc_u64 s[0:1], s[0:1], s[2:3]
	global_store_b32 v1, v0, s[0:1]
.LBB200_15:
	s_endpgm
	.section	.rodata,"a",@progbits
	.p2align	6, 0x0
	.amdhsa_kernel _ZL13mul_mat_vec_qIL9ggml_type18ELi5ELb0ELb0EEvPKvS2_PKi31ggml_cuda_mm_fusion_args_devicePfj15HIP_vector_typeIjLj3EEjjjS8_jjjS8_jjjj
		.amdhsa_group_segment_fixed_size 0
		.amdhsa_private_segment_fixed_size 0
		.amdhsa_kernarg_size 144
		.amdhsa_user_sgpr_count 2
		.amdhsa_user_sgpr_dispatch_ptr 0
		.amdhsa_user_sgpr_queue_ptr 0
		.amdhsa_user_sgpr_kernarg_segment_ptr 1
		.amdhsa_user_sgpr_dispatch_id 0
		.amdhsa_user_sgpr_private_segment_size 0
		.amdhsa_wavefront_size32 1
		.amdhsa_uses_dynamic_stack 0
		.amdhsa_enable_private_segment 0
		.amdhsa_system_sgpr_workgroup_id_x 1
		.amdhsa_system_sgpr_workgroup_id_y 1
		.amdhsa_system_sgpr_workgroup_id_z 1
		.amdhsa_system_sgpr_workgroup_info 0
		.amdhsa_system_vgpr_workitem_id 1
		.amdhsa_next_free_vgpr 96
		.amdhsa_next_free_sgpr 30
		.amdhsa_reserve_vcc 1
		.amdhsa_float_round_mode_32 0
		.amdhsa_float_round_mode_16_64 0
		.amdhsa_float_denorm_mode_32 3
		.amdhsa_float_denorm_mode_16_64 3
		.amdhsa_fp16_overflow 0
		.amdhsa_workgroup_processor_mode 1
		.amdhsa_memory_ordered 1
		.amdhsa_forward_progress 1
		.amdhsa_inst_pref_size 39
		.amdhsa_round_robin_scheduling 0
		.amdhsa_exception_fp_ieee_invalid_op 0
		.amdhsa_exception_fp_denorm_src 0
		.amdhsa_exception_fp_ieee_div_zero 0
		.amdhsa_exception_fp_ieee_overflow 0
		.amdhsa_exception_fp_ieee_underflow 0
		.amdhsa_exception_fp_ieee_inexact 0
		.amdhsa_exception_int_div_zero 0
	.end_amdhsa_kernel
	.section	.text._ZL13mul_mat_vec_qIL9ggml_type18ELi5ELb0ELb0EEvPKvS2_PKi31ggml_cuda_mm_fusion_args_devicePfj15HIP_vector_typeIjLj3EEjjjS8_jjjS8_jjjj,"axG",@progbits,_ZL13mul_mat_vec_qIL9ggml_type18ELi5ELb0ELb0EEvPKvS2_PKi31ggml_cuda_mm_fusion_args_devicePfj15HIP_vector_typeIjLj3EEjjjS8_jjjS8_jjjj,comdat
.Lfunc_end200:
	.size	_ZL13mul_mat_vec_qIL9ggml_type18ELi5ELb0ELb0EEvPKvS2_PKi31ggml_cuda_mm_fusion_args_devicePfj15HIP_vector_typeIjLj3EEjjjS8_jjjS8_jjjj, .Lfunc_end200-_ZL13mul_mat_vec_qIL9ggml_type18ELi5ELb0ELb0EEvPKvS2_PKi31ggml_cuda_mm_fusion_args_devicePfj15HIP_vector_typeIjLj3EEjjjS8_jjjS8_jjjj
                                        ; -- End function
	.set _ZL13mul_mat_vec_qIL9ggml_type18ELi5ELb0ELb0EEvPKvS2_PKi31ggml_cuda_mm_fusion_args_devicePfj15HIP_vector_typeIjLj3EEjjjS8_jjjS8_jjjj.num_vgpr, 96
	.set _ZL13mul_mat_vec_qIL9ggml_type18ELi5ELb0ELb0EEvPKvS2_PKi31ggml_cuda_mm_fusion_args_devicePfj15HIP_vector_typeIjLj3EEjjjS8_jjjS8_jjjj.num_agpr, 0
	.set _ZL13mul_mat_vec_qIL9ggml_type18ELi5ELb0ELb0EEvPKvS2_PKi31ggml_cuda_mm_fusion_args_devicePfj15HIP_vector_typeIjLj3EEjjjS8_jjjS8_jjjj.numbered_sgpr, 30
	.set _ZL13mul_mat_vec_qIL9ggml_type18ELi5ELb0ELb0EEvPKvS2_PKi31ggml_cuda_mm_fusion_args_devicePfj15HIP_vector_typeIjLj3EEjjjS8_jjjS8_jjjj.num_named_barrier, 0
	.set _ZL13mul_mat_vec_qIL9ggml_type18ELi5ELb0ELb0EEvPKvS2_PKi31ggml_cuda_mm_fusion_args_devicePfj15HIP_vector_typeIjLj3EEjjjS8_jjjS8_jjjj.private_seg_size, 0
	.set _ZL13mul_mat_vec_qIL9ggml_type18ELi5ELb0ELb0EEvPKvS2_PKi31ggml_cuda_mm_fusion_args_devicePfj15HIP_vector_typeIjLj3EEjjjS8_jjjS8_jjjj.uses_vcc, 1
	.set _ZL13mul_mat_vec_qIL9ggml_type18ELi5ELb0ELb0EEvPKvS2_PKi31ggml_cuda_mm_fusion_args_devicePfj15HIP_vector_typeIjLj3EEjjjS8_jjjS8_jjjj.uses_flat_scratch, 0
	.set _ZL13mul_mat_vec_qIL9ggml_type18ELi5ELb0ELb0EEvPKvS2_PKi31ggml_cuda_mm_fusion_args_devicePfj15HIP_vector_typeIjLj3EEjjjS8_jjjS8_jjjj.has_dyn_sized_stack, 0
	.set _ZL13mul_mat_vec_qIL9ggml_type18ELi5ELb0ELb0EEvPKvS2_PKi31ggml_cuda_mm_fusion_args_devicePfj15HIP_vector_typeIjLj3EEjjjS8_jjjS8_jjjj.has_recursion, 0
	.set _ZL13mul_mat_vec_qIL9ggml_type18ELi5ELb0ELb0EEvPKvS2_PKi31ggml_cuda_mm_fusion_args_devicePfj15HIP_vector_typeIjLj3EEjjjS8_jjjS8_jjjj.has_indirect_call, 0
	.section	.AMDGPU.csdata,"",@progbits
; Kernel info:
; codeLenInByte = 4896
; TotalNumSgprs: 32
; NumVgprs: 96
; ScratchSize: 0
; MemoryBound: 0
; FloatMode: 240
; IeeeMode: 1
; LDSByteSize: 0 bytes/workgroup (compile time only)
; SGPRBlocks: 0
; VGPRBlocks: 11
; NumSGPRsForWavesPerEU: 32
; NumVGPRsForWavesPerEU: 96
; Occupancy: 16
; WaveLimiterHint : 0
; COMPUTE_PGM_RSRC2:SCRATCH_EN: 0
; COMPUTE_PGM_RSRC2:USER_SGPR: 2
; COMPUTE_PGM_RSRC2:TRAP_HANDLER: 0
; COMPUTE_PGM_RSRC2:TGID_X_EN: 1
; COMPUTE_PGM_RSRC2:TGID_Y_EN: 1
; COMPUTE_PGM_RSRC2:TGID_Z_EN: 1
; COMPUTE_PGM_RSRC2:TIDIG_COMP_CNT: 1
	.section	.text._ZL13mul_mat_vec_qIL9ggml_type18ELi6ELb0ELb0EEvPKvS2_PKi31ggml_cuda_mm_fusion_args_devicePfj15HIP_vector_typeIjLj3EEjjjS8_jjjS8_jjjj,"axG",@progbits,_ZL13mul_mat_vec_qIL9ggml_type18ELi6ELb0ELb0EEvPKvS2_PKi31ggml_cuda_mm_fusion_args_devicePfj15HIP_vector_typeIjLj3EEjjjS8_jjjS8_jjjj,comdat
	.globl	_ZL13mul_mat_vec_qIL9ggml_type18ELi6ELb0ELb0EEvPKvS2_PKi31ggml_cuda_mm_fusion_args_devicePfj15HIP_vector_typeIjLj3EEjjjS8_jjjS8_jjjj ; -- Begin function _ZL13mul_mat_vec_qIL9ggml_type18ELi6ELb0ELb0EEvPKvS2_PKi31ggml_cuda_mm_fusion_args_devicePfj15HIP_vector_typeIjLj3EEjjjS8_jjjS8_jjjj
	.p2align	8
	.type	_ZL13mul_mat_vec_qIL9ggml_type18ELi6ELb0ELb0EEvPKvS2_PKi31ggml_cuda_mm_fusion_args_devicePfj15HIP_vector_typeIjLj3EEjjjS8_jjjS8_jjjj,@function
_ZL13mul_mat_vec_qIL9ggml_type18ELi6ELb0ELb0EEvPKvS2_PKi31ggml_cuda_mm_fusion_args_devicePfj15HIP_vector_typeIjLj3EEjjjS8_jjjS8_jjjj: ; @_ZL13mul_mat_vec_qIL9ggml_type18ELi6ELb0ELb0EEvPKvS2_PKi31ggml_cuda_mm_fusion_args_devicePfj15HIP_vector_typeIjLj3EEjjjS8_jjjS8_jjjj
; %bb.0:
	s_clause 0x5
	s_load_b96 s[16:18], s[0:1], 0x80
	s_load_b32 s3, s[0:1], 0x40
	s_load_b128 s[4:7], s[0:1], 0x50
	s_load_b32 s2, s[0:1], 0x60
	s_load_b128 s[8:11], s[0:1], 0x68
	s_load_b32 s23, s[0:1], 0x78
	v_bfe_u32 v11, v0, 10, 10
	v_dual_mov_b32 v6, 0 :: v_dual_and_b32 v7, 0x3ff, v0
	v_dual_mov_b32 v8, 0 :: v_dual_mov_b32 v9, 0
	v_mov_b32_e32 v10, 0
	s_delay_alu instid0(VALU_DEP_3)
	v_lshl_or_b32 v0, v11, 5, v7
	v_mov_b32_e32 v12, 0
	v_mov_b32_e32 v14, 0
	s_and_b32 s19, ttmp7, 0xffff
	s_lshr_b32 s20, ttmp7, 16
	v_lshrrev_b32_e32 v13, 3, v0
	s_mov_b32 s21, exec_lo
	s_wait_kmcnt 0x0
	s_lshr_b32 s22, s3, 8
	s_delay_alu instid0(VALU_DEP_1) | instid1(SALU_CYCLE_1)
	v_cmpx_gt_u32_e64 s22, v13
	s_cbranch_execz .LBB201_4
; %bb.1:
	s_mul_hi_u32 s3, s7, s19
	v_lshl_add_u32 v0, v11, 5, v7
	s_add_co_i32 s3, s19, s3
	s_mul_i32 s24, s9, s19
	s_lshr_b32 s7, s3, s2
	s_mov_b32 s3, 0
	v_lshrrev_b32_e32 v0, 3, v0
	s_mov_b32 s25, s3
	s_load_b128 s[12:15], s[0:1], 0x0
	s_mul_u64 s[24:25], s[24:25], 36
	v_lshlrev_b32_e32 v2, 1, v7
	v_mad_co_u64_u32 v[0:1], null, 0x120, v0, s[24:25]
	s_mul_i32 s2, s17, s20
	v_and_b32_e32 v4, 7, v7
	v_and_b32_e32 v10, 14, v2
	s_mul_hi_u32 s11, s11, s20
	s_mul_u64 s[26:27], s[2:3], 36
	s_add_co_i32 s9, s20, s11
	v_mad_co_u64_u32 v[2:3], null, s2, 36, v[0:1]
	s_lshr_b32 s9, s9, s23
	v_dual_mov_b32 v6, 0 :: v_dual_lshlrev_b32 v5, 3, v13
	s_mul_i32 s7, s7, s8
	s_mul_i32 s11, s9, s16
	v_lshlrev_b32_e32 v12, 1, v10
	v_mad_co_u64_u32 v[8:9], null, v4, 36, v[2:3]
	s_wait_kmcnt 0x0
	s_add_nc_u64 s[8:9], s[14:15], s[26:27]
	v_mad_co_u64_u32 v[2:3], null, s5, 5, v[5:6]
	s_add_nc_u64 s[8:9], s[8:9], s[24:25]
	s_mul_i32 s4, s4, ttmp9
	v_mad_co_u64_u32 v[0:1], null, v4, 36, s[8:9]
	v_mad_co_u64_u32 v[3:4], null, s5, 3, v[5:6]
	v_add_co_u32 v4, vcc_lo, s14, v8
	s_delay_alu instid0(VALU_DEP_1) | instskip(SKIP_1) | instid1(VALU_DEP_3)
	v_add_co_ci_u32_e64 v8, null, s15, v9, vcc_lo
	v_add_nc_u32_e32 v15, s5, v5
	v_add_co_u32 v4, vcc_lo, v4, 16
	v_lshl_add_u32 v16, s5, 2, v5
	v_lshl_add_u32 v17, s5, 1, v5
	s_wait_alu 0xfffd
	v_add_co_ci_u32_e64 v5, null, 0, v8, vcc_lo
	v_lshlrev_b32_e32 v18, 1, v12
	v_dual_mov_b32 v10, 0 :: v_dual_lshlrev_b32 v19, 1, v10
	v_dual_mov_b32 v8, 0 :: v_dual_mov_b32 v9, 0
	v_mov_b32_e32 v12, 0
	v_mov_b32_e32 v14, 0
	s_wait_alu 0xfffe
	s_add_co_i32 s7, s7, s4
	s_delay_alu instid0(SALU_CYCLE_1)
	s_add_co_i32 s7, s11, s7
.LBB201_2:                              ; =>This Inner Loop Header: Depth=1
	s_delay_alu instid0(SALU_CYCLE_1)
	v_add_nc_u32_e32 v20, s7, v13
	s_getpc_b64 s[4:5]
	s_wait_alu 0xfffe
	s_sext_i32_i16 s5, s5
	s_add_co_u32 s4, s4, _ZL11iq3xxs_grid@rel32@lo+12
	s_wait_alu 0xfffe
	s_add_co_ci_u32 s5, s5, _ZL11iq3xxs_grid@rel32@hi+24
	v_add_nc_u32_e32 v13, 4, v13
	v_mad_co_i64_i32 v[30:31], null, 0x62, v20, s[12:13]
	s_delay_alu instid0(VALU_DEP_1) | instskip(SKIP_1) | instid1(VALU_DEP_2)
	v_add_co_u32 v20, vcc_lo, v30, v18
	s_wait_alu 0xfffd
	v_add_co_ci_u32_e64 v21, null, 0, v31, vcc_lo
	global_load_b64 v[25:26], v[20:21], off offset:2
	v_add_co_u32 v20, vcc_lo, v30, v19
	s_wait_alu 0xfffd
	v_add_co_ci_u32_e64 v21, null, 0, v31, vcc_lo
	global_load_b32 v28, v[20:21], off offset:66
	s_wait_loadcnt 0x1
	v_and_b32_e32 v20, 0xff, v25
	v_lshrrev_b32_e32 v21, 6, v25
	s_delay_alu instid0(VALU_DEP_2) | instskip(NEXT) | instid1(VALU_DEP_2)
	v_lshlrev_b32_e32 v20, 2, v20
	v_and_b32_e32 v21, 0x3fc, v21
	s_wait_loadcnt 0x0
	v_and_b32_e32 v22, 0xff, v28
	s_clause 0x1
	global_load_b32 v20, v20, s[4:5]
	global_load_b32 v21, v21, s[4:5]
	v_bcnt_u32_b32 v23, v22, 0
	s_delay_alu instid0(VALU_DEP_1) | instskip(NEXT) | instid1(VALU_DEP_1)
	v_and_b32_e32 v23, 1, v23
	v_lshlrev_b32_e32 v23, 7, v23
	s_delay_alu instid0(VALU_DEP_1) | instskip(NEXT) | instid1(VALU_DEP_1)
	v_xor_b32_e32 v22, v23, v22
	v_mul_lo_u32 v22, 0x1010101, v22
	s_delay_alu instid0(VALU_DEP_1) | instskip(NEXT) | instid1(VALU_DEP_1)
	v_and_b32_e32 v23, 0x8040201, v22
	v_lshrrev_b16 v24, 8, v23
	v_lshrrev_b32_e32 v23, 24, v23
	s_delay_alu instid0(VALU_DEP_2) | instskip(NEXT) | instid1(VALU_DEP_2)
	v_cmp_ne_u16_e64 s2, 0, v24
	v_cmp_ne_u16_e32 vcc_lo, 0, v23
	v_lshrrev_b32_e32 v23, 18, v22
	v_bfe_i32 v24, v22, 0, 1
	s_wait_alu 0xf1ff
	v_cndmask_b32_e64 v29, 0, -1, s2
	s_wait_alu 0xfffd
	v_cndmask_b32_e64 v33, 0, -1, vcc_lo
	v_bfe_i32 v23, v23, 0, 1
	v_and_b32_e32 v27, 0xff, v24
	v_lshlrev_b16 v24, 8, v24
	v_lshlrev_b16 v29, 8, v29
	;; [unrolled: 1-line block ×3, first 2 shown]
	v_and_b32_e32 v32, 0xff, v23
	v_lshlrev_b16 v23, 8, v23
	s_delay_alu instid0(VALU_DEP_4) | instskip(NEXT) | instid1(VALU_DEP_3)
	v_or_b32_e32 v27, v27, v29
	v_or_b32_e32 v32, v32, v33
	s_delay_alu instid0(VALU_DEP_2) | instskip(NEXT) | instid1(VALU_DEP_2)
	v_and_b32_e32 v27, 0xffff, v27
	v_lshlrev_b32_e32 v32, 16, v32
	s_delay_alu instid0(VALU_DEP_1) | instskip(SKIP_1) | instid1(VALU_DEP_1)
	v_or_b32_e32 v27, v27, v32
	s_wait_loadcnt 0x1
	v_xor_b32_e32 v20, v20, v27
	s_delay_alu instid0(VALU_DEP_1) | instskip(SKIP_2) | instid1(VALU_DEP_2)
	v_lshrrev_b32_e32 v27, 16, v20
	v_and_b32_e32 v32, 0xffffff00, v20
	v_lshlrev_b16 v20, 8, v20
	v_sub_nc_i16 v29, v32, v29 clamp
	s_delay_alu instid0(VALU_DEP_2) | instskip(SKIP_2) | instid1(VALU_DEP_3)
	v_sub_nc_i16 v20, v20, v24 clamp
	v_and_b32_e32 v24, 0xffffff00, v27
	v_lshlrev_b16 v27, 8, v27
	v_perm_b32 v20, v20, v29, 0xc0c0105
	s_delay_alu instid0(VALU_DEP_3) | instskip(NEXT) | instid1(VALU_DEP_3)
	v_sub_nc_i16 v24, v24, v33 clamp
	v_sub_nc_i16 v23, v27, v23 clamp
	s_delay_alu instid0(VALU_DEP_1) | instskip(NEXT) | instid1(VALU_DEP_1)
	v_perm_b32 v23, v23, v24, 0xc0c0105
	v_lshl_or_b32 v20, v23, 16, v20
	v_and_b32_e32 v23, 0x80402010, v22
	v_lshrrev_b32_e32 v22, 22, v22
	s_delay_alu instid0(VALU_DEP_2) | instskip(SKIP_2) | instid1(VALU_DEP_4)
	v_lshrrev_b16 v24, 8, v23
	v_lshrrev_b32_e32 v27, 24, v23
	v_lshrrev_b16 v23, 4, v23
	v_bfe_i32 v22, v22, 0, 1
	s_delay_alu instid0(VALU_DEP_4) | instskip(NEXT) | instid1(VALU_DEP_4)
	v_cmp_ne_u16_e64 s2, 0, v24
	v_cmp_ne_u16_e32 vcc_lo, 0, v27
	s_delay_alu instid0(VALU_DEP_4) | instskip(NEXT) | instid1(VALU_DEP_4)
	v_bfe_i32 v23, v23, 0, 1
	v_and_b32_e32 v29, 0xff, v22
	v_lshlrev_b16 v22, 8, v22
	s_wait_alu 0xf1ff
	v_cndmask_b32_e64 v27, 0, -1, s2
	s_wait_alu 0xfffd
	v_cndmask_b32_e64 v32, 0, -1, vcc_lo
	v_and_b32_e32 v24, 0xff, v23
	v_lshlrev_b16 v23, 8, v23
	v_lshlrev_b16 v27, 8, v27
	s_delay_alu instid0(VALU_DEP_4) | instskip(NEXT) | instid1(VALU_DEP_2)
	v_lshlrev_b16 v32, 8, v32
	v_or_b32_e32 v24, v24, v27
	s_delay_alu instid0(VALU_DEP_2) | instskip(NEXT) | instid1(VALU_DEP_2)
	v_or_b32_e32 v29, v29, v32
	v_and_b32_e32 v24, 0xffff, v24
	s_delay_alu instid0(VALU_DEP_2) | instskip(NEXT) | instid1(VALU_DEP_1)
	v_lshlrev_b32_e32 v29, 16, v29
	v_or_b32_e32 v24, v24, v29
	s_wait_loadcnt 0x0
	s_delay_alu instid0(VALU_DEP_1) | instskip(NEXT) | instid1(VALU_DEP_1)
	v_xor_b32_e32 v21, v21, v24
	v_lshrrev_b32_e32 v24, 16, v21
	v_and_b32_e32 v29, 0xffffff00, v21
	v_lshlrev_b16 v21, 8, v21
	s_delay_alu instid0(VALU_DEP_2) | instskip(NEXT) | instid1(VALU_DEP_2)
	v_sub_nc_i16 v27, v29, v27 clamp
	v_sub_nc_i16 v21, v21, v23 clamp
	v_and_b32_e32 v23, 0xffffff00, v24
	v_lshlrev_b16 v24, 8, v24
	s_delay_alu instid0(VALU_DEP_3) | instskip(NEXT) | instid1(VALU_DEP_3)
	v_perm_b32 v21, v21, v27, 0xc0c0105
	v_sub_nc_i16 v23, v23, v32 clamp
	s_delay_alu instid0(VALU_DEP_3) | instskip(SKIP_1) | instid1(VALU_DEP_2)
	v_sub_nc_i16 v22, v24, v22 clamp
	v_bfe_u32 v24, v28, 7, 8
	v_perm_b32 v22, v22, v23, 0xc0c0105
	v_lshrrev_b32_e32 v23, 22, v25
	s_delay_alu instid0(VALU_DEP_2) | instskip(SKIP_1) | instid1(VALU_DEP_3)
	v_lshl_or_b32 v21, v22, 16, v21
	v_lshrrev_b32_e32 v22, 14, v25
	v_and_b32_e32 v23, 0x3fc, v23
	v_bcnt_u32_b32 v25, v24, 0
	s_delay_alu instid0(VALU_DEP_3) | instskip(SKIP_4) | instid1(VALU_DEP_1)
	v_and_b32_e32 v22, 0x3fc, v22
	global_load_b32 v23, v23, s[4:5]
	v_and_b32_e32 v25, 1, v25
	global_load_b32 v22, v22, s[4:5]
	v_lshlrev_b32_e32 v25, 7, v25
	v_xor_b32_e32 v24, v25, v24
	s_delay_alu instid0(VALU_DEP_1) | instskip(NEXT) | instid1(VALU_DEP_1)
	v_mul_lo_u32 v24, 0x1010101, v24
	v_and_b32_e32 v25, 0x8040201, v24
	s_delay_alu instid0(VALU_DEP_1) | instskip(SKIP_1) | instid1(VALU_DEP_2)
	v_lshrrev_b16 v27, 8, v25
	v_lshrrev_b32_e32 v25, 24, v25
	v_cmp_ne_u16_e64 s2, 0, v27
	s_delay_alu instid0(VALU_DEP_2)
	v_cmp_ne_u16_e32 vcc_lo, 0, v25
	v_lshrrev_b32_e32 v25, 18, v24
	v_bfe_i32 v27, v24, 0, 1
	s_wait_alu 0xf1ff
	v_cndmask_b32_e64 v32, 0, -1, s2
	s_wait_alu 0xfffd
	v_cndmask_b32_e64 v34, 0, -1, vcc_lo
	v_bfe_i32 v25, v25, 0, 1
	v_and_b32_e32 v29, 0xff, v27
	v_lshlrev_b16 v27, 8, v27
	v_lshlrev_b16 v32, 8, v32
	;; [unrolled: 1-line block ×3, first 2 shown]
	v_and_b32_e32 v33, 0xff, v25
	v_lshlrev_b16 v25, 8, v25
	s_delay_alu instid0(VALU_DEP_4) | instskip(NEXT) | instid1(VALU_DEP_3)
	v_or_b32_e32 v29, v29, v32
	v_or_b32_e32 v33, v33, v34
	s_delay_alu instid0(VALU_DEP_2) | instskip(NEXT) | instid1(VALU_DEP_2)
	v_and_b32_e32 v29, 0xffff, v29
	v_lshlrev_b32_e32 v33, 16, v33
	s_delay_alu instid0(VALU_DEP_1) | instskip(SKIP_1) | instid1(VALU_DEP_1)
	v_or_b32_e32 v29, v29, v33
	s_wait_loadcnt 0x0
	v_xor_b32_e32 v22, v22, v29
	s_delay_alu instid0(VALU_DEP_1) | instskip(SKIP_2) | instid1(VALU_DEP_2)
	v_lshrrev_b32_e32 v29, 16, v22
	v_and_b32_e32 v33, 0xffffff00, v22
	v_lshlrev_b16 v22, 8, v22
	v_sub_nc_i16 v32, v33, v32 clamp
	s_delay_alu instid0(VALU_DEP_2) | instskip(SKIP_2) | instid1(VALU_DEP_3)
	v_sub_nc_i16 v22, v22, v27 clamp
	v_and_b32_e32 v27, 0xffffff00, v29
	v_lshlrev_b16 v29, 8, v29
	v_perm_b32 v22, v22, v32, 0xc0c0105
	s_delay_alu instid0(VALU_DEP_3) | instskip(NEXT) | instid1(VALU_DEP_3)
	v_sub_nc_i16 v27, v27, v34 clamp
	v_sub_nc_i16 v25, v29, v25 clamp
	s_delay_alu instid0(VALU_DEP_1) | instskip(NEXT) | instid1(VALU_DEP_1)
	v_perm_b32 v25, v25, v27, 0xc0c0105
	v_lshl_or_b32 v22, v25, 16, v22
	v_and_b32_e32 v25, 0x80402010, v24
	v_lshrrev_b32_e32 v24, 22, v24
	s_delay_alu instid0(VALU_DEP_2) | instskip(SKIP_2) | instid1(VALU_DEP_4)
	v_lshrrev_b16 v27, 8, v25
	v_lshrrev_b32_e32 v29, 24, v25
	v_lshrrev_b16 v25, 4, v25
	v_bfe_i32 v24, v24, 0, 1
	s_delay_alu instid0(VALU_DEP_4) | instskip(NEXT) | instid1(VALU_DEP_4)
	v_cmp_ne_u16_e64 s2, 0, v27
	v_cmp_ne_u16_e32 vcc_lo, 0, v29
	s_delay_alu instid0(VALU_DEP_4) | instskip(NEXT) | instid1(VALU_DEP_4)
	v_bfe_i32 v25, v25, 0, 1
	v_and_b32_e32 v32, 0xff, v24
	v_lshlrev_b16 v24, 8, v24
	s_wait_alu 0xf1ff
	v_cndmask_b32_e64 v29, 0, -1, s2
	s_wait_alu 0xfffd
	v_cndmask_b32_e64 v33, 0, -1, vcc_lo
	v_and_b32_e32 v27, 0xff, v25
	v_lshlrev_b16 v25, 8, v25
	v_lshlrev_b16 v29, 8, v29
	s_delay_alu instid0(VALU_DEP_4) | instskip(NEXT) | instid1(VALU_DEP_2)
	v_lshlrev_b16 v33, 8, v33
	v_or_b32_e32 v27, v27, v29
	s_delay_alu instid0(VALU_DEP_2) | instskip(NEXT) | instid1(VALU_DEP_2)
	v_or_b32_e32 v32, v32, v33
	v_and_b32_e32 v27, 0xffff, v27
	s_delay_alu instid0(VALU_DEP_2) | instskip(NEXT) | instid1(VALU_DEP_1)
	v_lshlrev_b32_e32 v32, 16, v32
	v_or_b32_e32 v27, v27, v32
	s_delay_alu instid0(VALU_DEP_1) | instskip(NEXT) | instid1(VALU_DEP_1)
	v_xor_b32_e32 v23, v23, v27
	v_lshrrev_b32_e32 v27, 16, v23
	v_and_b32_e32 v32, 0xffffff00, v23
	v_lshlrev_b16 v23, 8, v23
	s_delay_alu instid0(VALU_DEP_2) | instskip(NEXT) | instid1(VALU_DEP_2)
	v_sub_nc_i16 v29, v32, v29 clamp
	v_sub_nc_i16 v23, v23, v25 clamp
	v_and_b32_e32 v25, 0xffffff00, v27
	v_lshlrev_b16 v27, 8, v27
	s_delay_alu instid0(VALU_DEP_3) | instskip(NEXT) | instid1(VALU_DEP_3)
	v_perm_b32 v23, v23, v29, 0xc0c0105
	v_sub_nc_i16 v25, v25, v33 clamp
	s_delay_alu instid0(VALU_DEP_3) | instskip(SKIP_1) | instid1(VALU_DEP_2)
	v_sub_nc_i16 v24, v27, v24 clamp
	v_bfe_u32 v27, v28, 14, 8
	v_perm_b32 v24, v24, v25, 0xc0c0105
	v_lshrrev_b32_e32 v25, 6, v26
	s_delay_alu instid0(VALU_DEP_3) | instskip(NEXT) | instid1(VALU_DEP_3)
	v_bcnt_u32_b32 v29, v27, 0
	v_lshl_or_b32 v23, v24, 16, v23
	v_and_b32_e32 v24, 0xff, v26
	s_delay_alu instid0(VALU_DEP_4) | instskip(NEXT) | instid1(VALU_DEP_4)
	v_and_b32_e32 v25, 0x3fc, v25
	v_and_b32_e32 v29, 1, v29
	s_delay_alu instid0(VALU_DEP_3) | instskip(SKIP_4) | instid1(VALU_DEP_1)
	v_lshlrev_b32_e32 v24, 2, v24
	global_load_b32 v25, v25, s[4:5]
	v_lshlrev_b32_e32 v29, 7, v29
	global_load_b32 v24, v24, s[4:5]
	v_xor_b32_e32 v27, v29, v27
	v_mul_lo_u32 v27, 0x1010101, v27
	s_delay_alu instid0(VALU_DEP_1) | instskip(NEXT) | instid1(VALU_DEP_1)
	v_and_b32_e32 v29, 0x8040201, v27
	v_lshrrev_b16 v32, 8, v29
	v_lshrrev_b32_e32 v29, 24, v29
	s_delay_alu instid0(VALU_DEP_2) | instskip(NEXT) | instid1(VALU_DEP_2)
	v_cmp_ne_u16_e64 s2, 0, v32
	v_cmp_ne_u16_e32 vcc_lo, 0, v29
	v_lshrrev_b32_e32 v29, 18, v27
	v_bfe_i32 v32, v27, 0, 1
	s_wait_alu 0xf1ff
	v_cndmask_b32_e64 v34, 0, -1, s2
	s_wait_alu 0xfffd
	v_cndmask_b32_e64 v36, 0, -1, vcc_lo
	v_bfe_i32 v29, v29, 0, 1
	v_and_b32_e32 v33, 0xff, v32
	v_lshlrev_b16 v32, 8, v32
	v_lshlrev_b16 v34, 8, v34
	;; [unrolled: 1-line block ×3, first 2 shown]
	v_and_b32_e32 v35, 0xff, v29
	v_lshlrev_b16 v29, 8, v29
	s_delay_alu instid0(VALU_DEP_4) | instskip(NEXT) | instid1(VALU_DEP_3)
	v_or_b32_e32 v33, v33, v34
	v_or_b32_e32 v35, v35, v36
	s_delay_alu instid0(VALU_DEP_2) | instskip(NEXT) | instid1(VALU_DEP_2)
	v_and_b32_e32 v33, 0xffff, v33
	v_lshlrev_b32_e32 v35, 16, v35
	s_delay_alu instid0(VALU_DEP_1) | instskip(SKIP_1) | instid1(VALU_DEP_1)
	v_or_b32_e32 v33, v33, v35
	s_wait_loadcnt 0x0
	v_xor_b32_e32 v24, v24, v33
	s_delay_alu instid0(VALU_DEP_1) | instskip(SKIP_2) | instid1(VALU_DEP_2)
	v_lshrrev_b32_e32 v33, 16, v24
	v_and_b32_e32 v35, 0xffffff00, v24
	v_lshlrev_b16 v24, 8, v24
	v_sub_nc_i16 v34, v35, v34 clamp
	s_delay_alu instid0(VALU_DEP_2) | instskip(SKIP_2) | instid1(VALU_DEP_3)
	v_sub_nc_i16 v24, v24, v32 clamp
	v_and_b32_e32 v32, 0xffffff00, v33
	v_lshlrev_b16 v33, 8, v33
	v_perm_b32 v24, v24, v34, 0xc0c0105
	s_delay_alu instid0(VALU_DEP_3) | instskip(NEXT) | instid1(VALU_DEP_3)
	v_sub_nc_i16 v32, v32, v36 clamp
	v_sub_nc_i16 v29, v33, v29 clamp
	s_delay_alu instid0(VALU_DEP_1) | instskip(NEXT) | instid1(VALU_DEP_1)
	v_perm_b32 v29, v29, v32, 0xc0c0105
	v_lshl_or_b32 v24, v29, 16, v24
	v_and_b32_e32 v29, 0x80402010, v27
	v_lshrrev_b32_e32 v27, 22, v27
	s_delay_alu instid0(VALU_DEP_2) | instskip(SKIP_2) | instid1(VALU_DEP_4)
	v_lshrrev_b16 v32, 8, v29
	v_lshrrev_b32_e32 v33, 24, v29
	v_lshrrev_b16 v29, 4, v29
	v_bfe_i32 v27, v27, 0, 1
	s_delay_alu instid0(VALU_DEP_4) | instskip(NEXT) | instid1(VALU_DEP_4)
	v_cmp_ne_u16_e64 s2, 0, v32
	v_cmp_ne_u16_e32 vcc_lo, 0, v33
	s_delay_alu instid0(VALU_DEP_4) | instskip(NEXT) | instid1(VALU_DEP_4)
	v_bfe_i32 v29, v29, 0, 1
	v_and_b32_e32 v34, 0xff, v27
	v_lshlrev_b16 v27, 8, v27
	s_wait_alu 0xf1ff
	v_cndmask_b32_e64 v33, 0, -1, s2
	s_wait_alu 0xfffd
	v_cndmask_b32_e64 v35, 0, -1, vcc_lo
	v_and_b32_e32 v32, 0xff, v29
	v_lshlrev_b16 v29, 8, v29
	v_lshlrev_b16 v33, 8, v33
	s_delay_alu instid0(VALU_DEP_4) | instskip(NEXT) | instid1(VALU_DEP_2)
	v_lshlrev_b16 v35, 8, v35
	v_or_b32_e32 v32, v32, v33
	s_delay_alu instid0(VALU_DEP_2) | instskip(NEXT) | instid1(VALU_DEP_2)
	v_or_b32_e32 v34, v34, v35
	v_and_b32_e32 v32, 0xffff, v32
	s_delay_alu instid0(VALU_DEP_2) | instskip(NEXT) | instid1(VALU_DEP_1)
	v_lshlrev_b32_e32 v34, 16, v34
	v_or_b32_e32 v32, v32, v34
	s_delay_alu instid0(VALU_DEP_1) | instskip(NEXT) | instid1(VALU_DEP_1)
	v_xor_b32_e32 v25, v25, v32
	v_lshrrev_b32_e32 v32, 16, v25
	v_and_b32_e32 v34, 0xffffff00, v25
	v_lshlrev_b16 v25, 8, v25
	s_delay_alu instid0(VALU_DEP_2) | instskip(NEXT) | instid1(VALU_DEP_2)
	v_sub_nc_i16 v33, v34, v33 clamp
	v_sub_nc_i16 v25, v25, v29 clamp
	v_and_b32_e32 v29, 0xffffff00, v32
	v_lshlrev_b16 v32, 8, v32
	s_delay_alu instid0(VALU_DEP_3) | instskip(NEXT) | instid1(VALU_DEP_3)
	v_perm_b32 v25, v25, v33, 0xc0c0105
	v_sub_nc_i16 v29, v29, v35 clamp
	s_delay_alu instid0(VALU_DEP_3) | instskip(NEXT) | instid1(VALU_DEP_1)
	v_sub_nc_i16 v27, v32, v27 clamp
	v_perm_b32 v27, v27, v29, 0xc0c0105
	v_bfe_u32 v29, v28, 21, 8
	v_lshrrev_b32_e32 v28, 28, v28
	s_delay_alu instid0(VALU_DEP_3) | instskip(SKIP_3) | instid1(VALU_DEP_3)
	v_lshl_or_b32 v25, v27, 16, v25
	v_lshrrev_b32_e32 v27, 14, v26
	v_lshrrev_b32_e32 v26, 22, v26
	v_bcnt_u32_b32 v32, v29, 0
	v_and_b32_e32 v27, 0x3fc, v27
	s_delay_alu instid0(VALU_DEP_3) | instskip(NEXT) | instid1(VALU_DEP_3)
	v_and_b32_e32 v26, 0x3fc, v26
	v_and_b32_e32 v32, 1, v32
	s_clause 0x1
	global_load_b32 v27, v27, s[4:5]
	global_load_b32 v26, v26, s[4:5]
	v_lshlrev_b32_e32 v32, 7, v32
	s_delay_alu instid0(VALU_DEP_1) | instskip(NEXT) | instid1(VALU_DEP_1)
	v_xor_b32_e32 v29, v32, v29
	v_mul_lo_u32 v29, 0x1010101, v29
	s_delay_alu instid0(VALU_DEP_1) | instskip(NEXT) | instid1(VALU_DEP_1)
	v_and_b32_e32 v32, 0x8040201, v29
	v_lshrrev_b16 v33, 8, v32
	v_lshrrev_b32_e32 v32, 24, v32
	s_delay_alu instid0(VALU_DEP_2) | instskip(NEXT) | instid1(VALU_DEP_2)
	v_cmp_ne_u16_e64 s2, 0, v33
	v_cmp_ne_u16_e32 vcc_lo, 0, v32
	v_lshrrev_b32_e32 v32, 18, v29
	v_bfe_i32 v33, v29, 0, 1
	s_wait_alu 0xf1ff
	v_cndmask_b32_e64 v35, 0, -1, s2
	s_wait_alu 0xfffd
	v_cndmask_b32_e64 v37, 0, -1, vcc_lo
	v_bfe_i32 v32, v32, 0, 1
	v_and_b32_e32 v34, 0xff, v33
	v_lshlrev_b16 v33, 8, v33
	v_lshlrev_b16 v35, 8, v35
	;; [unrolled: 1-line block ×3, first 2 shown]
	v_and_b32_e32 v36, 0xff, v32
	v_lshlrev_b16 v32, 8, v32
	s_delay_alu instid0(VALU_DEP_4) | instskip(NEXT) | instid1(VALU_DEP_3)
	v_or_b32_e32 v34, v34, v35
	v_or_b32_e32 v36, v36, v37
	s_delay_alu instid0(VALU_DEP_2) | instskip(NEXT) | instid1(VALU_DEP_2)
	v_and_b32_e32 v34, 0xffff, v34
	v_lshlrev_b32_e32 v36, 16, v36
	s_delay_alu instid0(VALU_DEP_1) | instskip(SKIP_1) | instid1(VALU_DEP_1)
	v_or_b32_e32 v34, v34, v36
	s_wait_loadcnt 0x1
	v_xor_b32_e32 v27, v27, v34
	s_delay_alu instid0(VALU_DEP_1) | instskip(SKIP_2) | instid1(VALU_DEP_2)
	v_lshrrev_b32_e32 v34, 16, v27
	v_and_b32_e32 v36, 0xffffff00, v27
	v_lshlrev_b16 v27, 8, v27
	v_sub_nc_i16 v35, v36, v35 clamp
	s_delay_alu instid0(VALU_DEP_2) | instskip(SKIP_2) | instid1(VALU_DEP_3)
	v_sub_nc_i16 v27, v27, v33 clamp
	v_and_b32_e32 v33, 0xffffff00, v34
	v_lshlrev_b16 v34, 8, v34
	v_perm_b32 v27, v27, v35, 0xc0c0105
	s_delay_alu instid0(VALU_DEP_3) | instskip(NEXT) | instid1(VALU_DEP_3)
	v_sub_nc_i16 v33, v33, v37 clamp
	v_sub_nc_i16 v32, v34, v32 clamp
	s_delay_alu instid0(VALU_DEP_1) | instskip(NEXT) | instid1(VALU_DEP_1)
	v_perm_b32 v32, v32, v33, 0xc0c0105
	v_lshl_or_b32 v27, v32, 16, v27
	v_and_b32_e32 v32, 0x80402010, v29
	v_lshrrev_b32_e32 v29, 22, v29
	s_delay_alu instid0(VALU_DEP_2) | instskip(SKIP_2) | instid1(VALU_DEP_4)
	v_lshrrev_b16 v33, 8, v32
	v_lshrrev_b32_e32 v34, 24, v32
	v_lshrrev_b16 v32, 4, v32
	v_bfe_i32 v29, v29, 0, 1
	s_delay_alu instid0(VALU_DEP_4) | instskip(NEXT) | instid1(VALU_DEP_4)
	v_cmp_ne_u16_e64 s2, 0, v33
	v_cmp_ne_u16_e32 vcc_lo, 0, v34
	s_delay_alu instid0(VALU_DEP_4) | instskip(NEXT) | instid1(VALU_DEP_4)
	v_bfe_i32 v32, v32, 0, 1
	v_and_b32_e32 v35, 0xff, v29
	v_lshlrev_b16 v29, 8, v29
	s_wait_alu 0xf1ff
	v_cndmask_b32_e64 v34, 0, -1, s2
	s_wait_alu 0xfffd
	v_cndmask_b32_e64 v36, 0, -1, vcc_lo
	v_and_b32_e32 v33, 0xff, v32
	v_lshlrev_b16 v32, 8, v32
	v_lshlrev_b16 v34, 8, v34
	s_delay_alu instid0(VALU_DEP_4) | instskip(NEXT) | instid1(VALU_DEP_2)
	v_lshlrev_b16 v36, 8, v36
	v_or_b32_e32 v33, v33, v34
	s_delay_alu instid0(VALU_DEP_2) | instskip(NEXT) | instid1(VALU_DEP_2)
	v_or_b32_e32 v35, v35, v36
	v_and_b32_e32 v33, 0xffff, v33
	s_delay_alu instid0(VALU_DEP_2) | instskip(NEXT) | instid1(VALU_DEP_1)
	v_lshlrev_b32_e32 v35, 16, v35
	v_or_b32_e32 v33, v33, v35
	s_wait_loadcnt 0x0
	s_delay_alu instid0(VALU_DEP_1) | instskip(NEXT) | instid1(VALU_DEP_1)
	v_xor_b32_e32 v26, v26, v33
	v_lshrrev_b32_e32 v33, 16, v26
	v_and_b32_e32 v35, 0xffffff00, v26
	v_lshlrev_b16 v26, 8, v26
	s_delay_alu instid0(VALU_DEP_2) | instskip(NEXT) | instid1(VALU_DEP_2)
	v_sub_nc_i16 v34, v35, v34 clamp
	v_sub_nc_i16 v26, v26, v32 clamp
	v_and_b32_e32 v32, 0xffffff00, v33
	v_lshlrev_b16 v33, 8, v33
	s_delay_alu instid0(VALU_DEP_3) | instskip(NEXT) | instid1(VALU_DEP_3)
	v_perm_b32 v26, v26, v34, 0xc0c0105
	v_sub_nc_i16 v32, v32, v36 clamp
	s_delay_alu instid0(VALU_DEP_3) | instskip(NEXT) | instid1(VALU_DEP_1)
	v_sub_nc_i16 v29, v33, v29 clamp
	v_perm_b32 v29, v29, v32, 0xc0c0105
	s_delay_alu instid0(VALU_DEP_1)
	v_lshl_or_b32 v29, v29, 16, v26
	global_load_u16 v26, v[30:31], off
	s_clause 0x2
	global_load_b128 v[30:33], v[4:5], off offset:-16
	global_load_b32 v38, v[4:5], off offset:16
	global_load_b128 v[34:37], v[4:5], off
	v_add_co_u32 v4, vcc_lo, 0x480, v4
	s_wait_alu 0xfffd
	v_add_co_ci_u32_e64 v5, null, 0, v5, vcc_lo
	v_cmp_le_u32_e32 vcc_lo, s22, v13
	s_or_b32 s3, vcc_lo, s3
	s_wait_loadcnt 0x2
	v_dot4_i32_iu8 v31, v20, v31, 0 neg_lo:[1,1,0]
	v_cvt_f32_f16_e32 v26, v26
	v_cvt_f32_f16_e32 v30, v30
	s_delay_alu instid0(VALU_DEP_3) | instskip(NEXT) | instid1(VALU_DEP_2)
	v_dot4_i32_iu8 v31, v21, v32, v31 neg_lo:[1,1,0]
	v_mul_f32_e32 v30, v26, v30
	s_delay_alu instid0(VALU_DEP_2) | instskip(SKIP_1) | instid1(VALU_DEP_1)
	v_dot4_i32_iu8 v31, v22, v33, v31 neg_lo:[1,1,0]
	s_wait_loadcnt 0x0
	v_dot4_i32_iu8 v31, v23, v34, v31 neg_lo:[1,1,0]
	s_delay_alu instid0(VALU_DEP_1) | instskip(SKIP_2) | instid1(VALU_DEP_3)
	v_dot4_i32_iu8 v31, v24, v35, v31 neg_lo:[1,1,0]
	v_mad_co_u64_u32 v[34:35], null, v15, 36, v[0:1]
	v_add_nc_u32_e32 v15, 32, v15
	v_dot4_i32_iu8 v31, v25, v36, v31 neg_lo:[1,1,0]
	s_delay_alu instid0(VALU_DEP_1) | instskip(NEXT) | instid1(VALU_DEP_1)
	v_dot4_i32_iu8 v31, v27, v37, v31 neg_lo:[1,1,0]
	v_dot4_i32_iu8 v32, v29, v38, v31 neg_lo:[1,1,0]
	s_delay_alu instid0(VALU_DEP_1) | instskip(NEXT) | instid1(VALU_DEP_1)
	v_lshrrev_b32_e32 v31, 31, v32
	v_add_nc_u32_e32 v31, v32, v31
	s_delay_alu instid0(VALU_DEP_1) | instskip(NEXT) | instid1(VALU_DEP_1)
	v_ashrrev_i32_e32 v31, 1, v31
	v_mad_co_u64_u32 v[31:32], null, v32, v28, v[31:32]
	s_delay_alu instid0(VALU_DEP_1) | instskip(NEXT) | instid1(VALU_DEP_1)
	v_lshrrev_b32_e32 v32, 31, v31
	v_add_nc_u32_e32 v31, v31, v32
	s_delay_alu instid0(VALU_DEP_1) | instskip(NEXT) | instid1(VALU_DEP_1)
	v_ashrrev_i32_e32 v31, 1, v31
	v_cvt_f32_i32_e32 v31, v31
	s_delay_alu instid0(VALU_DEP_1)
	v_fmac_f32_e32 v14, v30, v31
	s_clause 0x2
	global_load_b128 v[30:33], v[34:35], off
	global_load_b32 v38, v[34:35], off offset:32
	global_load_b128 v[34:37], v[34:35], off offset:16
	s_wait_loadcnt 0x2
	v_dot4_i32_iu8 v31, v20, v31, 0 neg_lo:[1,1,0]
	v_cvt_f32_f16_e32 v30, v30
	s_delay_alu instid0(VALU_DEP_2) | instskip(NEXT) | instid1(VALU_DEP_2)
	v_dot4_i32_iu8 v31, v21, v32, v31 neg_lo:[1,1,0]
	v_mul_f32_e32 v30, v26, v30
	s_delay_alu instid0(VALU_DEP_2) | instskip(SKIP_1) | instid1(VALU_DEP_1)
	v_dot4_i32_iu8 v31, v22, v33, v31 neg_lo:[1,1,0]
	s_wait_loadcnt 0x0
	v_dot4_i32_iu8 v31, v23, v34, v31 neg_lo:[1,1,0]
	s_delay_alu instid0(VALU_DEP_1) | instskip(SKIP_2) | instid1(VALU_DEP_3)
	v_dot4_i32_iu8 v31, v24, v35, v31 neg_lo:[1,1,0]
	v_mad_co_u64_u32 v[34:35], null, v17, 36, v[0:1]
	v_add_nc_u32_e32 v17, 32, v17
	v_dot4_i32_iu8 v31, v25, v36, v31 neg_lo:[1,1,0]
	s_delay_alu instid0(VALU_DEP_1) | instskip(NEXT) | instid1(VALU_DEP_1)
	v_dot4_i32_iu8 v31, v27, v37, v31 neg_lo:[1,1,0]
	v_dot4_i32_iu8 v32, v29, v38, v31 neg_lo:[1,1,0]
	s_delay_alu instid0(VALU_DEP_1) | instskip(NEXT) | instid1(VALU_DEP_1)
	v_lshrrev_b32_e32 v31, 31, v32
	v_add_nc_u32_e32 v31, v32, v31
	s_delay_alu instid0(VALU_DEP_1) | instskip(NEXT) | instid1(VALU_DEP_1)
	v_ashrrev_i32_e32 v31, 1, v31
	v_mad_co_u64_u32 v[31:32], null, v32, v28, v[31:32]
	s_delay_alu instid0(VALU_DEP_1) | instskip(NEXT) | instid1(VALU_DEP_1)
	v_lshrrev_b32_e32 v32, 31, v31
	v_add_nc_u32_e32 v31, v31, v32
	s_delay_alu instid0(VALU_DEP_1) | instskip(NEXT) | instid1(VALU_DEP_1)
	v_ashrrev_i32_e32 v31, 1, v31
	v_cvt_f32_i32_e32 v31, v31
	s_delay_alu instid0(VALU_DEP_1)
	v_fmac_f32_e32 v12, v30, v31
	s_clause 0x2
	global_load_b128 v[30:33], v[34:35], off
	global_load_b32 v38, v[34:35], off offset:32
	global_load_b128 v[34:37], v[34:35], off offset:16
	s_wait_loadcnt 0x2
	v_dot4_i32_iu8 v31, v20, v31, 0 neg_lo:[1,1,0]
	v_cvt_f32_f16_e32 v30, v30
	s_delay_alu instid0(VALU_DEP_2) | instskip(NEXT) | instid1(VALU_DEP_2)
	;; [unrolled: 36-line block ×4, first 2 shown]
	v_dot4_i32_iu8 v31, v21, v32, v31 neg_lo:[1,1,0]
	v_mul_f32_e32 v30, v26, v30
	s_delay_alu instid0(VALU_DEP_2) | instskip(SKIP_1) | instid1(VALU_DEP_1)
	v_dot4_i32_iu8 v31, v22, v33, v31 neg_lo:[1,1,0]
	s_wait_loadcnt 0x0
	v_dot4_i32_iu8 v31, v23, v34, v31 neg_lo:[1,1,0]
	s_delay_alu instid0(VALU_DEP_1) | instskip(SKIP_2) | instid1(VALU_DEP_3)
	v_dot4_i32_iu8 v31, v24, v35, v31 neg_lo:[1,1,0]
	v_mad_co_u64_u32 v[34:35], null, v2, 36, v[0:1]
	v_add_nc_u32_e32 v2, 32, v2
	v_dot4_i32_iu8 v31, v25, v36, v31 neg_lo:[1,1,0]
	s_delay_alu instid0(VALU_DEP_1) | instskip(NEXT) | instid1(VALU_DEP_1)
	v_dot4_i32_iu8 v31, v27, v37, v31 neg_lo:[1,1,0]
	v_dot4_i32_iu8 v32, v29, v38, v31 neg_lo:[1,1,0]
	s_delay_alu instid0(VALU_DEP_1) | instskip(NEXT) | instid1(VALU_DEP_1)
	v_lshrrev_b32_e32 v31, 31, v32
	v_add_nc_u32_e32 v31, v32, v31
	s_delay_alu instid0(VALU_DEP_1) | instskip(NEXT) | instid1(VALU_DEP_1)
	v_ashrrev_i32_e32 v31, 1, v31
	v_mad_co_u64_u32 v[31:32], null, v32, v28, v[31:32]
	s_delay_alu instid0(VALU_DEP_1) | instskip(NEXT) | instid1(VALU_DEP_1)
	v_lshrrev_b32_e32 v32, 31, v31
	v_add_nc_u32_e32 v31, v31, v32
	s_delay_alu instid0(VALU_DEP_1) | instskip(NEXT) | instid1(VALU_DEP_1)
	v_ashrrev_i32_e32 v31, 1, v31
	v_cvt_f32_i32_e32 v31, v31
	s_delay_alu instid0(VALU_DEP_1)
	v_fmac_f32_e32 v8, v30, v31
	s_clause 0x2
	global_load_b128 v[30:33], v[34:35], off
	global_load_b32 v38, v[34:35], off offset:32
	global_load_b128 v[34:37], v[34:35], off offset:16
	s_wait_loadcnt 0x2
	v_dot4_i32_iu8 v20, v20, v31, 0 neg_lo:[1,1,0]
	s_delay_alu instid0(VALU_DEP_1) | instskip(NEXT) | instid1(VALU_DEP_1)
	v_dot4_i32_iu8 v20, v21, v32, v20 neg_lo:[1,1,0]
	v_dot4_i32_iu8 v20, v22, v33, v20 neg_lo:[1,1,0]
	s_wait_loadcnt 0x0
	s_delay_alu instid0(VALU_DEP_1) | instskip(NEXT) | instid1(VALU_DEP_1)
	v_dot4_i32_iu8 v20, v23, v34, v20 neg_lo:[1,1,0]
	v_dot4_i32_iu8 v20, v24, v35, v20 neg_lo:[1,1,0]
	s_delay_alu instid0(VALU_DEP_1) | instskip(NEXT) | instid1(VALU_DEP_1)
	v_dot4_i32_iu8 v20, v25, v36, v20 neg_lo:[1,1,0]
	v_dot4_i32_iu8 v20, v27, v37, v20 neg_lo:[1,1,0]
	s_delay_alu instid0(VALU_DEP_1) | instskip(NEXT) | instid1(VALU_DEP_1)
	v_dot4_i32_iu8 v21, v29, v38, v20 neg_lo:[1,1,0]
	v_lshrrev_b32_e32 v20, 31, v21
	s_delay_alu instid0(VALU_DEP_1) | instskip(NEXT) | instid1(VALU_DEP_1)
	v_add_nc_u32_e32 v20, v21, v20
	v_ashrrev_i32_e32 v20, 1, v20
	s_delay_alu instid0(VALU_DEP_1) | instskip(NEXT) | instid1(VALU_DEP_1)
	v_mad_co_u64_u32 v[20:21], null, v21, v28, v[20:21]
	v_lshrrev_b32_e32 v21, 31, v20
	s_delay_alu instid0(VALU_DEP_1) | instskip(SKIP_1) | instid1(VALU_DEP_2)
	v_add_nc_u32_e32 v20, v20, v21
	v_cvt_f32_f16_e32 v21, v30
	v_ashrrev_i32_e32 v20, 1, v20
	s_delay_alu instid0(VALU_DEP_2) | instskip(NEXT) | instid1(VALU_DEP_2)
	v_mul_f32_e32 v21, v26, v21
	v_cvt_f32_i32_e32 v20, v20
	s_delay_alu instid0(VALU_DEP_1)
	v_fmac_f32_e32 v6, v21, v20
	s_wait_alu 0xfffe
	s_and_not1_b32 exec_lo, exec_lo, s3
	s_cbranch_execnz .LBB201_2
; %bb.3:
	s_or_b32 exec_lo, exec_lo, s3
.LBB201_4:
	s_delay_alu instid0(SALU_CYCLE_1)
	s_or_b32 exec_lo, exec_lo, s21
	s_mov_b32 s3, 0
	; wave barrier
	global_inv scope:SCOPE_SE
	s_mov_b32 s2, exec_lo
	v_cmpx_eq_u32_e32 0, v11
	s_cbranch_execz .LBB201_17
; %bb.5:
	v_mbcnt_lo_u32_b32 v4, -1, 0
	s_load_b64 s[0:1], s[0:1], 0x38
	s_mul_i32 s2, s10, s19
	s_mul_i32 s4, s18, s20
	s_wait_alu 0xfffe
	s_add_co_i32 s2, s2, ttmp9
	v_xor_b32_e32 v0, 16, v4
	v_xor_b32_e32 v1, 8, v4
	;; [unrolled: 1-line block ×3, first 2 shown]
	s_wait_alu 0xfffe
	s_add_co_i32 s2, s2, s4
	s_wait_alu 0xfffe
	s_lshl_b64 s[2:3], s[2:3], 2
	v_cmp_gt_i32_e32 vcc_lo, 32, v0
	s_wait_alu 0xfffd
	v_cndmask_b32_e32 v0, v4, v0, vcc_lo
	v_cmp_gt_i32_e32 vcc_lo, 32, v1
	s_wait_kmcnt 0x0
	s_wait_alu 0xfffe
	s_add_nc_u64 s[0:1], s[0:1], s[2:3]
	s_wait_alu 0xfffd
	v_cndmask_b32_e32 v1, v4, v1, vcc_lo
	s_delay_alu instid0(VALU_DEP_1)
	v_lshlrev_b32_e32 v1, 2, v1
	v_lshlrev_b32_e32 v0, 2, v0
	ds_bpermute_b32 v2, v0, v14
	s_wait_dscnt 0x0
	v_add_f32_e32 v3, v14, v2
	v_xor_b32_e32 v2, 4, v4
	ds_bpermute_b32 v5, v1, v3
	v_cmp_gt_i32_e32 vcc_lo, 32, v2
	s_wait_dscnt 0x0
	s_wait_alu 0xfffd
	v_dual_cndmask_b32 v2, v4, v2 :: v_dual_add_f32 v5, v3, v5
	s_delay_alu instid0(VALU_DEP_1)
	v_lshlrev_b32_e32 v2, 2, v2
	v_xor_b32_e32 v3, 2, v4
	ds_bpermute_b32 v11, v2, v5
	v_cmp_gt_i32_e32 vcc_lo, 32, v3
	s_wait_alu 0xfffd
	v_cndmask_b32_e32 v3, v4, v3, vcc_lo
	v_cmp_gt_i32_e32 vcc_lo, 32, v13
	s_wait_alu 0xfffd
	v_cndmask_b32_e32 v4, v4, v13, vcc_lo
	v_cmp_eq_u32_e32 vcc_lo, 0, v7
	s_delay_alu instid0(VALU_DEP_2)
	v_lshlrev_b32_e32 v4, 2, v4
	v_lshlrev_b32_e32 v3, 2, v3
	s_wait_dscnt 0x0
	v_add_f32_e32 v5, v5, v11
	ds_bpermute_b32 v11, v3, v5
	s_wait_dscnt 0x0
	v_add_f32_e32 v5, v5, v11
	ds_bpermute_b32 v11, v4, v5
	s_and_saveexec_b32 s2, vcc_lo
	s_cbranch_execz .LBB201_7
; %bb.6:
	s_wait_dscnt 0x0
	v_add_f32_e32 v5, v5, v11
	v_mov_b32_e32 v7, 0
	global_store_b32 v7, v5, s[0:1]
.LBB201_7:
	s_wait_alu 0xfffe
	s_or_b32 exec_lo, exec_lo, s2
	ds_bpermute_b32 v5, v0, v12
	s_wait_dscnt 0x0
	v_add_f32_e32 v5, v12, v5
	ds_bpermute_b32 v7, v1, v5
	s_wait_dscnt 0x0
	v_add_f32_e32 v5, v5, v7
	ds_bpermute_b32 v7, v2, v5
	s_wait_dscnt 0x0
	v_add_f32_e32 v5, v5, v7
	ds_bpermute_b32 v7, v3, v5
	s_wait_dscnt 0x0
	v_add_f32_e32 v5, v5, v7
	ds_bpermute_b32 v7, v4, v5
	s_and_saveexec_b32 s2, vcc_lo
	s_cbranch_execz .LBB201_9
; %bb.8:
	s_mov_b32 s7, 0
	s_wait_dscnt 0x0
	v_add_f32_e32 v5, v5, v7
	v_mov_b32_e32 v7, 0
	s_wait_alu 0xfffe
	s_lshl_b64 s[4:5], s[6:7], 2
	s_wait_alu 0xfffe
	s_add_nc_u64 s[4:5], s[0:1], s[4:5]
	global_store_b32 v7, v5, s[4:5]
.LBB201_9:
	s_wait_alu 0xfffe
	s_or_b32 exec_lo, exec_lo, s2
	ds_bpermute_b32 v5, v0, v10
	s_wait_dscnt 0x0
	v_add_f32_e32 v5, v10, v5
	ds_bpermute_b32 v7, v1, v5
	s_wait_dscnt 0x0
	v_add_f32_e32 v5, v5, v7
	;; [unrolled: 3-line block ×4, first 2 shown]
	ds_bpermute_b32 v7, v4, v5
	s_and_saveexec_b32 s2, vcc_lo
	s_cbranch_execz .LBB201_11
; %bb.10:
	s_lshl_b32 s4, s6, 1
	s_mov_b32 s5, 0
	s_wait_dscnt 0x0
	v_add_f32_e32 v5, v5, v7
	v_mov_b32_e32 v7, 0
	s_wait_alu 0xfffe
	s_lshl_b64 s[4:5], s[4:5], 2
	s_wait_alu 0xfffe
	s_add_nc_u64 s[4:5], s[0:1], s[4:5]
	global_store_b32 v7, v5, s[4:5]
.LBB201_11:
	s_wait_alu 0xfffe
	s_or_b32 exec_lo, exec_lo, s2
	ds_bpermute_b32 v5, v0, v9
	s_wait_dscnt 0x0
	v_add_f32_e32 v5, v9, v5
	ds_bpermute_b32 v7, v1, v5
	s_wait_dscnt 0x0
	v_add_f32_e32 v5, v5, v7
	;; [unrolled: 3-line block ×4, first 2 shown]
	ds_bpermute_b32 v7, v4, v5
	s_and_saveexec_b32 s2, vcc_lo
	s_cbranch_execz .LBB201_13
; %bb.12:
	s_mul_i32 s4, s6, 3
	s_mov_b32 s5, 0
	s_wait_dscnt 0x0
	v_add_f32_e32 v5, v5, v7
	v_mov_b32_e32 v7, 0
	s_wait_alu 0xfffe
	s_lshl_b64 s[4:5], s[4:5], 2
	s_wait_alu 0xfffe
	s_add_nc_u64 s[4:5], s[0:1], s[4:5]
	global_store_b32 v7, v5, s[4:5]
.LBB201_13:
	s_wait_alu 0xfffe
	s_or_b32 exec_lo, exec_lo, s2
	ds_bpermute_b32 v5, v0, v8
	s_wait_dscnt 0x0
	v_add_f32_e32 v5, v8, v5
	ds_bpermute_b32 v7, v1, v5
	s_wait_dscnt 0x0
	v_add_f32_e32 v5, v5, v7
	;; [unrolled: 3-line block ×4, first 2 shown]
	ds_bpermute_b32 v7, v4, v5
	s_and_saveexec_b32 s2, vcc_lo
	s_cbranch_execz .LBB201_15
; %bb.14:
	s_lshl_b32 s4, s6, 2
	s_mov_b32 s5, 0
	s_wait_dscnt 0x0
	v_add_f32_e32 v5, v5, v7
	v_mov_b32_e32 v7, 0
	s_wait_alu 0xfffe
	s_lshl_b64 s[4:5], s[4:5], 2
	s_wait_alu 0xfffe
	s_add_nc_u64 s[4:5], s[0:1], s[4:5]
	global_store_b32 v7, v5, s[4:5]
.LBB201_15:
	s_wait_alu 0xfffe
	s_or_b32 exec_lo, exec_lo, s2
	ds_bpermute_b32 v0, v0, v6
	s_wait_dscnt 0x0
	v_add_f32_e32 v0, v6, v0
	ds_bpermute_b32 v1, v1, v0
	s_wait_dscnt 0x0
	v_add_f32_e32 v0, v0, v1
	;; [unrolled: 3-line block ×4, first 2 shown]
	ds_bpermute_b32 v1, v4, v0
	s_and_b32 exec_lo, exec_lo, vcc_lo
	s_cbranch_execz .LBB201_17
; %bb.16:
	s_mul_i32 s2, s6, 5
	s_mov_b32 s3, 0
	s_wait_dscnt 0x0
	v_dual_add_f32 v0, v0, v1 :: v_dual_mov_b32 v1, 0
	s_wait_alu 0xfffe
	s_lshl_b64 s[2:3], s[2:3], 2
	s_wait_alu 0xfffe
	s_add_nc_u64 s[0:1], s[0:1], s[2:3]
	global_store_b32 v1, v0, s[0:1]
.LBB201_17:
	s_endpgm
	.section	.rodata,"a",@progbits
	.p2align	6, 0x0
	.amdhsa_kernel _ZL13mul_mat_vec_qIL9ggml_type18ELi6ELb0ELb0EEvPKvS2_PKi31ggml_cuda_mm_fusion_args_devicePfj15HIP_vector_typeIjLj3EEjjjS8_jjjS8_jjjj
		.amdhsa_group_segment_fixed_size 0
		.amdhsa_private_segment_fixed_size 0
		.amdhsa_kernarg_size 144
		.amdhsa_user_sgpr_count 2
		.amdhsa_user_sgpr_dispatch_ptr 0
		.amdhsa_user_sgpr_queue_ptr 0
		.amdhsa_user_sgpr_kernarg_segment_ptr 1
		.amdhsa_user_sgpr_dispatch_id 0
		.amdhsa_user_sgpr_private_segment_size 0
		.amdhsa_wavefront_size32 1
		.amdhsa_uses_dynamic_stack 0
		.amdhsa_enable_private_segment 0
		.amdhsa_system_sgpr_workgroup_id_x 1
		.amdhsa_system_sgpr_workgroup_id_y 1
		.amdhsa_system_sgpr_workgroup_id_z 1
		.amdhsa_system_sgpr_workgroup_info 0
		.amdhsa_system_vgpr_workitem_id 1
		.amdhsa_next_free_vgpr 39
		.amdhsa_next_free_sgpr 28
		.amdhsa_reserve_vcc 1
		.amdhsa_float_round_mode_32 0
		.amdhsa_float_round_mode_16_64 0
		.amdhsa_float_denorm_mode_32 3
		.amdhsa_float_denorm_mode_16_64 3
		.amdhsa_fp16_overflow 0
		.amdhsa_workgroup_processor_mode 1
		.amdhsa_memory_ordered 1
		.amdhsa_forward_progress 1
		.amdhsa_inst_pref_size 45
		.amdhsa_round_robin_scheduling 0
		.amdhsa_exception_fp_ieee_invalid_op 0
		.amdhsa_exception_fp_denorm_src 0
		.amdhsa_exception_fp_ieee_div_zero 0
		.amdhsa_exception_fp_ieee_overflow 0
		.amdhsa_exception_fp_ieee_underflow 0
		.amdhsa_exception_fp_ieee_inexact 0
		.amdhsa_exception_int_div_zero 0
	.end_amdhsa_kernel
	.section	.text._ZL13mul_mat_vec_qIL9ggml_type18ELi6ELb0ELb0EEvPKvS2_PKi31ggml_cuda_mm_fusion_args_devicePfj15HIP_vector_typeIjLj3EEjjjS8_jjjS8_jjjj,"axG",@progbits,_ZL13mul_mat_vec_qIL9ggml_type18ELi6ELb0ELb0EEvPKvS2_PKi31ggml_cuda_mm_fusion_args_devicePfj15HIP_vector_typeIjLj3EEjjjS8_jjjS8_jjjj,comdat
.Lfunc_end201:
	.size	_ZL13mul_mat_vec_qIL9ggml_type18ELi6ELb0ELb0EEvPKvS2_PKi31ggml_cuda_mm_fusion_args_devicePfj15HIP_vector_typeIjLj3EEjjjS8_jjjS8_jjjj, .Lfunc_end201-_ZL13mul_mat_vec_qIL9ggml_type18ELi6ELb0ELb0EEvPKvS2_PKi31ggml_cuda_mm_fusion_args_devicePfj15HIP_vector_typeIjLj3EEjjjS8_jjjS8_jjjj
                                        ; -- End function
	.set _ZL13mul_mat_vec_qIL9ggml_type18ELi6ELb0ELb0EEvPKvS2_PKi31ggml_cuda_mm_fusion_args_devicePfj15HIP_vector_typeIjLj3EEjjjS8_jjjS8_jjjj.num_vgpr, 39
	.set _ZL13mul_mat_vec_qIL9ggml_type18ELi6ELb0ELb0EEvPKvS2_PKi31ggml_cuda_mm_fusion_args_devicePfj15HIP_vector_typeIjLj3EEjjjS8_jjjS8_jjjj.num_agpr, 0
	.set _ZL13mul_mat_vec_qIL9ggml_type18ELi6ELb0ELb0EEvPKvS2_PKi31ggml_cuda_mm_fusion_args_devicePfj15HIP_vector_typeIjLj3EEjjjS8_jjjS8_jjjj.numbered_sgpr, 28
	.set _ZL13mul_mat_vec_qIL9ggml_type18ELi6ELb0ELb0EEvPKvS2_PKi31ggml_cuda_mm_fusion_args_devicePfj15HIP_vector_typeIjLj3EEjjjS8_jjjS8_jjjj.num_named_barrier, 0
	.set _ZL13mul_mat_vec_qIL9ggml_type18ELi6ELb0ELb0EEvPKvS2_PKi31ggml_cuda_mm_fusion_args_devicePfj15HIP_vector_typeIjLj3EEjjjS8_jjjS8_jjjj.private_seg_size, 0
	.set _ZL13mul_mat_vec_qIL9ggml_type18ELi6ELb0ELb0EEvPKvS2_PKi31ggml_cuda_mm_fusion_args_devicePfj15HIP_vector_typeIjLj3EEjjjS8_jjjS8_jjjj.uses_vcc, 1
	.set _ZL13mul_mat_vec_qIL9ggml_type18ELi6ELb0ELb0EEvPKvS2_PKi31ggml_cuda_mm_fusion_args_devicePfj15HIP_vector_typeIjLj3EEjjjS8_jjjS8_jjjj.uses_flat_scratch, 0
	.set _ZL13mul_mat_vec_qIL9ggml_type18ELi6ELb0ELb0EEvPKvS2_PKi31ggml_cuda_mm_fusion_args_devicePfj15HIP_vector_typeIjLj3EEjjjS8_jjjS8_jjjj.has_dyn_sized_stack, 0
	.set _ZL13mul_mat_vec_qIL9ggml_type18ELi6ELb0ELb0EEvPKvS2_PKi31ggml_cuda_mm_fusion_args_devicePfj15HIP_vector_typeIjLj3EEjjjS8_jjjS8_jjjj.has_recursion, 0
	.set _ZL13mul_mat_vec_qIL9ggml_type18ELi6ELb0ELb0EEvPKvS2_PKi31ggml_cuda_mm_fusion_args_devicePfj15HIP_vector_typeIjLj3EEjjjS8_jjjS8_jjjj.has_indirect_call, 0
	.section	.AMDGPU.csdata,"",@progbits
; Kernel info:
; codeLenInByte = 5640
; TotalNumSgprs: 30
; NumVgprs: 39
; ScratchSize: 0
; MemoryBound: 0
; FloatMode: 240
; IeeeMode: 1
; LDSByteSize: 0 bytes/workgroup (compile time only)
; SGPRBlocks: 0
; VGPRBlocks: 4
; NumSGPRsForWavesPerEU: 30
; NumVGPRsForWavesPerEU: 39
; Occupancy: 16
; WaveLimiterHint : 0
; COMPUTE_PGM_RSRC2:SCRATCH_EN: 0
; COMPUTE_PGM_RSRC2:USER_SGPR: 2
; COMPUTE_PGM_RSRC2:TRAP_HANDLER: 0
; COMPUTE_PGM_RSRC2:TGID_X_EN: 1
; COMPUTE_PGM_RSRC2:TGID_Y_EN: 1
; COMPUTE_PGM_RSRC2:TGID_Z_EN: 1
; COMPUTE_PGM_RSRC2:TIDIG_COMP_CNT: 1
	.section	.text._ZL13mul_mat_vec_qIL9ggml_type18ELi7ELb0ELb0EEvPKvS2_PKi31ggml_cuda_mm_fusion_args_devicePfj15HIP_vector_typeIjLj3EEjjjS8_jjjS8_jjjj,"axG",@progbits,_ZL13mul_mat_vec_qIL9ggml_type18ELi7ELb0ELb0EEvPKvS2_PKi31ggml_cuda_mm_fusion_args_devicePfj15HIP_vector_typeIjLj3EEjjjS8_jjjS8_jjjj,comdat
	.globl	_ZL13mul_mat_vec_qIL9ggml_type18ELi7ELb0ELb0EEvPKvS2_PKi31ggml_cuda_mm_fusion_args_devicePfj15HIP_vector_typeIjLj3EEjjjS8_jjjS8_jjjj ; -- Begin function _ZL13mul_mat_vec_qIL9ggml_type18ELi7ELb0ELb0EEvPKvS2_PKi31ggml_cuda_mm_fusion_args_devicePfj15HIP_vector_typeIjLj3EEjjjS8_jjjS8_jjjj
	.p2align	8
	.type	_ZL13mul_mat_vec_qIL9ggml_type18ELi7ELb0ELb0EEvPKvS2_PKi31ggml_cuda_mm_fusion_args_devicePfj15HIP_vector_typeIjLj3EEjjjS8_jjjS8_jjjj,@function
_ZL13mul_mat_vec_qIL9ggml_type18ELi7ELb0ELb0EEvPKvS2_PKi31ggml_cuda_mm_fusion_args_devicePfj15HIP_vector_typeIjLj3EEjjjS8_jjjS8_jjjj: ; @_ZL13mul_mat_vec_qIL9ggml_type18ELi7ELb0ELb0EEvPKvS2_PKi31ggml_cuda_mm_fusion_args_devicePfj15HIP_vector_typeIjLj3EEjjjS8_jjjS8_jjjj
; %bb.0:
	s_clause 0x5
	s_load_b96 s[16:18], s[0:1], 0x80
	s_load_b32 s2, s[0:1], 0x40
	s_load_b128 s[4:7], s[0:1], 0x50
	s_load_b32 s23, s[0:1], 0x60
	s_load_b128 s[8:11], s[0:1], 0x68
	s_load_b32 s24, s[0:1], 0x78
	v_bfe_u32 v13, v0, 10, 10
	v_dual_mov_b32 v8, 0 :: v_dual_and_b32 v9, 0x3ff, v0
	v_dual_mov_b32 v7, 0 :: v_dual_mov_b32 v10, 0
	v_dual_mov_b32 v11, 0 :: v_dual_mov_b32 v12, 0
	s_delay_alu instid0(VALU_DEP_3)
	v_lshl_or_b32 v0, v13, 5, v9
	v_mov_b32_e32 v14, 0
	v_mov_b32_e32 v16, 0
	s_and_b32 s19, ttmp7, 0xffff
	s_lshr_b32 s20, ttmp7, 16
	v_lshrrev_b32_e32 v15, 3, v0
	s_mov_b32 s21, exec_lo
	s_wait_kmcnt 0x0
	s_lshr_b32 s22, s2, 8
	s_delay_alu instid0(VALU_DEP_1) | instid1(SALU_CYCLE_1)
	v_cmpx_gt_u32_e64 s22, v15
	s_cbranch_execz .LBB202_4
; %bb.1:
	v_lshl_add_u32 v0, v13, 5, v9
	s_mov_b32 s3, 0
	s_mul_i32 s26, s9, s19
	s_mov_b32 s27, s3
	s_load_b128 s[12:15], s[0:1], 0x0
	v_lshrrev_b32_e32 v0, 3, v0
	s_mul_u64 s[26:27], s[26:27], 36
	v_dual_mov_b32 v7, 0 :: v_dual_lshlrev_b32 v2, 1, v9
	s_mul_i32 s2, s17, s20
	s_delay_alu instid0(VALU_DEP_2) | instskip(NEXT) | instid1(VALU_DEP_2)
	v_mad_co_u64_u32 v[0:1], null, 0x120, v0, s[26:27]
	v_and_b32_e32 v8, 14, v2
	v_and_b32_e32 v4, 7, v9
	s_mul_hi_u32 s7, s7, s19
	s_mul_hi_u32 s11, s11, s20
	s_add_co_i32 s7, s19, s7
	s_add_co_i32 s9, s20, s11
	s_delay_alu instid0(VALU_DEP_3)
	v_mad_co_u64_u32 v[2:3], null, s2, 36, v[0:1]
	s_mul_u64 s[28:29], s[2:3], 36
	s_lshr_b32 s7, s7, s23
	v_lshlrev_b32_e32 v6, 3, v15
	s_lshr_b32 s11, s9, s24
	s_mul_i32 s7, s7, s8
	s_wait_kmcnt 0x0
	s_add_nc_u64 s[8:9], s[14:15], s[28:29]
	v_mad_co_u64_u32 v[10:11], null, v4, 36, v[2:3]
	s_add_nc_u64 s[8:9], s[8:9], s[26:27]
	v_mad_co_u64_u32 v[2:3], null, s5, 6, v[6:7]
	v_mad_co_u64_u32 v[0:1], null, v4, 36, s[8:9]
	;; [unrolled: 1-line block ×4, first 2 shown]
	v_add_co_u32 v5, vcc_lo, s14, v10
	s_delay_alu instid0(VALU_DEP_1) | instskip(SKIP_1) | instid1(VALU_DEP_3)
	v_add_co_ci_u32_e64 v10, null, s15, v11, vcc_lo
	v_dual_mov_b32 v11, 0 :: v_dual_lshlrev_b32 v12, 1, v8
	v_add_co_u32 v5, vcc_lo, v5, 16
	s_mul_i32 s4, s4, ttmp9
	v_add_nc_u32_e32 v17, s5, v6
	v_lshl_add_u32 v18, s5, 2, v6
	v_lshl_add_u32 v19, s5, 1, v6
	s_wait_alu 0xfffd
	v_add_co_ci_u32_e64 v6, null, 0, v10, vcc_lo
	v_lshlrev_b32_e32 v20, 1, v12
	v_dual_mov_b32 v10, 0 :: v_dual_lshlrev_b32 v21, 1, v8
	v_mov_b32_e32 v8, 0
	v_mov_b32_e32 v12, 0
	;; [unrolled: 1-line block ×4, first 2 shown]
	s_mul_i32 s11, s11, s16
	s_wait_alu 0xfffe
	s_add_co_i32 s7, s7, s4
	s_delay_alu instid0(SALU_CYCLE_1)
	s_add_co_i32 s7, s11, s7
.LBB202_2:                              ; =>This Inner Loop Header: Depth=1
	s_delay_alu instid0(SALU_CYCLE_1)
	v_add_nc_u32_e32 v22, s7, v15
	s_getpc_b64 s[4:5]
	s_wait_alu 0xfffe
	s_sext_i32_i16 s5, s5
	s_add_co_u32 s4, s4, _ZL11iq3xxs_grid@rel32@lo+12
	s_wait_alu 0xfffe
	s_add_co_ci_u32 s5, s5, _ZL11iq3xxs_grid@rel32@hi+24
	v_add_nc_u32_e32 v15, 4, v15
	v_mad_co_i64_i32 v[32:33], null, 0x62, v22, s[12:13]
	s_delay_alu instid0(VALU_DEP_1) | instskip(SKIP_1) | instid1(VALU_DEP_2)
	v_add_co_u32 v22, vcc_lo, v32, v20
	s_wait_alu 0xfffd
	v_add_co_ci_u32_e64 v23, null, 0, v33, vcc_lo
	global_load_b64 v[26:27], v[22:23], off offset:2
	v_add_co_u32 v22, vcc_lo, v32, v21
	s_wait_alu 0xfffd
	v_add_co_ci_u32_e64 v23, null, 0, v33, vcc_lo
	global_load_b32 v30, v[22:23], off offset:66
	s_wait_loadcnt 0x1
	v_and_b32_e32 v22, 0xff, v26
	v_lshrrev_b32_e32 v23, 6, v26
	s_delay_alu instid0(VALU_DEP_2) | instskip(NEXT) | instid1(VALU_DEP_2)
	v_lshlrev_b32_e32 v22, 2, v22
	v_and_b32_e32 v23, 0x3fc, v23
	s_wait_loadcnt 0x0
	v_and_b32_e32 v24, 0xff, v30
	s_clause 0x1
	global_load_b32 v22, v22, s[4:5]
	global_load_b32 v23, v23, s[4:5]
	v_bcnt_u32_b32 v25, v24, 0
	s_delay_alu instid0(VALU_DEP_1) | instskip(NEXT) | instid1(VALU_DEP_1)
	v_and_b32_e32 v25, 1, v25
	v_lshlrev_b32_e32 v25, 7, v25
	s_delay_alu instid0(VALU_DEP_1) | instskip(NEXT) | instid1(VALU_DEP_1)
	v_xor_b32_e32 v24, v25, v24
	v_mul_lo_u32 v24, 0x1010101, v24
	s_delay_alu instid0(VALU_DEP_1) | instskip(NEXT) | instid1(VALU_DEP_1)
	v_and_b32_e32 v25, 0x8040201, v24
	v_lshrrev_b16 v28, 8, v25
	v_lshrrev_b32_e32 v25, 24, v25
	s_delay_alu instid0(VALU_DEP_2) | instskip(NEXT) | instid1(VALU_DEP_2)
	v_cmp_ne_u16_e64 s2, 0, v28
	v_cmp_ne_u16_e32 vcc_lo, 0, v25
	v_lshrrev_b32_e32 v25, 18, v24
	v_bfe_i32 v28, v24, 0, 1
	s_wait_alu 0xf1ff
	v_cndmask_b32_e64 v31, 0, -1, s2
	s_wait_alu 0xfffd
	v_cndmask_b32_e64 v35, 0, -1, vcc_lo
	v_bfe_i32 v25, v25, 0, 1
	v_and_b32_e32 v29, 0xff, v28
	v_lshlrev_b16 v28, 8, v28
	v_lshlrev_b16 v31, 8, v31
	;; [unrolled: 1-line block ×3, first 2 shown]
	v_and_b32_e32 v34, 0xff, v25
	v_lshlrev_b16 v25, 8, v25
	s_delay_alu instid0(VALU_DEP_4) | instskip(NEXT) | instid1(VALU_DEP_3)
	v_or_b32_e32 v29, v29, v31
	v_or_b32_e32 v34, v34, v35
	s_delay_alu instid0(VALU_DEP_2) | instskip(NEXT) | instid1(VALU_DEP_2)
	v_and_b32_e32 v29, 0xffff, v29
	v_lshlrev_b32_e32 v34, 16, v34
	s_delay_alu instid0(VALU_DEP_1) | instskip(SKIP_1) | instid1(VALU_DEP_1)
	v_or_b32_e32 v29, v29, v34
	s_wait_loadcnt 0x1
	v_xor_b32_e32 v22, v22, v29
	s_delay_alu instid0(VALU_DEP_1) | instskip(SKIP_2) | instid1(VALU_DEP_2)
	v_lshrrev_b32_e32 v29, 16, v22
	v_and_b32_e32 v34, 0xffffff00, v22
	v_lshlrev_b16 v22, 8, v22
	v_sub_nc_i16 v31, v34, v31 clamp
	s_delay_alu instid0(VALU_DEP_2) | instskip(SKIP_2) | instid1(VALU_DEP_3)
	v_sub_nc_i16 v22, v22, v28 clamp
	v_and_b32_e32 v28, 0xffffff00, v29
	v_lshlrev_b16 v29, 8, v29
	v_perm_b32 v22, v22, v31, 0xc0c0105
	s_delay_alu instid0(VALU_DEP_3) | instskip(NEXT) | instid1(VALU_DEP_3)
	v_sub_nc_i16 v28, v28, v35 clamp
	v_sub_nc_i16 v25, v29, v25 clamp
	s_delay_alu instid0(VALU_DEP_1) | instskip(NEXT) | instid1(VALU_DEP_1)
	v_perm_b32 v25, v25, v28, 0xc0c0105
	v_lshl_or_b32 v22, v25, 16, v22
	v_and_b32_e32 v25, 0x80402010, v24
	v_lshrrev_b32_e32 v24, 22, v24
	s_delay_alu instid0(VALU_DEP_2) | instskip(SKIP_2) | instid1(VALU_DEP_4)
	v_lshrrev_b16 v28, 8, v25
	v_lshrrev_b32_e32 v29, 24, v25
	v_lshrrev_b16 v25, 4, v25
	v_bfe_i32 v24, v24, 0, 1
	s_delay_alu instid0(VALU_DEP_4) | instskip(NEXT) | instid1(VALU_DEP_4)
	v_cmp_ne_u16_e64 s2, 0, v28
	v_cmp_ne_u16_e32 vcc_lo, 0, v29
	s_delay_alu instid0(VALU_DEP_4) | instskip(NEXT) | instid1(VALU_DEP_4)
	v_bfe_i32 v25, v25, 0, 1
	v_and_b32_e32 v31, 0xff, v24
	v_lshlrev_b16 v24, 8, v24
	s_wait_alu 0xf1ff
	v_cndmask_b32_e64 v29, 0, -1, s2
	s_wait_alu 0xfffd
	v_cndmask_b32_e64 v34, 0, -1, vcc_lo
	v_and_b32_e32 v28, 0xff, v25
	v_lshlrev_b16 v25, 8, v25
	v_lshlrev_b16 v29, 8, v29
	s_delay_alu instid0(VALU_DEP_4) | instskip(NEXT) | instid1(VALU_DEP_2)
	v_lshlrev_b16 v34, 8, v34
	v_or_b32_e32 v28, v28, v29
	s_delay_alu instid0(VALU_DEP_2) | instskip(NEXT) | instid1(VALU_DEP_2)
	v_or_b32_e32 v31, v31, v34
	v_and_b32_e32 v28, 0xffff, v28
	s_delay_alu instid0(VALU_DEP_2) | instskip(NEXT) | instid1(VALU_DEP_1)
	v_lshlrev_b32_e32 v31, 16, v31
	v_or_b32_e32 v28, v28, v31
	s_wait_loadcnt 0x0
	s_delay_alu instid0(VALU_DEP_1) | instskip(NEXT) | instid1(VALU_DEP_1)
	v_xor_b32_e32 v23, v23, v28
	v_lshrrev_b32_e32 v28, 16, v23
	v_and_b32_e32 v31, 0xffffff00, v23
	v_lshlrev_b16 v23, 8, v23
	s_delay_alu instid0(VALU_DEP_2) | instskip(NEXT) | instid1(VALU_DEP_2)
	v_sub_nc_i16 v29, v31, v29 clamp
	v_sub_nc_i16 v23, v23, v25 clamp
	v_and_b32_e32 v25, 0xffffff00, v28
	v_lshlrev_b16 v28, 8, v28
	s_delay_alu instid0(VALU_DEP_3) | instskip(NEXT) | instid1(VALU_DEP_3)
	v_perm_b32 v23, v23, v29, 0xc0c0105
	v_sub_nc_i16 v25, v25, v34 clamp
	s_delay_alu instid0(VALU_DEP_3) | instskip(NEXT) | instid1(VALU_DEP_1)
	v_sub_nc_i16 v24, v28, v24 clamp
	v_perm_b32 v24, v24, v25, 0xc0c0105
	v_lshrrev_b32_e32 v25, 22, v26
	s_delay_alu instid0(VALU_DEP_2) | instskip(SKIP_1) | instid1(VALU_DEP_3)
	v_lshl_or_b32 v23, v24, 16, v23
	v_lshrrev_b32_e32 v24, 14, v26
	v_and_b32_e32 v25, 0x3fc, v25
	v_bfe_u32 v26, v30, 7, 8
	s_delay_alu instid0(VALU_DEP_3) | instskip(SKIP_4) | instid1(VALU_DEP_1)
	v_and_b32_e32 v24, 0x3fc, v24
	global_load_b32 v25, v25, s[4:5]
	v_bcnt_u32_b32 v28, v26, 0
	global_load_b32 v24, v24, s[4:5]
	v_and_b32_e32 v28, 1, v28
	v_lshlrev_b32_e32 v28, 7, v28
	s_delay_alu instid0(VALU_DEP_1) | instskip(NEXT) | instid1(VALU_DEP_1)
	v_xor_b32_e32 v26, v28, v26
	v_mul_lo_u32 v26, 0x1010101, v26
	s_delay_alu instid0(VALU_DEP_1) | instskip(NEXT) | instid1(VALU_DEP_1)
	v_and_b32_e32 v28, 0x8040201, v26
	v_lshrrev_b16 v29, 8, v28
	v_lshrrev_b32_e32 v28, 24, v28
	s_delay_alu instid0(VALU_DEP_2) | instskip(NEXT) | instid1(VALU_DEP_2)
	v_cmp_ne_u16_e64 s2, 0, v29
	v_cmp_ne_u16_e32 vcc_lo, 0, v28
	v_lshrrev_b32_e32 v28, 18, v26
	v_bfe_i32 v29, v26, 0, 1
	s_wait_alu 0xf1ff
	v_cndmask_b32_e64 v34, 0, -1, s2
	s_wait_alu 0xfffd
	v_cndmask_b32_e64 v36, 0, -1, vcc_lo
	v_bfe_i32 v28, v28, 0, 1
	v_and_b32_e32 v31, 0xff, v29
	v_lshlrev_b16 v29, 8, v29
	v_lshlrev_b16 v34, 8, v34
	;; [unrolled: 1-line block ×3, first 2 shown]
	v_and_b32_e32 v35, 0xff, v28
	v_lshlrev_b16 v28, 8, v28
	s_delay_alu instid0(VALU_DEP_4) | instskip(NEXT) | instid1(VALU_DEP_3)
	v_or_b32_e32 v31, v31, v34
	v_or_b32_e32 v35, v35, v36
	s_delay_alu instid0(VALU_DEP_2) | instskip(NEXT) | instid1(VALU_DEP_2)
	v_and_b32_e32 v31, 0xffff, v31
	v_lshlrev_b32_e32 v35, 16, v35
	s_delay_alu instid0(VALU_DEP_1) | instskip(SKIP_1) | instid1(VALU_DEP_1)
	v_or_b32_e32 v31, v31, v35
	s_wait_loadcnt 0x0
	v_xor_b32_e32 v24, v24, v31
	s_delay_alu instid0(VALU_DEP_1) | instskip(SKIP_2) | instid1(VALU_DEP_2)
	v_lshrrev_b32_e32 v31, 16, v24
	v_and_b32_e32 v35, 0xffffff00, v24
	v_lshlrev_b16 v24, 8, v24
	v_sub_nc_i16 v34, v35, v34 clamp
	s_delay_alu instid0(VALU_DEP_2) | instskip(SKIP_2) | instid1(VALU_DEP_3)
	v_sub_nc_i16 v24, v24, v29 clamp
	v_and_b32_e32 v29, 0xffffff00, v31
	v_lshlrev_b16 v31, 8, v31
	v_perm_b32 v24, v24, v34, 0xc0c0105
	s_delay_alu instid0(VALU_DEP_3) | instskip(NEXT) | instid1(VALU_DEP_3)
	v_sub_nc_i16 v29, v29, v36 clamp
	v_sub_nc_i16 v28, v31, v28 clamp
	s_delay_alu instid0(VALU_DEP_1) | instskip(NEXT) | instid1(VALU_DEP_1)
	v_perm_b32 v28, v28, v29, 0xc0c0105
	v_lshl_or_b32 v24, v28, 16, v24
	v_and_b32_e32 v28, 0x80402010, v26
	v_lshrrev_b32_e32 v26, 22, v26
	s_delay_alu instid0(VALU_DEP_2) | instskip(SKIP_2) | instid1(VALU_DEP_4)
	v_lshrrev_b16 v29, 8, v28
	v_lshrrev_b32_e32 v31, 24, v28
	v_lshrrev_b16 v28, 4, v28
	v_bfe_i32 v26, v26, 0, 1
	s_delay_alu instid0(VALU_DEP_4) | instskip(NEXT) | instid1(VALU_DEP_4)
	v_cmp_ne_u16_e64 s2, 0, v29
	v_cmp_ne_u16_e32 vcc_lo, 0, v31
	s_delay_alu instid0(VALU_DEP_4) | instskip(NEXT) | instid1(VALU_DEP_4)
	v_bfe_i32 v28, v28, 0, 1
	v_and_b32_e32 v34, 0xff, v26
	v_lshlrev_b16 v26, 8, v26
	s_wait_alu 0xf1ff
	v_cndmask_b32_e64 v31, 0, -1, s2
	s_wait_alu 0xfffd
	v_cndmask_b32_e64 v35, 0, -1, vcc_lo
	v_and_b32_e32 v29, 0xff, v28
	v_lshlrev_b16 v28, 8, v28
	v_lshlrev_b16 v31, 8, v31
	s_delay_alu instid0(VALU_DEP_4) | instskip(NEXT) | instid1(VALU_DEP_2)
	v_lshlrev_b16 v35, 8, v35
	v_or_b32_e32 v29, v29, v31
	s_delay_alu instid0(VALU_DEP_2) | instskip(NEXT) | instid1(VALU_DEP_2)
	v_or_b32_e32 v34, v34, v35
	v_and_b32_e32 v29, 0xffff, v29
	s_delay_alu instid0(VALU_DEP_2) | instskip(NEXT) | instid1(VALU_DEP_1)
	v_lshlrev_b32_e32 v34, 16, v34
	v_or_b32_e32 v29, v29, v34
	s_delay_alu instid0(VALU_DEP_1) | instskip(NEXT) | instid1(VALU_DEP_1)
	v_xor_b32_e32 v25, v25, v29
	v_lshrrev_b32_e32 v29, 16, v25
	v_and_b32_e32 v34, 0xffffff00, v25
	v_lshlrev_b16 v25, 8, v25
	s_delay_alu instid0(VALU_DEP_2) | instskip(NEXT) | instid1(VALU_DEP_2)
	v_sub_nc_i16 v31, v34, v31 clamp
	v_sub_nc_i16 v25, v25, v28 clamp
	v_and_b32_e32 v28, 0xffffff00, v29
	v_lshlrev_b16 v29, 8, v29
	s_delay_alu instid0(VALU_DEP_3) | instskip(NEXT) | instid1(VALU_DEP_3)
	v_perm_b32 v25, v25, v31, 0xc0c0105
	v_sub_nc_i16 v28, v28, v35 clamp
	s_delay_alu instid0(VALU_DEP_3) | instskip(SKIP_1) | instid1(VALU_DEP_2)
	v_sub_nc_i16 v26, v29, v26 clamp
	v_bfe_u32 v29, v30, 14, 8
	v_perm_b32 v26, v26, v28, 0xc0c0105
	v_lshrrev_b32_e32 v28, 6, v27
	s_delay_alu instid0(VALU_DEP_3) | instskip(NEXT) | instid1(VALU_DEP_3)
	v_bcnt_u32_b32 v31, v29, 0
	v_lshl_or_b32 v25, v26, 16, v25
	v_and_b32_e32 v26, 0xff, v27
	s_delay_alu instid0(VALU_DEP_4) | instskip(NEXT) | instid1(VALU_DEP_4)
	v_and_b32_e32 v28, 0x3fc, v28
	v_and_b32_e32 v31, 1, v31
	s_delay_alu instid0(VALU_DEP_3) | instskip(SKIP_4) | instid1(VALU_DEP_1)
	v_lshlrev_b32_e32 v26, 2, v26
	global_load_b32 v28, v28, s[4:5]
	v_lshlrev_b32_e32 v31, 7, v31
	global_load_b32 v26, v26, s[4:5]
	v_xor_b32_e32 v29, v31, v29
	v_mul_lo_u32 v29, 0x1010101, v29
	s_delay_alu instid0(VALU_DEP_1) | instskip(NEXT) | instid1(VALU_DEP_1)
	v_and_b32_e32 v31, 0x8040201, v29
	v_lshrrev_b16 v34, 8, v31
	v_lshrrev_b32_e32 v31, 24, v31
	s_delay_alu instid0(VALU_DEP_2) | instskip(NEXT) | instid1(VALU_DEP_2)
	v_cmp_ne_u16_e64 s2, 0, v34
	v_cmp_ne_u16_e32 vcc_lo, 0, v31
	v_lshrrev_b32_e32 v31, 18, v29
	v_bfe_i32 v34, v29, 0, 1
	s_wait_alu 0xf1ff
	v_cndmask_b32_e64 v36, 0, -1, s2
	s_wait_alu 0xfffd
	v_cndmask_b32_e64 v38, 0, -1, vcc_lo
	v_bfe_i32 v31, v31, 0, 1
	v_and_b32_e32 v35, 0xff, v34
	v_lshlrev_b16 v34, 8, v34
	v_lshlrev_b16 v36, 8, v36
	;; [unrolled: 1-line block ×3, first 2 shown]
	v_and_b32_e32 v37, 0xff, v31
	v_lshlrev_b16 v31, 8, v31
	s_delay_alu instid0(VALU_DEP_4) | instskip(NEXT) | instid1(VALU_DEP_3)
	v_or_b32_e32 v35, v35, v36
	v_or_b32_e32 v37, v37, v38
	s_delay_alu instid0(VALU_DEP_2) | instskip(NEXT) | instid1(VALU_DEP_2)
	v_and_b32_e32 v35, 0xffff, v35
	v_lshlrev_b32_e32 v37, 16, v37
	s_delay_alu instid0(VALU_DEP_1) | instskip(SKIP_1) | instid1(VALU_DEP_1)
	v_or_b32_e32 v35, v35, v37
	s_wait_loadcnt 0x0
	v_xor_b32_e32 v26, v26, v35
	s_delay_alu instid0(VALU_DEP_1) | instskip(SKIP_2) | instid1(VALU_DEP_2)
	v_lshrrev_b32_e32 v35, 16, v26
	v_and_b32_e32 v37, 0xffffff00, v26
	v_lshlrev_b16 v26, 8, v26
	v_sub_nc_i16 v36, v37, v36 clamp
	s_delay_alu instid0(VALU_DEP_2) | instskip(SKIP_2) | instid1(VALU_DEP_3)
	v_sub_nc_i16 v26, v26, v34 clamp
	v_and_b32_e32 v34, 0xffffff00, v35
	v_lshlrev_b16 v35, 8, v35
	v_perm_b32 v26, v26, v36, 0xc0c0105
	s_delay_alu instid0(VALU_DEP_3) | instskip(NEXT) | instid1(VALU_DEP_3)
	v_sub_nc_i16 v34, v34, v38 clamp
	v_sub_nc_i16 v31, v35, v31 clamp
	s_delay_alu instid0(VALU_DEP_1) | instskip(NEXT) | instid1(VALU_DEP_1)
	v_perm_b32 v31, v31, v34, 0xc0c0105
	v_lshl_or_b32 v26, v31, 16, v26
	v_and_b32_e32 v31, 0x80402010, v29
	v_lshrrev_b32_e32 v29, 22, v29
	s_delay_alu instid0(VALU_DEP_2) | instskip(SKIP_2) | instid1(VALU_DEP_4)
	v_lshrrev_b16 v34, 8, v31
	v_lshrrev_b32_e32 v35, 24, v31
	v_lshrrev_b16 v31, 4, v31
	v_bfe_i32 v29, v29, 0, 1
	s_delay_alu instid0(VALU_DEP_4) | instskip(NEXT) | instid1(VALU_DEP_4)
	v_cmp_ne_u16_e64 s2, 0, v34
	v_cmp_ne_u16_e32 vcc_lo, 0, v35
	s_delay_alu instid0(VALU_DEP_4) | instskip(NEXT) | instid1(VALU_DEP_4)
	v_bfe_i32 v31, v31, 0, 1
	v_and_b32_e32 v36, 0xff, v29
	v_lshlrev_b16 v29, 8, v29
	s_wait_alu 0xf1ff
	v_cndmask_b32_e64 v35, 0, -1, s2
	s_wait_alu 0xfffd
	v_cndmask_b32_e64 v37, 0, -1, vcc_lo
	v_and_b32_e32 v34, 0xff, v31
	v_lshlrev_b16 v31, 8, v31
	v_lshlrev_b16 v35, 8, v35
	s_delay_alu instid0(VALU_DEP_4) | instskip(NEXT) | instid1(VALU_DEP_2)
	v_lshlrev_b16 v37, 8, v37
	v_or_b32_e32 v34, v34, v35
	s_delay_alu instid0(VALU_DEP_2) | instskip(NEXT) | instid1(VALU_DEP_2)
	v_or_b32_e32 v36, v36, v37
	v_and_b32_e32 v34, 0xffff, v34
	s_delay_alu instid0(VALU_DEP_2) | instskip(NEXT) | instid1(VALU_DEP_1)
	v_lshlrev_b32_e32 v36, 16, v36
	v_or_b32_e32 v34, v34, v36
	s_delay_alu instid0(VALU_DEP_1) | instskip(NEXT) | instid1(VALU_DEP_1)
	v_xor_b32_e32 v28, v28, v34
	v_lshrrev_b32_e32 v34, 16, v28
	v_and_b32_e32 v36, 0xffffff00, v28
	v_lshlrev_b16 v28, 8, v28
	s_delay_alu instid0(VALU_DEP_2) | instskip(NEXT) | instid1(VALU_DEP_2)
	v_sub_nc_i16 v35, v36, v35 clamp
	v_sub_nc_i16 v28, v28, v31 clamp
	v_and_b32_e32 v31, 0xffffff00, v34
	v_lshlrev_b16 v34, 8, v34
	s_delay_alu instid0(VALU_DEP_3) | instskip(NEXT) | instid1(VALU_DEP_3)
	v_perm_b32 v28, v28, v35, 0xc0c0105
	v_sub_nc_i16 v31, v31, v37 clamp
	s_delay_alu instid0(VALU_DEP_3) | instskip(NEXT) | instid1(VALU_DEP_1)
	v_sub_nc_i16 v29, v34, v29 clamp
	v_perm_b32 v29, v29, v31, 0xc0c0105
	v_bfe_u32 v31, v30, 21, 8
	v_lshrrev_b32_e32 v30, 28, v30
	s_delay_alu instid0(VALU_DEP_3) | instskip(SKIP_3) | instid1(VALU_DEP_3)
	v_lshl_or_b32 v28, v29, 16, v28
	v_lshrrev_b32_e32 v29, 14, v27
	v_lshrrev_b32_e32 v27, 22, v27
	v_bcnt_u32_b32 v34, v31, 0
	v_and_b32_e32 v29, 0x3fc, v29
	s_delay_alu instid0(VALU_DEP_3) | instskip(NEXT) | instid1(VALU_DEP_3)
	v_and_b32_e32 v27, 0x3fc, v27
	v_and_b32_e32 v34, 1, v34
	s_clause 0x1
	global_load_b32 v29, v29, s[4:5]
	global_load_b32 v27, v27, s[4:5]
	v_lshlrev_b32_e32 v34, 7, v34
	s_delay_alu instid0(VALU_DEP_1) | instskip(NEXT) | instid1(VALU_DEP_1)
	v_xor_b32_e32 v31, v34, v31
	v_mul_lo_u32 v31, 0x1010101, v31
	s_delay_alu instid0(VALU_DEP_1) | instskip(NEXT) | instid1(VALU_DEP_1)
	v_and_b32_e32 v34, 0x8040201, v31
	v_lshrrev_b16 v35, 8, v34
	v_lshrrev_b32_e32 v34, 24, v34
	s_delay_alu instid0(VALU_DEP_2) | instskip(NEXT) | instid1(VALU_DEP_2)
	v_cmp_ne_u16_e64 s2, 0, v35
	v_cmp_ne_u16_e32 vcc_lo, 0, v34
	v_lshrrev_b32_e32 v34, 18, v31
	v_bfe_i32 v35, v31, 0, 1
	s_wait_alu 0xf1ff
	v_cndmask_b32_e64 v37, 0, -1, s2
	s_wait_alu 0xfffd
	v_cndmask_b32_e64 v39, 0, -1, vcc_lo
	v_bfe_i32 v34, v34, 0, 1
	v_and_b32_e32 v36, 0xff, v35
	v_lshlrev_b16 v35, 8, v35
	v_lshlrev_b16 v37, 8, v37
	;; [unrolled: 1-line block ×3, first 2 shown]
	v_and_b32_e32 v38, 0xff, v34
	v_lshlrev_b16 v34, 8, v34
	s_delay_alu instid0(VALU_DEP_4) | instskip(NEXT) | instid1(VALU_DEP_3)
	v_or_b32_e32 v36, v36, v37
	v_or_b32_e32 v38, v38, v39
	s_delay_alu instid0(VALU_DEP_2) | instskip(NEXT) | instid1(VALU_DEP_2)
	v_and_b32_e32 v36, 0xffff, v36
	v_lshlrev_b32_e32 v38, 16, v38
	s_delay_alu instid0(VALU_DEP_1) | instskip(SKIP_1) | instid1(VALU_DEP_1)
	v_or_b32_e32 v36, v36, v38
	s_wait_loadcnt 0x1
	v_xor_b32_e32 v29, v29, v36
	s_delay_alu instid0(VALU_DEP_1) | instskip(SKIP_2) | instid1(VALU_DEP_2)
	v_lshrrev_b32_e32 v36, 16, v29
	v_and_b32_e32 v38, 0xffffff00, v29
	v_lshlrev_b16 v29, 8, v29
	v_sub_nc_i16 v37, v38, v37 clamp
	s_delay_alu instid0(VALU_DEP_2) | instskip(SKIP_2) | instid1(VALU_DEP_3)
	v_sub_nc_i16 v29, v29, v35 clamp
	v_and_b32_e32 v35, 0xffffff00, v36
	v_lshlrev_b16 v36, 8, v36
	v_perm_b32 v29, v29, v37, 0xc0c0105
	s_delay_alu instid0(VALU_DEP_3) | instskip(NEXT) | instid1(VALU_DEP_3)
	v_sub_nc_i16 v35, v35, v39 clamp
	v_sub_nc_i16 v34, v36, v34 clamp
	s_delay_alu instid0(VALU_DEP_1) | instskip(NEXT) | instid1(VALU_DEP_1)
	v_perm_b32 v34, v34, v35, 0xc0c0105
	v_lshl_or_b32 v29, v34, 16, v29
	v_and_b32_e32 v34, 0x80402010, v31
	v_lshrrev_b32_e32 v31, 22, v31
	s_delay_alu instid0(VALU_DEP_2) | instskip(SKIP_2) | instid1(VALU_DEP_4)
	v_lshrrev_b16 v35, 8, v34
	v_lshrrev_b32_e32 v36, 24, v34
	v_lshrrev_b16 v34, 4, v34
	v_bfe_i32 v31, v31, 0, 1
	s_delay_alu instid0(VALU_DEP_4) | instskip(NEXT) | instid1(VALU_DEP_4)
	v_cmp_ne_u16_e64 s2, 0, v35
	v_cmp_ne_u16_e32 vcc_lo, 0, v36
	s_delay_alu instid0(VALU_DEP_4) | instskip(NEXT) | instid1(VALU_DEP_4)
	v_bfe_i32 v34, v34, 0, 1
	v_and_b32_e32 v37, 0xff, v31
	v_lshlrev_b16 v31, 8, v31
	s_wait_alu 0xf1ff
	v_cndmask_b32_e64 v36, 0, -1, s2
	s_wait_alu 0xfffd
	v_cndmask_b32_e64 v38, 0, -1, vcc_lo
	v_and_b32_e32 v35, 0xff, v34
	v_lshlrev_b16 v34, 8, v34
	v_lshlrev_b16 v36, 8, v36
	s_delay_alu instid0(VALU_DEP_4) | instskip(NEXT) | instid1(VALU_DEP_2)
	v_lshlrev_b16 v38, 8, v38
	v_or_b32_e32 v35, v35, v36
	s_delay_alu instid0(VALU_DEP_2) | instskip(NEXT) | instid1(VALU_DEP_2)
	v_or_b32_e32 v37, v37, v38
	v_and_b32_e32 v35, 0xffff, v35
	s_delay_alu instid0(VALU_DEP_2) | instskip(NEXT) | instid1(VALU_DEP_1)
	v_lshlrev_b32_e32 v37, 16, v37
	v_or_b32_e32 v35, v35, v37
	s_wait_loadcnt 0x0
	s_delay_alu instid0(VALU_DEP_1) | instskip(NEXT) | instid1(VALU_DEP_1)
	v_xor_b32_e32 v27, v27, v35
	v_lshrrev_b32_e32 v35, 16, v27
	v_and_b32_e32 v37, 0xffffff00, v27
	v_lshlrev_b16 v27, 8, v27
	s_delay_alu instid0(VALU_DEP_2) | instskip(NEXT) | instid1(VALU_DEP_2)
	v_sub_nc_i16 v36, v37, v36 clamp
	v_sub_nc_i16 v27, v27, v34 clamp
	v_and_b32_e32 v34, 0xffffff00, v35
	v_lshlrev_b16 v35, 8, v35
	s_delay_alu instid0(VALU_DEP_3) | instskip(NEXT) | instid1(VALU_DEP_3)
	v_perm_b32 v27, v27, v36, 0xc0c0105
	v_sub_nc_i16 v34, v34, v38 clamp
	s_delay_alu instid0(VALU_DEP_3) | instskip(NEXT) | instid1(VALU_DEP_1)
	v_sub_nc_i16 v31, v35, v31 clamp
	v_perm_b32 v31, v31, v34, 0xc0c0105
	s_delay_alu instid0(VALU_DEP_1)
	v_lshl_or_b32 v31, v31, 16, v27
	global_load_u16 v27, v[32:33], off
	s_clause 0x2
	global_load_b128 v[32:35], v[5:6], off offset:-16
	global_load_b32 v40, v[5:6], off offset:16
	global_load_b128 v[36:39], v[5:6], off
	v_add_co_u32 v5, vcc_lo, 0x480, v5
	s_wait_alu 0xfffd
	v_add_co_ci_u32_e64 v6, null, 0, v6, vcc_lo
	v_cmp_le_u32_e32 vcc_lo, s22, v15
	s_or_b32 s3, vcc_lo, s3
	s_wait_loadcnt 0x2
	v_dot4_i32_iu8 v33, v22, v33, 0 neg_lo:[1,1,0]
	v_cvt_f32_f16_e32 v27, v27
	v_cvt_f32_f16_e32 v32, v32
	s_delay_alu instid0(VALU_DEP_3) | instskip(NEXT) | instid1(VALU_DEP_2)
	v_dot4_i32_iu8 v33, v23, v34, v33 neg_lo:[1,1,0]
	v_mul_f32_e32 v32, v27, v32
	s_delay_alu instid0(VALU_DEP_2) | instskip(SKIP_1) | instid1(VALU_DEP_1)
	v_dot4_i32_iu8 v33, v24, v35, v33 neg_lo:[1,1,0]
	s_wait_loadcnt 0x0
	v_dot4_i32_iu8 v33, v25, v36, v33 neg_lo:[1,1,0]
	s_delay_alu instid0(VALU_DEP_1) | instskip(SKIP_2) | instid1(VALU_DEP_3)
	v_dot4_i32_iu8 v33, v26, v37, v33 neg_lo:[1,1,0]
	v_mad_co_u64_u32 v[36:37], null, v17, 36, v[0:1]
	v_add_nc_u32_e32 v17, 32, v17
	v_dot4_i32_iu8 v33, v28, v38, v33 neg_lo:[1,1,0]
	s_delay_alu instid0(VALU_DEP_1) | instskip(NEXT) | instid1(VALU_DEP_1)
	v_dot4_i32_iu8 v33, v29, v39, v33 neg_lo:[1,1,0]
	v_dot4_i32_iu8 v34, v31, v40, v33 neg_lo:[1,1,0]
	s_delay_alu instid0(VALU_DEP_1) | instskip(NEXT) | instid1(VALU_DEP_1)
	v_lshrrev_b32_e32 v33, 31, v34
	v_add_nc_u32_e32 v33, v34, v33
	s_delay_alu instid0(VALU_DEP_1) | instskip(NEXT) | instid1(VALU_DEP_1)
	v_ashrrev_i32_e32 v33, 1, v33
	v_mad_co_u64_u32 v[33:34], null, v34, v30, v[33:34]
	s_delay_alu instid0(VALU_DEP_1) | instskip(NEXT) | instid1(VALU_DEP_1)
	v_lshrrev_b32_e32 v34, 31, v33
	v_add_nc_u32_e32 v33, v33, v34
	s_delay_alu instid0(VALU_DEP_1) | instskip(NEXT) | instid1(VALU_DEP_1)
	v_ashrrev_i32_e32 v33, 1, v33
	v_cvt_f32_i32_e32 v33, v33
	s_delay_alu instid0(VALU_DEP_1)
	v_fmac_f32_e32 v16, v32, v33
	s_clause 0x2
	global_load_b128 v[32:35], v[36:37], off
	global_load_b32 v40, v[36:37], off offset:32
	global_load_b128 v[36:39], v[36:37], off offset:16
	s_wait_loadcnt 0x2
	v_dot4_i32_iu8 v33, v22, v33, 0 neg_lo:[1,1,0]
	v_cvt_f32_f16_e32 v32, v32
	s_delay_alu instid0(VALU_DEP_2) | instskip(NEXT) | instid1(VALU_DEP_2)
	v_dot4_i32_iu8 v33, v23, v34, v33 neg_lo:[1,1,0]
	v_mul_f32_e32 v32, v27, v32
	s_delay_alu instid0(VALU_DEP_2) | instskip(SKIP_1) | instid1(VALU_DEP_1)
	v_dot4_i32_iu8 v33, v24, v35, v33 neg_lo:[1,1,0]
	s_wait_loadcnt 0x0
	v_dot4_i32_iu8 v33, v25, v36, v33 neg_lo:[1,1,0]
	s_delay_alu instid0(VALU_DEP_1) | instskip(SKIP_2) | instid1(VALU_DEP_3)
	v_dot4_i32_iu8 v33, v26, v37, v33 neg_lo:[1,1,0]
	v_mad_co_u64_u32 v[36:37], null, v19, 36, v[0:1]
	v_add_nc_u32_e32 v19, 32, v19
	v_dot4_i32_iu8 v33, v28, v38, v33 neg_lo:[1,1,0]
	s_delay_alu instid0(VALU_DEP_1) | instskip(NEXT) | instid1(VALU_DEP_1)
	v_dot4_i32_iu8 v33, v29, v39, v33 neg_lo:[1,1,0]
	v_dot4_i32_iu8 v34, v31, v40, v33 neg_lo:[1,1,0]
	s_delay_alu instid0(VALU_DEP_1) | instskip(NEXT) | instid1(VALU_DEP_1)
	v_lshrrev_b32_e32 v33, 31, v34
	v_add_nc_u32_e32 v33, v34, v33
	s_delay_alu instid0(VALU_DEP_1) | instskip(NEXT) | instid1(VALU_DEP_1)
	v_ashrrev_i32_e32 v33, 1, v33
	v_mad_co_u64_u32 v[33:34], null, v34, v30, v[33:34]
	s_delay_alu instid0(VALU_DEP_1) | instskip(NEXT) | instid1(VALU_DEP_1)
	v_lshrrev_b32_e32 v34, 31, v33
	v_add_nc_u32_e32 v33, v33, v34
	s_delay_alu instid0(VALU_DEP_1) | instskip(NEXT) | instid1(VALU_DEP_1)
	v_ashrrev_i32_e32 v33, 1, v33
	v_cvt_f32_i32_e32 v33, v33
	s_delay_alu instid0(VALU_DEP_1)
	v_fmac_f32_e32 v14, v32, v33
	s_clause 0x2
	global_load_b128 v[32:35], v[36:37], off
	global_load_b32 v40, v[36:37], off offset:32
	global_load_b128 v[36:39], v[36:37], off offset:16
	s_wait_loadcnt 0x2
	v_dot4_i32_iu8 v33, v22, v33, 0 neg_lo:[1,1,0]
	v_cvt_f32_f16_e32 v32, v32
	s_delay_alu instid0(VALU_DEP_2) | instskip(NEXT) | instid1(VALU_DEP_2)
	;; [unrolled: 36-line block ×5, first 2 shown]
	v_dot4_i32_iu8 v33, v23, v34, v33 neg_lo:[1,1,0]
	v_mul_f32_e32 v32, v27, v32
	s_delay_alu instid0(VALU_DEP_2) | instskip(SKIP_1) | instid1(VALU_DEP_1)
	v_dot4_i32_iu8 v33, v24, v35, v33 neg_lo:[1,1,0]
	s_wait_loadcnt 0x0
	v_dot4_i32_iu8 v33, v25, v36, v33 neg_lo:[1,1,0]
	s_delay_alu instid0(VALU_DEP_1) | instskip(SKIP_2) | instid1(VALU_DEP_3)
	v_dot4_i32_iu8 v33, v26, v37, v33 neg_lo:[1,1,0]
	v_mad_co_u64_u32 v[36:37], null, v2, 36, v[0:1]
	v_add_nc_u32_e32 v2, 32, v2
	v_dot4_i32_iu8 v33, v28, v38, v33 neg_lo:[1,1,0]
	s_delay_alu instid0(VALU_DEP_1) | instskip(NEXT) | instid1(VALU_DEP_1)
	v_dot4_i32_iu8 v33, v29, v39, v33 neg_lo:[1,1,0]
	v_dot4_i32_iu8 v34, v31, v40, v33 neg_lo:[1,1,0]
	s_delay_alu instid0(VALU_DEP_1) | instskip(NEXT) | instid1(VALU_DEP_1)
	v_lshrrev_b32_e32 v33, 31, v34
	v_add_nc_u32_e32 v33, v34, v33
	s_delay_alu instid0(VALU_DEP_1) | instskip(NEXT) | instid1(VALU_DEP_1)
	v_ashrrev_i32_e32 v33, 1, v33
	v_mad_co_u64_u32 v[33:34], null, v34, v30, v[33:34]
	s_delay_alu instid0(VALU_DEP_1) | instskip(NEXT) | instid1(VALU_DEP_1)
	v_lshrrev_b32_e32 v34, 31, v33
	v_add_nc_u32_e32 v33, v33, v34
	s_delay_alu instid0(VALU_DEP_1) | instskip(NEXT) | instid1(VALU_DEP_1)
	v_ashrrev_i32_e32 v33, 1, v33
	v_cvt_f32_i32_e32 v33, v33
	s_delay_alu instid0(VALU_DEP_1)
	v_fmac_f32_e32 v8, v32, v33
	s_clause 0x2
	global_load_b128 v[32:35], v[36:37], off
	global_load_b32 v40, v[36:37], off offset:32
	global_load_b128 v[36:39], v[36:37], off offset:16
	s_wait_loadcnt 0x2
	v_dot4_i32_iu8 v22, v22, v33, 0 neg_lo:[1,1,0]
	s_delay_alu instid0(VALU_DEP_1) | instskip(NEXT) | instid1(VALU_DEP_1)
	v_dot4_i32_iu8 v22, v23, v34, v22 neg_lo:[1,1,0]
	v_dot4_i32_iu8 v22, v24, v35, v22 neg_lo:[1,1,0]
	s_wait_loadcnt 0x0
	s_delay_alu instid0(VALU_DEP_1) | instskip(NEXT) | instid1(VALU_DEP_1)
	v_dot4_i32_iu8 v22, v25, v36, v22 neg_lo:[1,1,0]
	v_dot4_i32_iu8 v22, v26, v37, v22 neg_lo:[1,1,0]
	s_delay_alu instid0(VALU_DEP_1) | instskip(NEXT) | instid1(VALU_DEP_1)
	v_dot4_i32_iu8 v22, v28, v38, v22 neg_lo:[1,1,0]
	v_dot4_i32_iu8 v22, v29, v39, v22 neg_lo:[1,1,0]
	s_delay_alu instid0(VALU_DEP_1) | instskip(NEXT) | instid1(VALU_DEP_1)
	v_dot4_i32_iu8 v23, v31, v40, v22 neg_lo:[1,1,0]
	v_lshrrev_b32_e32 v22, 31, v23
	s_delay_alu instid0(VALU_DEP_1) | instskip(NEXT) | instid1(VALU_DEP_1)
	v_add_nc_u32_e32 v22, v23, v22
	v_ashrrev_i32_e32 v22, 1, v22
	s_delay_alu instid0(VALU_DEP_1) | instskip(NEXT) | instid1(VALU_DEP_1)
	v_mad_co_u64_u32 v[22:23], null, v23, v30, v[22:23]
	v_lshrrev_b32_e32 v23, 31, v22
	s_delay_alu instid0(VALU_DEP_1) | instskip(SKIP_1) | instid1(VALU_DEP_2)
	v_add_nc_u32_e32 v22, v22, v23
	v_cvt_f32_f16_e32 v23, v32
	v_ashrrev_i32_e32 v22, 1, v22
	s_delay_alu instid0(VALU_DEP_2) | instskip(NEXT) | instid1(VALU_DEP_2)
	v_mul_f32_e32 v23, v27, v23
	v_cvt_f32_i32_e32 v22, v22
	s_delay_alu instid0(VALU_DEP_1)
	v_fmac_f32_e32 v7, v23, v22
	s_wait_alu 0xfffe
	s_and_not1_b32 exec_lo, exec_lo, s3
	s_cbranch_execnz .LBB202_2
; %bb.3:
	s_or_b32 exec_lo, exec_lo, s3
.LBB202_4:
	s_delay_alu instid0(SALU_CYCLE_1)
	s_or_b32 exec_lo, exec_lo, s21
	s_mov_b32 s3, 0
	; wave barrier
	global_inv scope:SCOPE_SE
	s_mov_b32 s2, exec_lo
	v_cmpx_eq_u32_e32 0, v13
	s_cbranch_execz .LBB202_19
; %bb.5:
	v_mbcnt_lo_u32_b32 v4, -1, 0
	s_load_b64 s[0:1], s[0:1], 0x38
	s_mul_i32 s2, s10, s19
	s_mul_i32 s4, s18, s20
	s_wait_alu 0xfffe
	s_add_co_i32 s2, s2, ttmp9
	v_xor_b32_e32 v0, 16, v4
	v_xor_b32_e32 v1, 8, v4
	;; [unrolled: 1-line block ×3, first 2 shown]
	s_wait_alu 0xfffe
	s_add_co_i32 s2, s2, s4
	s_wait_alu 0xfffe
	s_lshl_b64 s[2:3], s[2:3], 2
	v_cmp_gt_i32_e32 vcc_lo, 32, v0
	s_wait_alu 0xfffd
	v_cndmask_b32_e32 v0, v4, v0, vcc_lo
	v_cmp_gt_i32_e32 vcc_lo, 32, v1
	s_wait_kmcnt 0x0
	s_wait_alu 0xfffe
	s_add_nc_u64 s[0:1], s[0:1], s[2:3]
	s_wait_alu 0xfffd
	v_cndmask_b32_e32 v1, v4, v1, vcc_lo
	s_delay_alu instid0(VALU_DEP_1)
	v_lshlrev_b32_e32 v1, 2, v1
	v_lshlrev_b32_e32 v0, 2, v0
	ds_bpermute_b32 v2, v0, v16
	s_wait_dscnt 0x0
	v_add_f32_e32 v3, v16, v2
	v_xor_b32_e32 v2, 4, v4
	ds_bpermute_b32 v5, v1, v3
	v_cmp_gt_i32_e32 vcc_lo, 32, v2
	s_wait_dscnt 0x0
	s_wait_alu 0xfffd
	v_dual_cndmask_b32 v2, v4, v2 :: v_dual_add_f32 v5, v3, v5
	s_delay_alu instid0(VALU_DEP_1)
	v_lshlrev_b32_e32 v2, 2, v2
	v_xor_b32_e32 v3, 2, v4
	ds_bpermute_b32 v6, v2, v5
	v_cmp_gt_i32_e32 vcc_lo, 32, v3
	s_wait_alu 0xfffd
	v_cndmask_b32_e32 v3, v4, v3, vcc_lo
	v_cmp_gt_i32_e32 vcc_lo, 32, v13
	s_wait_alu 0xfffd
	v_cndmask_b32_e32 v4, v4, v13, vcc_lo
	v_cmp_eq_u32_e32 vcc_lo, 0, v9
	s_delay_alu instid0(VALU_DEP_2)
	v_lshlrev_b32_e32 v4, 2, v4
	v_lshlrev_b32_e32 v3, 2, v3
	s_wait_dscnt 0x0
	v_add_f32_e32 v5, v5, v6
	ds_bpermute_b32 v6, v3, v5
	s_wait_dscnt 0x0
	v_add_f32_e32 v5, v5, v6
	ds_bpermute_b32 v6, v4, v5
	s_and_saveexec_b32 s2, vcc_lo
	s_cbranch_execz .LBB202_7
; %bb.6:
	s_wait_dscnt 0x0
	v_dual_add_f32 v5, v5, v6 :: v_dual_mov_b32 v6, 0
	global_store_b32 v6, v5, s[0:1]
.LBB202_7:
	s_wait_alu 0xfffe
	s_or_b32 exec_lo, exec_lo, s2
	ds_bpermute_b32 v5, v0, v14
	s_wait_dscnt 0x0
	v_add_f32_e32 v5, v14, v5
	ds_bpermute_b32 v6, v1, v5
	s_wait_dscnt 0x0
	v_add_f32_e32 v5, v5, v6
	;; [unrolled: 3-line block ×4, first 2 shown]
	ds_bpermute_b32 v6, v4, v5
	s_and_saveexec_b32 s2, vcc_lo
	s_cbranch_execz .LBB202_9
; %bb.8:
	s_mov_b32 s7, 0
	s_wait_dscnt 0x0
	v_dual_add_f32 v5, v5, v6 :: v_dual_mov_b32 v6, 0
	s_wait_alu 0xfffe
	s_lshl_b64 s[4:5], s[6:7], 2
	s_wait_alu 0xfffe
	s_add_nc_u64 s[4:5], s[0:1], s[4:5]
	global_store_b32 v6, v5, s[4:5]
.LBB202_9:
	s_wait_alu 0xfffe
	s_or_b32 exec_lo, exec_lo, s2
	ds_bpermute_b32 v5, v0, v12
	s_wait_dscnt 0x0
	v_add_f32_e32 v5, v12, v5
	ds_bpermute_b32 v6, v1, v5
	s_wait_dscnt 0x0
	v_add_f32_e32 v5, v5, v6
	;; [unrolled: 3-line block ×4, first 2 shown]
	ds_bpermute_b32 v6, v4, v5
	s_and_saveexec_b32 s2, vcc_lo
	s_cbranch_execz .LBB202_11
; %bb.10:
	s_lshl_b32 s4, s6, 1
	s_mov_b32 s5, 0
	s_wait_dscnt 0x0
	v_dual_add_f32 v5, v5, v6 :: v_dual_mov_b32 v6, 0
	s_wait_alu 0xfffe
	s_lshl_b64 s[4:5], s[4:5], 2
	s_wait_alu 0xfffe
	s_add_nc_u64 s[4:5], s[0:1], s[4:5]
	global_store_b32 v6, v5, s[4:5]
.LBB202_11:
	s_wait_alu 0xfffe
	s_or_b32 exec_lo, exec_lo, s2
	ds_bpermute_b32 v5, v0, v11
	s_wait_dscnt 0x0
	v_add_f32_e32 v5, v11, v5
	ds_bpermute_b32 v6, v1, v5
	s_wait_dscnt 0x0
	v_add_f32_e32 v5, v5, v6
	;; [unrolled: 3-line block ×4, first 2 shown]
	ds_bpermute_b32 v6, v4, v5
	s_and_saveexec_b32 s2, vcc_lo
	s_cbranch_execz .LBB202_13
; %bb.12:
	s_mul_i32 s4, s6, 3
	s_mov_b32 s5, 0
	s_wait_dscnt 0x0
	v_dual_add_f32 v5, v5, v6 :: v_dual_mov_b32 v6, 0
	s_wait_alu 0xfffe
	s_lshl_b64 s[4:5], s[4:5], 2
	s_wait_alu 0xfffe
	s_add_nc_u64 s[4:5], s[0:1], s[4:5]
	global_store_b32 v6, v5, s[4:5]
.LBB202_13:
	s_wait_alu 0xfffe
	s_or_b32 exec_lo, exec_lo, s2
	ds_bpermute_b32 v5, v0, v10
	s_wait_dscnt 0x0
	v_add_f32_e32 v5, v10, v5
	ds_bpermute_b32 v6, v1, v5
	s_wait_dscnt 0x0
	v_add_f32_e32 v5, v5, v6
	;; [unrolled: 3-line block ×4, first 2 shown]
	ds_bpermute_b32 v6, v4, v5
	s_and_saveexec_b32 s2, vcc_lo
	s_cbranch_execz .LBB202_15
; %bb.14:
	s_lshl_b32 s4, s6, 2
	s_mov_b32 s5, 0
	s_wait_dscnt 0x0
	v_dual_add_f32 v5, v5, v6 :: v_dual_mov_b32 v6, 0
	s_wait_alu 0xfffe
	s_lshl_b64 s[4:5], s[4:5], 2
	s_wait_alu 0xfffe
	s_add_nc_u64 s[4:5], s[0:1], s[4:5]
	global_store_b32 v6, v5, s[4:5]
.LBB202_15:
	s_wait_alu 0xfffe
	s_or_b32 exec_lo, exec_lo, s2
	ds_bpermute_b32 v5, v0, v8
	s_wait_dscnt 0x0
	v_add_f32_e32 v5, v8, v5
	ds_bpermute_b32 v6, v1, v5
	s_wait_dscnt 0x0
	v_add_f32_e32 v5, v5, v6
	;; [unrolled: 3-line block ×4, first 2 shown]
	ds_bpermute_b32 v6, v4, v5
	s_and_saveexec_b32 s2, vcc_lo
	s_cbranch_execz .LBB202_17
; %bb.16:
	s_mul_i32 s4, s6, 5
	s_mov_b32 s5, 0
	s_wait_dscnt 0x0
	v_dual_add_f32 v5, v5, v6 :: v_dual_mov_b32 v6, 0
	s_wait_alu 0xfffe
	s_lshl_b64 s[4:5], s[4:5], 2
	s_wait_alu 0xfffe
	s_add_nc_u64 s[4:5], s[0:1], s[4:5]
	global_store_b32 v6, v5, s[4:5]
.LBB202_17:
	s_wait_alu 0xfffe
	s_or_b32 exec_lo, exec_lo, s2
	ds_bpermute_b32 v0, v0, v7
	s_wait_dscnt 0x0
	v_add_f32_e32 v0, v7, v0
	ds_bpermute_b32 v1, v1, v0
	s_wait_dscnt 0x0
	v_add_f32_e32 v0, v0, v1
	;; [unrolled: 3-line block ×4, first 2 shown]
	ds_bpermute_b32 v1, v4, v0
	s_and_b32 exec_lo, exec_lo, vcc_lo
	s_cbranch_execz .LBB202_19
; %bb.18:
	s_mul_i32 s2, s6, 6
	s_mov_b32 s3, 0
	s_wait_dscnt 0x0
	v_dual_add_f32 v0, v0, v1 :: v_dual_mov_b32 v1, 0
	s_wait_alu 0xfffe
	s_lshl_b64 s[2:3], s[2:3], 2
	s_wait_alu 0xfffe
	s_add_nc_u64 s[0:1], s[0:1], s[2:3]
	global_store_b32 v1, v0, s[0:1]
.LBB202_19:
	s_endpgm
	.section	.rodata,"a",@progbits
	.p2align	6, 0x0
	.amdhsa_kernel _ZL13mul_mat_vec_qIL9ggml_type18ELi7ELb0ELb0EEvPKvS2_PKi31ggml_cuda_mm_fusion_args_devicePfj15HIP_vector_typeIjLj3EEjjjS8_jjjS8_jjjj
		.amdhsa_group_segment_fixed_size 0
		.amdhsa_private_segment_fixed_size 0
		.amdhsa_kernarg_size 144
		.amdhsa_user_sgpr_count 2
		.amdhsa_user_sgpr_dispatch_ptr 0
		.amdhsa_user_sgpr_queue_ptr 0
		.amdhsa_user_sgpr_kernarg_segment_ptr 1
		.amdhsa_user_sgpr_dispatch_id 0
		.amdhsa_user_sgpr_private_segment_size 0
		.amdhsa_wavefront_size32 1
		.amdhsa_uses_dynamic_stack 0
		.amdhsa_enable_private_segment 0
		.amdhsa_system_sgpr_workgroup_id_x 1
		.amdhsa_system_sgpr_workgroup_id_y 1
		.amdhsa_system_sgpr_workgroup_id_z 1
		.amdhsa_system_sgpr_workgroup_info 0
		.amdhsa_system_vgpr_workitem_id 1
		.amdhsa_next_free_vgpr 41
		.amdhsa_next_free_sgpr 30
		.amdhsa_reserve_vcc 1
		.amdhsa_float_round_mode_32 0
		.amdhsa_float_round_mode_16_64 0
		.amdhsa_float_denorm_mode_32 3
		.amdhsa_float_denorm_mode_16_64 3
		.amdhsa_fp16_overflow 0
		.amdhsa_workgroup_processor_mode 1
		.amdhsa_memory_ordered 1
		.amdhsa_forward_progress 1
		.amdhsa_inst_pref_size 47
		.amdhsa_round_robin_scheduling 0
		.amdhsa_exception_fp_ieee_invalid_op 0
		.amdhsa_exception_fp_denorm_src 0
		.amdhsa_exception_fp_ieee_div_zero 0
		.amdhsa_exception_fp_ieee_overflow 0
		.amdhsa_exception_fp_ieee_underflow 0
		.amdhsa_exception_fp_ieee_inexact 0
		.amdhsa_exception_int_div_zero 0
	.end_amdhsa_kernel
	.section	.text._ZL13mul_mat_vec_qIL9ggml_type18ELi7ELb0ELb0EEvPKvS2_PKi31ggml_cuda_mm_fusion_args_devicePfj15HIP_vector_typeIjLj3EEjjjS8_jjjS8_jjjj,"axG",@progbits,_ZL13mul_mat_vec_qIL9ggml_type18ELi7ELb0ELb0EEvPKvS2_PKi31ggml_cuda_mm_fusion_args_devicePfj15HIP_vector_typeIjLj3EEjjjS8_jjjS8_jjjj,comdat
.Lfunc_end202:
	.size	_ZL13mul_mat_vec_qIL9ggml_type18ELi7ELb0ELb0EEvPKvS2_PKi31ggml_cuda_mm_fusion_args_devicePfj15HIP_vector_typeIjLj3EEjjjS8_jjjS8_jjjj, .Lfunc_end202-_ZL13mul_mat_vec_qIL9ggml_type18ELi7ELb0ELb0EEvPKvS2_PKi31ggml_cuda_mm_fusion_args_devicePfj15HIP_vector_typeIjLj3EEjjjS8_jjjS8_jjjj
                                        ; -- End function
	.set _ZL13mul_mat_vec_qIL9ggml_type18ELi7ELb0ELb0EEvPKvS2_PKi31ggml_cuda_mm_fusion_args_devicePfj15HIP_vector_typeIjLj3EEjjjS8_jjjS8_jjjj.num_vgpr, 41
	.set _ZL13mul_mat_vec_qIL9ggml_type18ELi7ELb0ELb0EEvPKvS2_PKi31ggml_cuda_mm_fusion_args_devicePfj15HIP_vector_typeIjLj3EEjjjS8_jjjS8_jjjj.num_agpr, 0
	.set _ZL13mul_mat_vec_qIL9ggml_type18ELi7ELb0ELb0EEvPKvS2_PKi31ggml_cuda_mm_fusion_args_devicePfj15HIP_vector_typeIjLj3EEjjjS8_jjjS8_jjjj.numbered_sgpr, 30
	.set _ZL13mul_mat_vec_qIL9ggml_type18ELi7ELb0ELb0EEvPKvS2_PKi31ggml_cuda_mm_fusion_args_devicePfj15HIP_vector_typeIjLj3EEjjjS8_jjjS8_jjjj.num_named_barrier, 0
	.set _ZL13mul_mat_vec_qIL9ggml_type18ELi7ELb0ELb0EEvPKvS2_PKi31ggml_cuda_mm_fusion_args_devicePfj15HIP_vector_typeIjLj3EEjjjS8_jjjS8_jjjj.private_seg_size, 0
	.set _ZL13mul_mat_vec_qIL9ggml_type18ELi7ELb0ELb0EEvPKvS2_PKi31ggml_cuda_mm_fusion_args_devicePfj15HIP_vector_typeIjLj3EEjjjS8_jjjS8_jjjj.uses_vcc, 1
	.set _ZL13mul_mat_vec_qIL9ggml_type18ELi7ELb0ELb0EEvPKvS2_PKi31ggml_cuda_mm_fusion_args_devicePfj15HIP_vector_typeIjLj3EEjjjS8_jjjS8_jjjj.uses_flat_scratch, 0
	.set _ZL13mul_mat_vec_qIL9ggml_type18ELi7ELb0ELb0EEvPKvS2_PKi31ggml_cuda_mm_fusion_args_devicePfj15HIP_vector_typeIjLj3EEjjjS8_jjjS8_jjjj.has_dyn_sized_stack, 0
	.set _ZL13mul_mat_vec_qIL9ggml_type18ELi7ELb0ELb0EEvPKvS2_PKi31ggml_cuda_mm_fusion_args_devicePfj15HIP_vector_typeIjLj3EEjjjS8_jjjS8_jjjj.has_recursion, 0
	.set _ZL13mul_mat_vec_qIL9ggml_type18ELi7ELb0ELb0EEvPKvS2_PKi31ggml_cuda_mm_fusion_args_devicePfj15HIP_vector_typeIjLj3EEjjjS8_jjjS8_jjjj.has_indirect_call, 0
	.section	.AMDGPU.csdata,"",@progbits
; Kernel info:
; codeLenInByte = 6008
; TotalNumSgprs: 32
; NumVgprs: 41
; ScratchSize: 0
; MemoryBound: 0
; FloatMode: 240
; IeeeMode: 1
; LDSByteSize: 0 bytes/workgroup (compile time only)
; SGPRBlocks: 0
; VGPRBlocks: 5
; NumSGPRsForWavesPerEU: 32
; NumVGPRsForWavesPerEU: 41
; Occupancy: 16
; WaveLimiterHint : 0
; COMPUTE_PGM_RSRC2:SCRATCH_EN: 0
; COMPUTE_PGM_RSRC2:USER_SGPR: 2
; COMPUTE_PGM_RSRC2:TRAP_HANDLER: 0
; COMPUTE_PGM_RSRC2:TGID_X_EN: 1
; COMPUTE_PGM_RSRC2:TGID_Y_EN: 1
; COMPUTE_PGM_RSRC2:TGID_Z_EN: 1
; COMPUTE_PGM_RSRC2:TIDIG_COMP_CNT: 1
	.section	.text._ZL13mul_mat_vec_qIL9ggml_type18ELi8ELb0ELb0EEvPKvS2_PKi31ggml_cuda_mm_fusion_args_devicePfj15HIP_vector_typeIjLj3EEjjjS8_jjjS8_jjjj,"axG",@progbits,_ZL13mul_mat_vec_qIL9ggml_type18ELi8ELb0ELb0EEvPKvS2_PKi31ggml_cuda_mm_fusion_args_devicePfj15HIP_vector_typeIjLj3EEjjjS8_jjjS8_jjjj,comdat
	.globl	_ZL13mul_mat_vec_qIL9ggml_type18ELi8ELb0ELb0EEvPKvS2_PKi31ggml_cuda_mm_fusion_args_devicePfj15HIP_vector_typeIjLj3EEjjjS8_jjjS8_jjjj ; -- Begin function _ZL13mul_mat_vec_qIL9ggml_type18ELi8ELb0ELb0EEvPKvS2_PKi31ggml_cuda_mm_fusion_args_devicePfj15HIP_vector_typeIjLj3EEjjjS8_jjjS8_jjjj
	.p2align	8
	.type	_ZL13mul_mat_vec_qIL9ggml_type18ELi8ELb0ELb0EEvPKvS2_PKi31ggml_cuda_mm_fusion_args_devicePfj15HIP_vector_typeIjLj3EEjjjS8_jjjS8_jjjj,@function
_ZL13mul_mat_vec_qIL9ggml_type18ELi8ELb0ELb0EEvPKvS2_PKi31ggml_cuda_mm_fusion_args_devicePfj15HIP_vector_typeIjLj3EEjjjS8_jjjS8_jjjj: ; @_ZL13mul_mat_vec_qIL9ggml_type18ELi8ELb0ELb0EEvPKvS2_PKi31ggml_cuda_mm_fusion_args_devicePfj15HIP_vector_typeIjLj3EEjjjS8_jjjS8_jjjj
; %bb.0:
	s_clause 0x5
	s_load_b96 s[16:18], s[0:1], 0x80
	s_load_b32 s3, s[0:1], 0x40
	s_load_b128 s[4:7], s[0:1], 0x50
	s_load_b32 s2, s[0:1], 0x60
	s_load_b128 s[8:11], s[0:1], 0x68
	s_load_b32 s23, s[0:1], 0x78
	v_bfe_u32 v11, v0, 10, 10
	v_dual_mov_b32 v4, 0 :: v_dual_and_b32 v7, 0x3ff, v0
	v_dual_mov_b32 v5, 0 :: v_dual_mov_b32 v6, 0
	v_dual_mov_b32 v8, 0 :: v_dual_mov_b32 v9, 0
	s_delay_alu instid0(VALU_DEP_3)
	v_lshl_or_b32 v0, v11, 5, v7
	v_mov_b32_e32 v10, 0
	v_mov_b32_e32 v12, 0
	;; [unrolled: 1-line block ×3, first 2 shown]
	s_and_b32 s19, ttmp7, 0xffff
	v_lshrrev_b32_e32 v13, 3, v0
	s_lshr_b32 s20, ttmp7, 16
	s_mov_b32 s21, exec_lo
	s_wait_kmcnt 0x0
	s_lshr_b32 s22, s3, 8
	s_delay_alu instid0(SALU_CYCLE_1)
	v_cmpx_gt_u32_e64 s22, v13
	s_cbranch_execz .LBB203_4
; %bb.1:
	v_lshl_add_u32 v0, v11, 5, v7
	s_mul_hi_u32 s3, s7, s19
	s_mul_i32 s24, s9, s19
	s_add_co_i32 s7, s19, s3
	s_mov_b32 s3, 0
	v_lshrrev_b32_e32 v0, 3, v0
	s_mov_b32 s25, s3
	s_load_b128 s[12:15], s[0:1], 0x0
	s_mul_u64 s[24:25], s[24:25], 36
	s_lshr_b32 s7, s7, s2
	v_mad_co_u64_u32 v[0:1], null, 0x120, v0, s[24:25]
	s_mul_i32 s2, s17, s20
	v_lshlrev_b32_e32 v2, 1, v7
	v_dual_mov_b32 v9, 0 :: v_dual_and_b32 v6, 7, v7
	s_mul_hi_u32 s9, s11, s20
	s_mul_u64 s[26:27], s[2:3], 36
	v_mad_co_u64_u32 v[0:1], null, s2, 36, v[0:1]
	v_dual_mov_b32 v4, 0 :: v_dual_and_b32 v5, 14, v2
	s_add_co_i32 s9, s20, s9
	s_mul_i32 s7, s7, s8
	s_lshr_b32 s8, s9, s23
	s_delay_alu instid0(VALU_DEP_1) | instskip(NEXT) | instid1(VALU_DEP_3)
	v_lshlrev_b32_e32 v8, 1, v5
	v_mad_co_u64_u32 v[2:3], null, v6, 36, v[0:1]
	s_mul_i32 s11, s8, s16
	s_wait_kmcnt 0x0
	s_add_nc_u64 s[8:9], s[14:15], s[26:27]
	s_mul_i32 s4, s4, ttmp9
	s_add_nc_u64 s[8:9], s[8:9], s[24:25]
	v_lshlrev_b32_e32 v15, 3, v13
	v_mad_co_u64_u32 v[0:1], null, v6, 36, s[8:9]
	v_add_co_u32 v2, vcc_lo, s14, v2
	s_delay_alu instid0(VALU_DEP_1) | instskip(SKIP_1) | instid1(VALU_DEP_3)
	v_add_co_ci_u32_e64 v3, null, s15, v3, vcc_lo
	v_lshlrev_b32_e32 v16, 1, v8
	v_add_co_u32 v2, vcc_lo, v2, 16
	s_wait_alu 0xfffd
	s_delay_alu instid0(VALU_DEP_3)
	v_add_co_ci_u32_e64 v3, null, 0, v3, vcc_lo
	v_dual_mov_b32 v8, 0 :: v_dual_lshlrev_b32 v17, 1, v5
	v_dual_mov_b32 v5, 0 :: v_dual_mov_b32 v6, 0
	v_mov_b32_e32 v10, 0
	v_mov_b32_e32 v12, 0
	;; [unrolled: 1-line block ×3, first 2 shown]
	s_add_co_i32 s7, s7, s4
	s_mul_i32 s14, s5, 5
	s_add_co_i32 s4, s11, s7
	s_mul_i32 s7, s5, 7
	s_mul_i32 s11, s5, 6
	s_lshl_b32 s15, s5, 2
	s_mul_i32 s16, s5, 3
	s_lshl_b32 s17, s5, 1
.LBB203_2:                              ; =>This Inner Loop Header: Depth=1
	v_add_nc_u32_e32 v18, s4, v13
	s_getpc_b64 s[8:9]
	s_wait_alu 0xfffe
	s_sext_i32_i16 s9, s9
	s_add_co_u32 s8, s8, _ZL11iq3xxs_grid@rel32@lo+12
	s_wait_alu 0xfffe
	s_add_co_ci_u32 s9, s9, _ZL11iq3xxs_grid@rel32@hi+24
	v_add_nc_u32_e32 v13, 4, v13
	v_mad_co_i64_i32 v[28:29], null, 0x62, v18, s[12:13]
	s_delay_alu instid0(VALU_DEP_1) | instskip(SKIP_1) | instid1(VALU_DEP_2)
	v_add_co_u32 v18, vcc_lo, v28, v16
	s_wait_alu 0xfffd
	v_add_co_ci_u32_e64 v19, null, 0, v29, vcc_lo
	global_load_b64 v[23:24], v[18:19], off offset:2
	v_add_co_u32 v18, vcc_lo, v28, v17
	s_wait_alu 0xfffd
	v_add_co_ci_u32_e64 v19, null, 0, v29, vcc_lo
	global_load_b32 v26, v[18:19], off offset:66
	s_wait_loadcnt 0x1
	v_and_b32_e32 v18, 0xff, v23
	v_lshrrev_b32_e32 v19, 6, v23
	s_delay_alu instid0(VALU_DEP_2) | instskip(NEXT) | instid1(VALU_DEP_2)
	v_lshlrev_b32_e32 v18, 2, v18
	v_and_b32_e32 v19, 0x3fc, v19
	s_wait_loadcnt 0x0
	v_and_b32_e32 v20, 0xff, v26
	s_clause 0x1
	global_load_b32 v18, v18, s[8:9]
	global_load_b32 v19, v19, s[8:9]
	v_bcnt_u32_b32 v21, v20, 0
	s_delay_alu instid0(VALU_DEP_1) | instskip(NEXT) | instid1(VALU_DEP_1)
	v_and_b32_e32 v21, 1, v21
	v_lshlrev_b32_e32 v21, 7, v21
	s_delay_alu instid0(VALU_DEP_1) | instskip(NEXT) | instid1(VALU_DEP_1)
	v_xor_b32_e32 v20, v21, v20
	v_mul_lo_u32 v20, 0x1010101, v20
	s_delay_alu instid0(VALU_DEP_1) | instskip(NEXT) | instid1(VALU_DEP_1)
	v_and_b32_e32 v21, 0x8040201, v20
	v_lshrrev_b16 v22, 8, v21
	v_lshrrev_b32_e32 v21, 24, v21
	s_delay_alu instid0(VALU_DEP_2) | instskip(NEXT) | instid1(VALU_DEP_2)
	v_cmp_ne_u16_e64 s2, 0, v22
	v_cmp_ne_u16_e32 vcc_lo, 0, v21
	v_lshrrev_b32_e32 v21, 18, v20
	v_bfe_i32 v22, v20, 0, 1
	s_wait_alu 0xf1ff
	v_cndmask_b32_e64 v27, 0, -1, s2
	s_wait_alu 0xfffd
	v_cndmask_b32_e64 v31, 0, -1, vcc_lo
	v_bfe_i32 v21, v21, 0, 1
	v_and_b32_e32 v25, 0xff, v22
	v_lshlrev_b16 v22, 8, v22
	v_lshlrev_b16 v27, 8, v27
	;; [unrolled: 1-line block ×3, first 2 shown]
	v_and_b32_e32 v30, 0xff, v21
	v_lshlrev_b16 v21, 8, v21
	s_delay_alu instid0(VALU_DEP_4) | instskip(NEXT) | instid1(VALU_DEP_3)
	v_or_b32_e32 v25, v25, v27
	v_or_b32_e32 v30, v30, v31
	s_delay_alu instid0(VALU_DEP_2) | instskip(NEXT) | instid1(VALU_DEP_2)
	v_and_b32_e32 v25, 0xffff, v25
	v_lshlrev_b32_e32 v30, 16, v30
	s_delay_alu instid0(VALU_DEP_1) | instskip(SKIP_1) | instid1(VALU_DEP_1)
	v_or_b32_e32 v25, v25, v30
	s_wait_loadcnt 0x1
	v_xor_b32_e32 v18, v18, v25
	s_delay_alu instid0(VALU_DEP_1) | instskip(SKIP_2) | instid1(VALU_DEP_2)
	v_lshrrev_b32_e32 v25, 16, v18
	v_and_b32_e32 v30, 0xffffff00, v18
	v_lshlrev_b16 v18, 8, v18
	v_sub_nc_i16 v27, v30, v27 clamp
	s_delay_alu instid0(VALU_DEP_2) | instskip(SKIP_2) | instid1(VALU_DEP_3)
	v_sub_nc_i16 v18, v18, v22 clamp
	v_and_b32_e32 v22, 0xffffff00, v25
	v_lshlrev_b16 v25, 8, v25
	v_perm_b32 v18, v18, v27, 0xc0c0105
	s_delay_alu instid0(VALU_DEP_3) | instskip(NEXT) | instid1(VALU_DEP_3)
	v_sub_nc_i16 v22, v22, v31 clamp
	v_sub_nc_i16 v21, v25, v21 clamp
	s_delay_alu instid0(VALU_DEP_1) | instskip(NEXT) | instid1(VALU_DEP_1)
	v_perm_b32 v21, v21, v22, 0xc0c0105
	v_lshl_or_b32 v18, v21, 16, v18
	v_and_b32_e32 v21, 0x80402010, v20
	v_lshrrev_b32_e32 v20, 22, v20
	s_delay_alu instid0(VALU_DEP_2) | instskip(SKIP_2) | instid1(VALU_DEP_4)
	v_lshrrev_b16 v22, 8, v21
	v_lshrrev_b32_e32 v25, 24, v21
	v_lshrrev_b16 v21, 4, v21
	v_bfe_i32 v20, v20, 0, 1
	s_delay_alu instid0(VALU_DEP_4) | instskip(NEXT) | instid1(VALU_DEP_4)
	v_cmp_ne_u16_e64 s2, 0, v22
	v_cmp_ne_u16_e32 vcc_lo, 0, v25
	s_delay_alu instid0(VALU_DEP_4) | instskip(NEXT) | instid1(VALU_DEP_4)
	v_bfe_i32 v21, v21, 0, 1
	v_and_b32_e32 v27, 0xff, v20
	v_lshlrev_b16 v20, 8, v20
	s_wait_alu 0xf1ff
	v_cndmask_b32_e64 v25, 0, -1, s2
	s_wait_alu 0xfffd
	v_cndmask_b32_e64 v30, 0, -1, vcc_lo
	v_and_b32_e32 v22, 0xff, v21
	v_lshlrev_b16 v21, 8, v21
	v_lshlrev_b16 v25, 8, v25
	s_delay_alu instid0(VALU_DEP_4) | instskip(NEXT) | instid1(VALU_DEP_2)
	v_lshlrev_b16 v30, 8, v30
	v_or_b32_e32 v22, v22, v25
	s_delay_alu instid0(VALU_DEP_2) | instskip(NEXT) | instid1(VALU_DEP_2)
	v_or_b32_e32 v27, v27, v30
	v_and_b32_e32 v22, 0xffff, v22
	s_delay_alu instid0(VALU_DEP_2) | instskip(NEXT) | instid1(VALU_DEP_1)
	v_lshlrev_b32_e32 v27, 16, v27
	v_or_b32_e32 v22, v22, v27
	s_wait_loadcnt 0x0
	s_delay_alu instid0(VALU_DEP_1) | instskip(NEXT) | instid1(VALU_DEP_1)
	v_xor_b32_e32 v19, v19, v22
	v_lshrrev_b32_e32 v22, 16, v19
	v_and_b32_e32 v27, 0xffffff00, v19
	v_lshlrev_b16 v19, 8, v19
	s_delay_alu instid0(VALU_DEP_2) | instskip(NEXT) | instid1(VALU_DEP_2)
	v_sub_nc_i16 v25, v27, v25 clamp
	v_sub_nc_i16 v19, v19, v21 clamp
	v_and_b32_e32 v21, 0xffffff00, v22
	v_lshlrev_b16 v22, 8, v22
	s_delay_alu instid0(VALU_DEP_3) | instskip(NEXT) | instid1(VALU_DEP_3)
	v_perm_b32 v19, v19, v25, 0xc0c0105
	v_sub_nc_i16 v21, v21, v30 clamp
	s_delay_alu instid0(VALU_DEP_3) | instskip(SKIP_1) | instid1(VALU_DEP_2)
	v_sub_nc_i16 v20, v22, v20 clamp
	v_bfe_u32 v22, v26, 7, 8
	v_perm_b32 v20, v20, v21, 0xc0c0105
	v_lshrrev_b32_e32 v21, 22, v23
	s_delay_alu instid0(VALU_DEP_2) | instskip(SKIP_1) | instid1(VALU_DEP_3)
	v_lshl_or_b32 v19, v20, 16, v19
	v_lshrrev_b32_e32 v20, 14, v23
	v_and_b32_e32 v21, 0x3fc, v21
	v_bcnt_u32_b32 v23, v22, 0
	s_delay_alu instid0(VALU_DEP_3) | instskip(SKIP_4) | instid1(VALU_DEP_1)
	v_and_b32_e32 v20, 0x3fc, v20
	global_load_b32 v21, v21, s[8:9]
	v_and_b32_e32 v23, 1, v23
	global_load_b32 v20, v20, s[8:9]
	v_lshlrev_b32_e32 v23, 7, v23
	v_xor_b32_e32 v22, v23, v22
	s_delay_alu instid0(VALU_DEP_1) | instskip(NEXT) | instid1(VALU_DEP_1)
	v_mul_lo_u32 v22, 0x1010101, v22
	v_and_b32_e32 v23, 0x8040201, v22
	s_delay_alu instid0(VALU_DEP_1) | instskip(SKIP_1) | instid1(VALU_DEP_2)
	v_lshrrev_b16 v25, 8, v23
	v_lshrrev_b32_e32 v23, 24, v23
	v_cmp_ne_u16_e64 s2, 0, v25
	s_delay_alu instid0(VALU_DEP_2)
	v_cmp_ne_u16_e32 vcc_lo, 0, v23
	v_lshrrev_b32_e32 v23, 18, v22
	v_bfe_i32 v25, v22, 0, 1
	s_wait_alu 0xf1ff
	v_cndmask_b32_e64 v30, 0, -1, s2
	s_wait_alu 0xfffd
	v_cndmask_b32_e64 v32, 0, -1, vcc_lo
	v_bfe_i32 v23, v23, 0, 1
	v_and_b32_e32 v27, 0xff, v25
	v_lshlrev_b16 v25, 8, v25
	v_lshlrev_b16 v30, 8, v30
	;; [unrolled: 1-line block ×3, first 2 shown]
	v_and_b32_e32 v31, 0xff, v23
	v_lshlrev_b16 v23, 8, v23
	s_delay_alu instid0(VALU_DEP_4) | instskip(NEXT) | instid1(VALU_DEP_3)
	v_or_b32_e32 v27, v27, v30
	v_or_b32_e32 v31, v31, v32
	s_delay_alu instid0(VALU_DEP_2) | instskip(NEXT) | instid1(VALU_DEP_2)
	v_and_b32_e32 v27, 0xffff, v27
	v_lshlrev_b32_e32 v31, 16, v31
	s_delay_alu instid0(VALU_DEP_1) | instskip(SKIP_1) | instid1(VALU_DEP_1)
	v_or_b32_e32 v27, v27, v31
	s_wait_loadcnt 0x0
	v_xor_b32_e32 v20, v20, v27
	s_delay_alu instid0(VALU_DEP_1) | instskip(SKIP_2) | instid1(VALU_DEP_2)
	v_lshrrev_b32_e32 v27, 16, v20
	v_and_b32_e32 v31, 0xffffff00, v20
	v_lshlrev_b16 v20, 8, v20
	v_sub_nc_i16 v30, v31, v30 clamp
	s_delay_alu instid0(VALU_DEP_2) | instskip(SKIP_2) | instid1(VALU_DEP_3)
	v_sub_nc_i16 v20, v20, v25 clamp
	v_and_b32_e32 v25, 0xffffff00, v27
	v_lshlrev_b16 v27, 8, v27
	v_perm_b32 v20, v20, v30, 0xc0c0105
	s_delay_alu instid0(VALU_DEP_3) | instskip(NEXT) | instid1(VALU_DEP_3)
	v_sub_nc_i16 v25, v25, v32 clamp
	v_sub_nc_i16 v23, v27, v23 clamp
	s_delay_alu instid0(VALU_DEP_1) | instskip(NEXT) | instid1(VALU_DEP_1)
	v_perm_b32 v23, v23, v25, 0xc0c0105
	v_lshl_or_b32 v20, v23, 16, v20
	v_and_b32_e32 v23, 0x80402010, v22
	v_lshrrev_b32_e32 v22, 22, v22
	s_delay_alu instid0(VALU_DEP_2) | instskip(SKIP_2) | instid1(VALU_DEP_4)
	v_lshrrev_b16 v25, 8, v23
	v_lshrrev_b32_e32 v27, 24, v23
	v_lshrrev_b16 v23, 4, v23
	v_bfe_i32 v22, v22, 0, 1
	s_delay_alu instid0(VALU_DEP_4) | instskip(NEXT) | instid1(VALU_DEP_4)
	v_cmp_ne_u16_e64 s2, 0, v25
	v_cmp_ne_u16_e32 vcc_lo, 0, v27
	s_delay_alu instid0(VALU_DEP_4) | instskip(NEXT) | instid1(VALU_DEP_4)
	v_bfe_i32 v23, v23, 0, 1
	v_and_b32_e32 v30, 0xff, v22
	v_lshlrev_b16 v22, 8, v22
	s_wait_alu 0xf1ff
	v_cndmask_b32_e64 v27, 0, -1, s2
	s_wait_alu 0xfffd
	v_cndmask_b32_e64 v31, 0, -1, vcc_lo
	v_and_b32_e32 v25, 0xff, v23
	v_lshlrev_b16 v23, 8, v23
	v_lshlrev_b16 v27, 8, v27
	s_delay_alu instid0(VALU_DEP_4) | instskip(NEXT) | instid1(VALU_DEP_2)
	v_lshlrev_b16 v31, 8, v31
	v_or_b32_e32 v25, v25, v27
	s_delay_alu instid0(VALU_DEP_2) | instskip(NEXT) | instid1(VALU_DEP_2)
	v_or_b32_e32 v30, v30, v31
	v_and_b32_e32 v25, 0xffff, v25
	s_delay_alu instid0(VALU_DEP_2) | instskip(NEXT) | instid1(VALU_DEP_1)
	v_lshlrev_b32_e32 v30, 16, v30
	v_or_b32_e32 v25, v25, v30
	s_delay_alu instid0(VALU_DEP_1) | instskip(NEXT) | instid1(VALU_DEP_1)
	v_xor_b32_e32 v21, v21, v25
	v_lshrrev_b32_e32 v25, 16, v21
	v_and_b32_e32 v30, 0xffffff00, v21
	v_lshlrev_b16 v21, 8, v21
	s_delay_alu instid0(VALU_DEP_2) | instskip(NEXT) | instid1(VALU_DEP_2)
	v_sub_nc_i16 v27, v30, v27 clamp
	v_sub_nc_i16 v21, v21, v23 clamp
	v_and_b32_e32 v23, 0xffffff00, v25
	v_lshlrev_b16 v25, 8, v25
	s_delay_alu instid0(VALU_DEP_3) | instskip(NEXT) | instid1(VALU_DEP_3)
	v_perm_b32 v21, v21, v27, 0xc0c0105
	v_sub_nc_i16 v23, v23, v31 clamp
	s_delay_alu instid0(VALU_DEP_3) | instskip(SKIP_1) | instid1(VALU_DEP_2)
	v_sub_nc_i16 v22, v25, v22 clamp
	v_bfe_u32 v25, v26, 14, 8
	v_perm_b32 v22, v22, v23, 0xc0c0105
	v_lshrrev_b32_e32 v23, 6, v24
	s_delay_alu instid0(VALU_DEP_3) | instskip(NEXT) | instid1(VALU_DEP_3)
	v_bcnt_u32_b32 v27, v25, 0
	v_lshl_or_b32 v21, v22, 16, v21
	v_and_b32_e32 v22, 0xff, v24
	s_delay_alu instid0(VALU_DEP_4) | instskip(NEXT) | instid1(VALU_DEP_4)
	v_and_b32_e32 v23, 0x3fc, v23
	v_and_b32_e32 v27, 1, v27
	s_delay_alu instid0(VALU_DEP_3) | instskip(SKIP_4) | instid1(VALU_DEP_1)
	v_lshlrev_b32_e32 v22, 2, v22
	global_load_b32 v23, v23, s[8:9]
	v_lshlrev_b32_e32 v27, 7, v27
	global_load_b32 v22, v22, s[8:9]
	v_xor_b32_e32 v25, v27, v25
	v_mul_lo_u32 v25, 0x1010101, v25
	s_delay_alu instid0(VALU_DEP_1) | instskip(NEXT) | instid1(VALU_DEP_1)
	v_and_b32_e32 v27, 0x8040201, v25
	v_lshrrev_b16 v30, 8, v27
	v_lshrrev_b32_e32 v27, 24, v27
	s_delay_alu instid0(VALU_DEP_2) | instskip(NEXT) | instid1(VALU_DEP_2)
	v_cmp_ne_u16_e64 s2, 0, v30
	v_cmp_ne_u16_e32 vcc_lo, 0, v27
	v_lshrrev_b32_e32 v27, 18, v25
	v_bfe_i32 v30, v25, 0, 1
	s_wait_alu 0xf1ff
	v_cndmask_b32_e64 v32, 0, -1, s2
	s_wait_alu 0xfffd
	v_cndmask_b32_e64 v34, 0, -1, vcc_lo
	v_bfe_i32 v27, v27, 0, 1
	v_and_b32_e32 v31, 0xff, v30
	v_lshlrev_b16 v30, 8, v30
	v_lshlrev_b16 v32, 8, v32
	;; [unrolled: 1-line block ×3, first 2 shown]
	v_and_b32_e32 v33, 0xff, v27
	v_lshlrev_b16 v27, 8, v27
	s_delay_alu instid0(VALU_DEP_4) | instskip(NEXT) | instid1(VALU_DEP_3)
	v_or_b32_e32 v31, v31, v32
	v_or_b32_e32 v33, v33, v34
	s_delay_alu instid0(VALU_DEP_2) | instskip(NEXT) | instid1(VALU_DEP_2)
	v_and_b32_e32 v31, 0xffff, v31
	v_lshlrev_b32_e32 v33, 16, v33
	s_delay_alu instid0(VALU_DEP_1) | instskip(SKIP_1) | instid1(VALU_DEP_1)
	v_or_b32_e32 v31, v31, v33
	s_wait_loadcnt 0x0
	v_xor_b32_e32 v22, v22, v31
	s_delay_alu instid0(VALU_DEP_1) | instskip(SKIP_2) | instid1(VALU_DEP_2)
	v_lshrrev_b32_e32 v31, 16, v22
	v_and_b32_e32 v33, 0xffffff00, v22
	v_lshlrev_b16 v22, 8, v22
	v_sub_nc_i16 v32, v33, v32 clamp
	s_delay_alu instid0(VALU_DEP_2) | instskip(SKIP_2) | instid1(VALU_DEP_3)
	v_sub_nc_i16 v22, v22, v30 clamp
	v_and_b32_e32 v30, 0xffffff00, v31
	v_lshlrev_b16 v31, 8, v31
	v_perm_b32 v22, v22, v32, 0xc0c0105
	s_delay_alu instid0(VALU_DEP_3) | instskip(NEXT) | instid1(VALU_DEP_3)
	v_sub_nc_i16 v30, v30, v34 clamp
	v_sub_nc_i16 v27, v31, v27 clamp
	s_delay_alu instid0(VALU_DEP_1) | instskip(NEXT) | instid1(VALU_DEP_1)
	v_perm_b32 v27, v27, v30, 0xc0c0105
	v_lshl_or_b32 v22, v27, 16, v22
	v_and_b32_e32 v27, 0x80402010, v25
	v_lshrrev_b32_e32 v25, 22, v25
	s_delay_alu instid0(VALU_DEP_2) | instskip(SKIP_2) | instid1(VALU_DEP_4)
	v_lshrrev_b16 v30, 8, v27
	v_lshrrev_b32_e32 v31, 24, v27
	v_lshrrev_b16 v27, 4, v27
	v_bfe_i32 v25, v25, 0, 1
	s_delay_alu instid0(VALU_DEP_4) | instskip(NEXT) | instid1(VALU_DEP_4)
	v_cmp_ne_u16_e64 s2, 0, v30
	v_cmp_ne_u16_e32 vcc_lo, 0, v31
	s_delay_alu instid0(VALU_DEP_4) | instskip(NEXT) | instid1(VALU_DEP_4)
	v_bfe_i32 v27, v27, 0, 1
	v_and_b32_e32 v32, 0xff, v25
	v_lshlrev_b16 v25, 8, v25
	s_wait_alu 0xf1ff
	v_cndmask_b32_e64 v31, 0, -1, s2
	s_wait_alu 0xfffd
	v_cndmask_b32_e64 v33, 0, -1, vcc_lo
	v_and_b32_e32 v30, 0xff, v27
	v_lshlrev_b16 v27, 8, v27
	v_lshlrev_b16 v31, 8, v31
	s_delay_alu instid0(VALU_DEP_4) | instskip(NEXT) | instid1(VALU_DEP_2)
	v_lshlrev_b16 v33, 8, v33
	v_or_b32_e32 v30, v30, v31
	s_delay_alu instid0(VALU_DEP_2) | instskip(NEXT) | instid1(VALU_DEP_2)
	v_or_b32_e32 v32, v32, v33
	v_and_b32_e32 v30, 0xffff, v30
	s_delay_alu instid0(VALU_DEP_2) | instskip(NEXT) | instid1(VALU_DEP_1)
	v_lshlrev_b32_e32 v32, 16, v32
	v_or_b32_e32 v30, v30, v32
	s_delay_alu instid0(VALU_DEP_1) | instskip(NEXT) | instid1(VALU_DEP_1)
	v_xor_b32_e32 v23, v23, v30
	v_lshrrev_b32_e32 v30, 16, v23
	v_and_b32_e32 v32, 0xffffff00, v23
	v_lshlrev_b16 v23, 8, v23
	s_delay_alu instid0(VALU_DEP_2) | instskip(NEXT) | instid1(VALU_DEP_2)
	v_sub_nc_i16 v31, v32, v31 clamp
	v_sub_nc_i16 v23, v23, v27 clamp
	v_and_b32_e32 v27, 0xffffff00, v30
	v_lshlrev_b16 v30, 8, v30
	s_delay_alu instid0(VALU_DEP_3) | instskip(NEXT) | instid1(VALU_DEP_3)
	v_perm_b32 v23, v23, v31, 0xc0c0105
	v_sub_nc_i16 v27, v27, v33 clamp
	s_delay_alu instid0(VALU_DEP_3) | instskip(NEXT) | instid1(VALU_DEP_1)
	v_sub_nc_i16 v25, v30, v25 clamp
	v_perm_b32 v25, v25, v27, 0xc0c0105
	v_bfe_u32 v27, v26, 21, 8
	v_lshrrev_b32_e32 v26, 28, v26
	s_delay_alu instid0(VALU_DEP_3) | instskip(SKIP_3) | instid1(VALU_DEP_3)
	v_lshl_or_b32 v23, v25, 16, v23
	v_lshrrev_b32_e32 v25, 14, v24
	v_lshrrev_b32_e32 v24, 22, v24
	v_bcnt_u32_b32 v30, v27, 0
	v_and_b32_e32 v25, 0x3fc, v25
	s_delay_alu instid0(VALU_DEP_3) | instskip(NEXT) | instid1(VALU_DEP_3)
	v_and_b32_e32 v24, 0x3fc, v24
	v_and_b32_e32 v30, 1, v30
	s_clause 0x1
	global_load_b32 v25, v25, s[8:9]
	global_load_b32 v24, v24, s[8:9]
	v_lshlrev_b32_e32 v30, 7, v30
	s_delay_alu instid0(VALU_DEP_1) | instskip(NEXT) | instid1(VALU_DEP_1)
	v_xor_b32_e32 v27, v30, v27
	v_mul_lo_u32 v27, 0x1010101, v27
	s_delay_alu instid0(VALU_DEP_1) | instskip(NEXT) | instid1(VALU_DEP_1)
	v_and_b32_e32 v30, 0x8040201, v27
	v_lshrrev_b16 v31, 8, v30
	v_lshrrev_b32_e32 v30, 24, v30
	s_delay_alu instid0(VALU_DEP_2) | instskip(NEXT) | instid1(VALU_DEP_2)
	v_cmp_ne_u16_e64 s2, 0, v31
	v_cmp_ne_u16_e32 vcc_lo, 0, v30
	v_lshrrev_b32_e32 v30, 18, v27
	v_bfe_i32 v31, v27, 0, 1
	s_wait_alu 0xf1ff
	v_cndmask_b32_e64 v33, 0, -1, s2
	s_wait_alu 0xfffd
	v_cndmask_b32_e64 v35, 0, -1, vcc_lo
	v_bfe_i32 v30, v30, 0, 1
	v_and_b32_e32 v32, 0xff, v31
	v_lshlrev_b16 v31, 8, v31
	v_lshlrev_b16 v33, 8, v33
	;; [unrolled: 1-line block ×3, first 2 shown]
	v_and_b32_e32 v34, 0xff, v30
	v_lshlrev_b16 v30, 8, v30
	s_delay_alu instid0(VALU_DEP_4) | instskip(NEXT) | instid1(VALU_DEP_3)
	v_or_b32_e32 v32, v32, v33
	v_or_b32_e32 v34, v34, v35
	s_delay_alu instid0(VALU_DEP_2) | instskip(NEXT) | instid1(VALU_DEP_2)
	v_and_b32_e32 v32, 0xffff, v32
	v_lshlrev_b32_e32 v34, 16, v34
	s_delay_alu instid0(VALU_DEP_1) | instskip(SKIP_1) | instid1(VALU_DEP_1)
	v_or_b32_e32 v32, v32, v34
	s_wait_loadcnt 0x1
	v_xor_b32_e32 v25, v25, v32
	s_delay_alu instid0(VALU_DEP_1) | instskip(SKIP_2) | instid1(VALU_DEP_2)
	v_lshrrev_b32_e32 v32, 16, v25
	v_and_b32_e32 v34, 0xffffff00, v25
	v_lshlrev_b16 v25, 8, v25
	v_sub_nc_i16 v33, v34, v33 clamp
	s_delay_alu instid0(VALU_DEP_2) | instskip(SKIP_2) | instid1(VALU_DEP_3)
	v_sub_nc_i16 v25, v25, v31 clamp
	v_and_b32_e32 v31, 0xffffff00, v32
	v_lshlrev_b16 v32, 8, v32
	v_perm_b32 v25, v25, v33, 0xc0c0105
	s_delay_alu instid0(VALU_DEP_3) | instskip(NEXT) | instid1(VALU_DEP_3)
	v_sub_nc_i16 v31, v31, v35 clamp
	v_sub_nc_i16 v30, v32, v30 clamp
	s_delay_alu instid0(VALU_DEP_1) | instskip(NEXT) | instid1(VALU_DEP_1)
	v_perm_b32 v30, v30, v31, 0xc0c0105
	v_lshl_or_b32 v25, v30, 16, v25
	v_and_b32_e32 v30, 0x80402010, v27
	v_lshrrev_b32_e32 v27, 22, v27
	s_delay_alu instid0(VALU_DEP_2) | instskip(SKIP_2) | instid1(VALU_DEP_4)
	v_lshrrev_b16 v31, 8, v30
	v_lshrrev_b32_e32 v32, 24, v30
	v_lshrrev_b16 v30, 4, v30
	v_bfe_i32 v27, v27, 0, 1
	s_delay_alu instid0(VALU_DEP_4) | instskip(NEXT) | instid1(VALU_DEP_4)
	v_cmp_ne_u16_e64 s2, 0, v31
	v_cmp_ne_u16_e32 vcc_lo, 0, v32
	s_delay_alu instid0(VALU_DEP_4) | instskip(NEXT) | instid1(VALU_DEP_4)
	v_bfe_i32 v30, v30, 0, 1
	v_and_b32_e32 v33, 0xff, v27
	v_lshlrev_b16 v27, 8, v27
	s_wait_alu 0xf1ff
	v_cndmask_b32_e64 v32, 0, -1, s2
	s_wait_alu 0xfffd
	v_cndmask_b32_e64 v34, 0, -1, vcc_lo
	v_and_b32_e32 v31, 0xff, v30
	v_lshlrev_b16 v30, 8, v30
	v_lshlrev_b16 v32, 8, v32
	s_delay_alu instid0(VALU_DEP_4) | instskip(NEXT) | instid1(VALU_DEP_2)
	v_lshlrev_b16 v34, 8, v34
	v_or_b32_e32 v31, v31, v32
	s_delay_alu instid0(VALU_DEP_2) | instskip(NEXT) | instid1(VALU_DEP_2)
	v_or_b32_e32 v33, v33, v34
	v_and_b32_e32 v31, 0xffff, v31
	s_delay_alu instid0(VALU_DEP_2) | instskip(NEXT) | instid1(VALU_DEP_1)
	v_lshlrev_b32_e32 v33, 16, v33
	v_or_b32_e32 v31, v31, v33
	s_wait_loadcnt 0x0
	s_delay_alu instid0(VALU_DEP_1) | instskip(NEXT) | instid1(VALU_DEP_1)
	v_xor_b32_e32 v24, v24, v31
	v_lshrrev_b32_e32 v31, 16, v24
	v_and_b32_e32 v33, 0xffffff00, v24
	v_lshlrev_b16 v24, 8, v24
	s_delay_alu instid0(VALU_DEP_2) | instskip(NEXT) | instid1(VALU_DEP_2)
	v_sub_nc_i16 v32, v33, v32 clamp
	v_sub_nc_i16 v24, v24, v30 clamp
	v_and_b32_e32 v30, 0xffffff00, v31
	v_lshlrev_b16 v31, 8, v31
	s_delay_alu instid0(VALU_DEP_3) | instskip(NEXT) | instid1(VALU_DEP_3)
	v_perm_b32 v24, v24, v32, 0xc0c0105
	v_sub_nc_i16 v30, v30, v34 clamp
	s_delay_alu instid0(VALU_DEP_3) | instskip(NEXT) | instid1(VALU_DEP_1)
	v_sub_nc_i16 v27, v31, v27 clamp
	v_perm_b32 v27, v27, v30, 0xc0c0105
	s_delay_alu instid0(VALU_DEP_1)
	v_lshl_or_b32 v27, v27, 16, v24
	global_load_u16 v24, v[28:29], off
	s_clause 0x2
	global_load_b128 v[28:31], v[2:3], off offset:-16
	global_load_b32 v36, v[2:3], off offset:16
	global_load_b128 v[32:35], v[2:3], off
	v_add_co_u32 v2, vcc_lo, 0x480, v2
	s_wait_alu 0xfffd
	v_add_co_ci_u32_e64 v3, null, 0, v3, vcc_lo
	v_cmp_le_u32_e32 vcc_lo, s22, v13
	s_or_b32 s3, vcc_lo, s3
	s_wait_loadcnt 0x2
	v_dot4_i32_iu8 v29, v18, v29, 0 neg_lo:[1,1,0]
	v_cvt_f32_f16_e32 v24, v24
	v_cvt_f32_f16_e32 v28, v28
	s_delay_alu instid0(VALU_DEP_3) | instskip(NEXT) | instid1(VALU_DEP_2)
	v_dot4_i32_iu8 v29, v19, v30, v29 neg_lo:[1,1,0]
	v_mul_f32_e32 v28, v24, v28
	s_delay_alu instid0(VALU_DEP_2) | instskip(SKIP_1) | instid1(VALU_DEP_1)
	v_dot4_i32_iu8 v29, v20, v31, v29 neg_lo:[1,1,0]
	s_wait_loadcnt 0x0
	v_dot4_i32_iu8 v29, v21, v32, v29 neg_lo:[1,1,0]
	s_delay_alu instid0(VALU_DEP_1) | instskip(NEXT) | instid1(VALU_DEP_1)
	v_dot4_i32_iu8 v29, v22, v33, v29 neg_lo:[1,1,0]
	v_dot4_i32_iu8 v29, v23, v34, v29 neg_lo:[1,1,0]
	s_delay_alu instid0(VALU_DEP_1) | instskip(NEXT) | instid1(VALU_DEP_1)
	v_dot4_i32_iu8 v29, v25, v35, v29 neg_lo:[1,1,0]
	v_dot4_i32_iu8 v30, v27, v36, v29 neg_lo:[1,1,0]
	s_delay_alu instid0(VALU_DEP_1) | instskip(NEXT) | instid1(VALU_DEP_1)
	v_lshrrev_b32_e32 v29, 31, v30
	v_add_nc_u32_e32 v29, v30, v29
	s_delay_alu instid0(VALU_DEP_1) | instskip(NEXT) | instid1(VALU_DEP_1)
	v_ashrrev_i32_e32 v29, 1, v29
	v_mad_co_u64_u32 v[29:30], null, v30, v26, v[29:30]
	s_delay_alu instid0(VALU_DEP_1) | instskip(NEXT) | instid1(VALU_DEP_1)
	v_lshrrev_b32_e32 v30, 31, v29
	v_add_nc_u32_e32 v29, v29, v30
	s_delay_alu instid0(VALU_DEP_1) | instskip(NEXT) | instid1(VALU_DEP_1)
	v_ashrrev_i32_e32 v29, 1, v29
	v_cvt_f32_i32_e32 v29, v29
	s_delay_alu instid0(VALU_DEP_1) | instskip(SKIP_1) | instid1(VALU_DEP_1)
	v_fmac_f32_e32 v14, v28, v29
	v_add_nc_u32_e32 v28, s5, v15
	v_mad_co_u64_u32 v[32:33], null, v28, 36, v[0:1]
	s_clause 0x2
	global_load_b128 v[28:31], v[32:33], off
	global_load_b32 v36, v[32:33], off offset:32
	global_load_b128 v[32:35], v[32:33], off offset:16
	s_wait_loadcnt 0x2
	v_dot4_i32_iu8 v29, v18, v29, 0 neg_lo:[1,1,0]
	v_cvt_f32_f16_e32 v28, v28
	s_delay_alu instid0(VALU_DEP_2) | instskip(NEXT) | instid1(VALU_DEP_2)
	v_dot4_i32_iu8 v29, v19, v30, v29 neg_lo:[1,1,0]
	v_mul_f32_e32 v28, v24, v28
	s_delay_alu instid0(VALU_DEP_2) | instskip(SKIP_1) | instid1(VALU_DEP_1)
	v_dot4_i32_iu8 v29, v20, v31, v29 neg_lo:[1,1,0]
	s_wait_loadcnt 0x0
	v_dot4_i32_iu8 v29, v21, v32, v29 neg_lo:[1,1,0]
	s_delay_alu instid0(VALU_DEP_1) | instskip(NEXT) | instid1(VALU_DEP_1)
	v_dot4_i32_iu8 v29, v22, v33, v29 neg_lo:[1,1,0]
	v_dot4_i32_iu8 v29, v23, v34, v29 neg_lo:[1,1,0]
	s_delay_alu instid0(VALU_DEP_1) | instskip(NEXT) | instid1(VALU_DEP_1)
	v_dot4_i32_iu8 v29, v25, v35, v29 neg_lo:[1,1,0]
	v_dot4_i32_iu8 v30, v27, v36, v29 neg_lo:[1,1,0]
	s_delay_alu instid0(VALU_DEP_1) | instskip(NEXT) | instid1(VALU_DEP_1)
	v_lshrrev_b32_e32 v29, 31, v30
	v_add_nc_u32_e32 v29, v30, v29
	s_delay_alu instid0(VALU_DEP_1) | instskip(NEXT) | instid1(VALU_DEP_1)
	v_ashrrev_i32_e32 v29, 1, v29
	v_mad_co_u64_u32 v[29:30], null, v30, v26, v[29:30]
	s_delay_alu instid0(VALU_DEP_1) | instskip(NEXT) | instid1(VALU_DEP_1)
	v_lshrrev_b32_e32 v30, 31, v29
	v_add_nc_u32_e32 v29, v29, v30
	s_delay_alu instid0(VALU_DEP_1) | instskip(NEXT) | instid1(VALU_DEP_1)
	v_ashrrev_i32_e32 v29, 1, v29
	v_cvt_f32_i32_e32 v29, v29
	s_delay_alu instid0(VALU_DEP_1) | instskip(SKIP_1) | instid1(VALU_DEP_1)
	v_fmac_f32_e32 v12, v28, v29
	v_add_nc_u32_e32 v28, s17, v15
	v_mad_co_u64_u32 v[32:33], null, v28, 36, v[0:1]
	s_clause 0x2
	global_load_b128 v[28:31], v[32:33], off
	global_load_b32 v36, v[32:33], off offset:32
	global_load_b128 v[32:35], v[32:33], off offset:16
	s_wait_loadcnt 0x2
	v_dot4_i32_iu8 v29, v18, v29, 0 neg_lo:[1,1,0]
	v_cvt_f32_f16_e32 v28, v28
	s_delay_alu instid0(VALU_DEP_2) | instskip(NEXT) | instid1(VALU_DEP_2)
	;; [unrolled: 36-line block ×3, first 2 shown]
	v_dot4_i32_iu8 v29, v19, v30, v29 neg_lo:[1,1,0]
	v_mul_f32_e32 v28, v24, v28
	s_delay_alu instid0(VALU_DEP_2) | instskip(SKIP_1) | instid1(VALU_DEP_1)
	v_dot4_i32_iu8 v29, v20, v31, v29 neg_lo:[1,1,0]
	s_wait_loadcnt 0x0
	v_dot4_i32_iu8 v29, v21, v32, v29 neg_lo:[1,1,0]
	s_delay_alu instid0(VALU_DEP_1) | instskip(NEXT) | instid1(VALU_DEP_1)
	v_dot4_i32_iu8 v29, v22, v33, v29 neg_lo:[1,1,0]
	v_dot4_i32_iu8 v29, v23, v34, v29 neg_lo:[1,1,0]
	s_delay_alu instid0(VALU_DEP_1) | instskip(NEXT) | instid1(VALU_DEP_1)
	v_dot4_i32_iu8 v29, v25, v35, v29 neg_lo:[1,1,0]
	v_dot4_i32_iu8 v30, v27, v36, v29 neg_lo:[1,1,0]
	s_delay_alu instid0(VALU_DEP_1) | instskip(NEXT) | instid1(VALU_DEP_1)
	v_lshrrev_b32_e32 v29, 31, v30
	v_add_nc_u32_e32 v29, v30, v29
	s_delay_alu instid0(VALU_DEP_1) | instskip(NEXT) | instid1(VALU_DEP_1)
	v_ashrrev_i32_e32 v29, 1, v29
	v_mad_co_u64_u32 v[29:30], null, v30, v26, v[29:30]
	s_delay_alu instid0(VALU_DEP_1) | instskip(NEXT) | instid1(VALU_DEP_1)
	v_lshrrev_b32_e32 v30, 31, v29
	v_add_nc_u32_e32 v29, v29, v30
	s_delay_alu instid0(VALU_DEP_1) | instskip(NEXT) | instid1(VALU_DEP_1)
	v_ashrrev_i32_e32 v29, 1, v29
	v_cvt_f32_i32_e32 v29, v29
	s_delay_alu instid0(VALU_DEP_1) | instskip(NEXT) | instid1(VALU_DEP_1)
	v_dual_fmac_f32 v9, v28, v29 :: v_dual_add_nc_u32 v28, s15, v15
	v_mad_co_u64_u32 v[32:33], null, v28, 36, v[0:1]
	s_clause 0x2
	global_load_b128 v[28:31], v[32:33], off
	global_load_b32 v36, v[32:33], off offset:32
	global_load_b128 v[32:35], v[32:33], off offset:16
	s_wait_loadcnt 0x2
	v_dot4_i32_iu8 v29, v18, v29, 0 neg_lo:[1,1,0]
	v_cvt_f32_f16_e32 v28, v28
	s_delay_alu instid0(VALU_DEP_2) | instskip(NEXT) | instid1(VALU_DEP_2)
	v_dot4_i32_iu8 v29, v19, v30, v29 neg_lo:[1,1,0]
	v_mul_f32_e32 v28, v24, v28
	s_delay_alu instid0(VALU_DEP_2) | instskip(SKIP_1) | instid1(VALU_DEP_1)
	v_dot4_i32_iu8 v29, v20, v31, v29 neg_lo:[1,1,0]
	s_wait_loadcnt 0x0
	v_dot4_i32_iu8 v29, v21, v32, v29 neg_lo:[1,1,0]
	s_delay_alu instid0(VALU_DEP_1) | instskip(NEXT) | instid1(VALU_DEP_1)
	v_dot4_i32_iu8 v29, v22, v33, v29 neg_lo:[1,1,0]
	v_dot4_i32_iu8 v29, v23, v34, v29 neg_lo:[1,1,0]
	s_delay_alu instid0(VALU_DEP_1) | instskip(NEXT) | instid1(VALU_DEP_1)
	v_dot4_i32_iu8 v29, v25, v35, v29 neg_lo:[1,1,0]
	v_dot4_i32_iu8 v30, v27, v36, v29 neg_lo:[1,1,0]
	s_delay_alu instid0(VALU_DEP_1) | instskip(NEXT) | instid1(VALU_DEP_1)
	v_lshrrev_b32_e32 v29, 31, v30
	v_add_nc_u32_e32 v29, v30, v29
	s_delay_alu instid0(VALU_DEP_1) | instskip(NEXT) | instid1(VALU_DEP_1)
	v_ashrrev_i32_e32 v29, 1, v29
	v_mad_co_u64_u32 v[29:30], null, v30, v26, v[29:30]
	s_delay_alu instid0(VALU_DEP_1) | instskip(NEXT) | instid1(VALU_DEP_1)
	v_lshrrev_b32_e32 v30, 31, v29
	v_add_nc_u32_e32 v29, v29, v30
	s_delay_alu instid0(VALU_DEP_1) | instskip(NEXT) | instid1(VALU_DEP_1)
	v_ashrrev_i32_e32 v29, 1, v29
	v_cvt_f32_i32_e32 v29, v29
	s_delay_alu instid0(VALU_DEP_1) | instskip(SKIP_1) | instid1(VALU_DEP_1)
	v_fmac_f32_e32 v8, v28, v29
	v_add_nc_u32_e32 v28, s14, v15
	v_mad_co_u64_u32 v[32:33], null, v28, 36, v[0:1]
	s_clause 0x2
	global_load_b128 v[28:31], v[32:33], off
	global_load_b32 v36, v[32:33], off offset:32
	global_load_b128 v[32:35], v[32:33], off offset:16
	s_wait_loadcnt 0x2
	v_dot4_i32_iu8 v29, v18, v29, 0 neg_lo:[1,1,0]
	v_cvt_f32_f16_e32 v28, v28
	s_delay_alu instid0(VALU_DEP_2) | instskip(NEXT) | instid1(VALU_DEP_2)
	v_dot4_i32_iu8 v29, v19, v30, v29 neg_lo:[1,1,0]
	v_mul_f32_e32 v28, v24, v28
	s_delay_alu instid0(VALU_DEP_2) | instskip(SKIP_1) | instid1(VALU_DEP_1)
	v_dot4_i32_iu8 v29, v20, v31, v29 neg_lo:[1,1,0]
	s_wait_loadcnt 0x0
	v_dot4_i32_iu8 v29, v21, v32, v29 neg_lo:[1,1,0]
	s_delay_alu instid0(VALU_DEP_1) | instskip(NEXT) | instid1(VALU_DEP_1)
	v_dot4_i32_iu8 v29, v22, v33, v29 neg_lo:[1,1,0]
	v_dot4_i32_iu8 v29, v23, v34, v29 neg_lo:[1,1,0]
	s_delay_alu instid0(VALU_DEP_1) | instskip(NEXT) | instid1(VALU_DEP_1)
	v_dot4_i32_iu8 v29, v25, v35, v29 neg_lo:[1,1,0]
	v_dot4_i32_iu8 v30, v27, v36, v29 neg_lo:[1,1,0]
	s_delay_alu instid0(VALU_DEP_1) | instskip(NEXT) | instid1(VALU_DEP_1)
	v_lshrrev_b32_e32 v29, 31, v30
	v_add_nc_u32_e32 v29, v30, v29
	s_delay_alu instid0(VALU_DEP_1) | instskip(NEXT) | instid1(VALU_DEP_1)
	v_ashrrev_i32_e32 v29, 1, v29
	v_mad_co_u64_u32 v[29:30], null, v30, v26, v[29:30]
	s_delay_alu instid0(VALU_DEP_1) | instskip(NEXT) | instid1(VALU_DEP_1)
	v_lshrrev_b32_e32 v30, 31, v29
	v_add_nc_u32_e32 v29, v29, v30
	s_delay_alu instid0(VALU_DEP_1) | instskip(NEXT) | instid1(VALU_DEP_1)
	v_ashrrev_i32_e32 v29, 1, v29
	v_cvt_f32_i32_e32 v29, v29
	s_delay_alu instid0(VALU_DEP_1) | instskip(SKIP_1) | instid1(VALU_DEP_1)
	v_fmac_f32_e32 v6, v28, v29
	v_add_nc_u32_e32 v28, s11, v15
	v_mad_co_u64_u32 v[32:33], null, v28, 36, v[0:1]
	s_clause 0x2
	global_load_b128 v[28:31], v[32:33], off
	global_load_b32 v36, v[32:33], off offset:32
	global_load_b128 v[32:35], v[32:33], off offset:16
	s_wait_loadcnt 0x2
	v_dot4_i32_iu8 v29, v18, v29, 0 neg_lo:[1,1,0]
	v_cvt_f32_f16_e32 v28, v28
	s_delay_alu instid0(VALU_DEP_2) | instskip(NEXT) | instid1(VALU_DEP_2)
	v_dot4_i32_iu8 v29, v19, v30, v29 neg_lo:[1,1,0]
	v_mul_f32_e32 v28, v24, v28
	s_delay_alu instid0(VALU_DEP_2) | instskip(SKIP_1) | instid1(VALU_DEP_1)
	v_dot4_i32_iu8 v29, v20, v31, v29 neg_lo:[1,1,0]
	s_wait_loadcnt 0x0
	v_dot4_i32_iu8 v29, v21, v32, v29 neg_lo:[1,1,0]
	s_delay_alu instid0(VALU_DEP_1) | instskip(NEXT) | instid1(VALU_DEP_1)
	v_dot4_i32_iu8 v29, v22, v33, v29 neg_lo:[1,1,0]
	v_dot4_i32_iu8 v29, v23, v34, v29 neg_lo:[1,1,0]
	s_delay_alu instid0(VALU_DEP_1) | instskip(NEXT) | instid1(VALU_DEP_1)
	v_dot4_i32_iu8 v29, v25, v35, v29 neg_lo:[1,1,0]
	v_dot4_i32_iu8 v30, v27, v36, v29 neg_lo:[1,1,0]
	s_delay_alu instid0(VALU_DEP_1) | instskip(NEXT) | instid1(VALU_DEP_1)
	v_lshrrev_b32_e32 v29, 31, v30
	v_add_nc_u32_e32 v29, v30, v29
	s_delay_alu instid0(VALU_DEP_1) | instskip(NEXT) | instid1(VALU_DEP_1)
	v_ashrrev_i32_e32 v29, 1, v29
	v_mad_co_u64_u32 v[29:30], null, v30, v26, v[29:30]
	s_delay_alu instid0(VALU_DEP_1) | instskip(NEXT) | instid1(VALU_DEP_1)
	v_lshrrev_b32_e32 v30, 31, v29
	v_add_nc_u32_e32 v29, v29, v30
	s_delay_alu instid0(VALU_DEP_1) | instskip(NEXT) | instid1(VALU_DEP_1)
	v_ashrrev_i32_e32 v29, 1, v29
	v_cvt_f32_i32_e32 v29, v29
	s_delay_alu instid0(VALU_DEP_1) | instskip(SKIP_1) | instid1(VALU_DEP_2)
	v_dual_fmac_f32 v5, v28, v29 :: v_dual_add_nc_u32 v28, s7, v15
	v_add_nc_u32_e32 v15, 32, v15
	v_mad_co_u64_u32 v[32:33], null, v28, 36, v[0:1]
	s_clause 0x2
	global_load_b128 v[28:31], v[32:33], off
	global_load_b32 v36, v[32:33], off offset:32
	global_load_b128 v[32:35], v[32:33], off offset:16
	s_wait_loadcnt 0x2
	v_dot4_i32_iu8 v18, v18, v29, 0 neg_lo:[1,1,0]
	s_delay_alu instid0(VALU_DEP_1) | instskip(NEXT) | instid1(VALU_DEP_1)
	v_dot4_i32_iu8 v18, v19, v30, v18 neg_lo:[1,1,0]
	v_dot4_i32_iu8 v18, v20, v31, v18 neg_lo:[1,1,0]
	s_wait_loadcnt 0x0
	s_delay_alu instid0(VALU_DEP_1) | instskip(NEXT) | instid1(VALU_DEP_1)
	v_dot4_i32_iu8 v18, v21, v32, v18 neg_lo:[1,1,0]
	v_dot4_i32_iu8 v18, v22, v33, v18 neg_lo:[1,1,0]
	s_delay_alu instid0(VALU_DEP_1) | instskip(NEXT) | instid1(VALU_DEP_1)
	v_dot4_i32_iu8 v18, v23, v34, v18 neg_lo:[1,1,0]
	v_dot4_i32_iu8 v18, v25, v35, v18 neg_lo:[1,1,0]
	s_delay_alu instid0(VALU_DEP_1) | instskip(NEXT) | instid1(VALU_DEP_1)
	v_dot4_i32_iu8 v19, v27, v36, v18 neg_lo:[1,1,0]
	v_lshrrev_b32_e32 v18, 31, v19
	s_delay_alu instid0(VALU_DEP_1) | instskip(NEXT) | instid1(VALU_DEP_1)
	v_add_nc_u32_e32 v18, v19, v18
	v_ashrrev_i32_e32 v18, 1, v18
	s_delay_alu instid0(VALU_DEP_1) | instskip(NEXT) | instid1(VALU_DEP_1)
	v_mad_co_u64_u32 v[18:19], null, v19, v26, v[18:19]
	v_lshrrev_b32_e32 v19, 31, v18
	s_delay_alu instid0(VALU_DEP_1) | instskip(SKIP_1) | instid1(VALU_DEP_2)
	v_add_nc_u32_e32 v18, v18, v19
	v_cvt_f32_f16_e32 v19, v28
	v_ashrrev_i32_e32 v18, 1, v18
	s_delay_alu instid0(VALU_DEP_2) | instskip(NEXT) | instid1(VALU_DEP_2)
	v_mul_f32_e32 v19, v24, v19
	v_cvt_f32_i32_e32 v18, v18
	s_delay_alu instid0(VALU_DEP_1)
	v_fmac_f32_e32 v4, v19, v18
	s_wait_alu 0xfffe
	s_and_not1_b32 exec_lo, exec_lo, s3
	s_cbranch_execnz .LBB203_2
; %bb.3:
	s_or_b32 exec_lo, exec_lo, s3
.LBB203_4:
	s_delay_alu instid0(SALU_CYCLE_1)
	s_or_b32 exec_lo, exec_lo, s21
	s_mov_b32 s3, 0
	; wave barrier
	global_inv scope:SCOPE_SE
	s_mov_b32 s2, exec_lo
	v_cmpx_eq_u32_e32 0, v11
	s_cbranch_execz .LBB203_21
; %bb.5:
	v_mbcnt_lo_u32_b32 v11, -1, 0
	s_load_b64 s[0:1], s[0:1], 0x38
	s_mul_i32 s2, s10, s19
	s_mul_i32 s4, s18, s20
	s_wait_alu 0xfffe
	s_add_co_i32 s2, s2, ttmp9
	v_xor_b32_e32 v0, 16, v11
	v_xor_b32_e32 v1, 8, v11
	;; [unrolled: 1-line block ×3, first 2 shown]
	s_wait_alu 0xfffe
	s_add_co_i32 s2, s2, s4
	s_wait_alu 0xfffe
	s_lshl_b64 s[2:3], s[2:3], 2
	v_cmp_gt_i32_e32 vcc_lo, 32, v0
	s_wait_alu 0xfffd
	v_cndmask_b32_e32 v0, v11, v0, vcc_lo
	v_cmp_gt_i32_e32 vcc_lo, 32, v1
	s_wait_kmcnt 0x0
	s_wait_alu 0xfffe
	s_add_nc_u64 s[0:1], s[0:1], s[2:3]
	s_wait_alu 0xfffd
	v_cndmask_b32_e32 v1, v11, v1, vcc_lo
	s_delay_alu instid0(VALU_DEP_1)
	v_lshlrev_b32_e32 v1, 2, v1
	v_lshlrev_b32_e32 v0, 2, v0
	ds_bpermute_b32 v2, v0, v14
	s_wait_dscnt 0x0
	v_add_f32_e32 v3, v14, v2
	v_xor_b32_e32 v2, 4, v11
	ds_bpermute_b32 v13, v1, v3
	v_cmp_gt_i32_e32 vcc_lo, 32, v2
	s_wait_alu 0xfffd
	v_cndmask_b32_e32 v2, v11, v2, vcc_lo
	s_wait_dscnt 0x0
	v_add_f32_e32 v13, v3, v13
	v_xor_b32_e32 v3, 2, v11
	s_delay_alu instid0(VALU_DEP_1) | instskip(SKIP_3) | instid1(VALU_DEP_2)
	v_cmp_gt_i32_e32 vcc_lo, 32, v3
	s_wait_alu 0xfffd
	v_cndmask_b32_e32 v3, v11, v3, vcc_lo
	v_cmp_gt_i32_e32 vcc_lo, 32, v15
	v_lshlrev_b32_e32 v3, 2, v3
	s_wait_alu 0xfffd
	v_dual_cndmask_b32 v11, v11, v15 :: v_dual_lshlrev_b32 v2, 2, v2
	v_cmp_eq_u32_e32 vcc_lo, 0, v7
	ds_bpermute_b32 v14, v2, v13
	v_lshlrev_b32_e32 v11, 2, v11
	s_wait_dscnt 0x0
	v_add_f32_e32 v13, v13, v14
	ds_bpermute_b32 v14, v3, v13
	s_wait_dscnt 0x0
	v_add_f32_e32 v13, v13, v14
	ds_bpermute_b32 v14, v11, v13
	s_and_saveexec_b32 s2, vcc_lo
	s_cbranch_execz .LBB203_7
; %bb.6:
	s_wait_dscnt 0x0
	v_add_f32_e32 v7, v13, v14
	v_mov_b32_e32 v13, 0
	global_store_b32 v13, v7, s[0:1]
.LBB203_7:
	s_wait_alu 0xfffe
	s_or_b32 exec_lo, exec_lo, s2
	ds_bpermute_b32 v7, v0, v12
	s_wait_dscnt 0x0
	v_add_f32_e32 v7, v12, v7
	ds_bpermute_b32 v12, v1, v7
	s_wait_dscnt 0x0
	v_add_f32_e32 v7, v7, v12
	;; [unrolled: 3-line block ×4, first 2 shown]
	ds_bpermute_b32 v12, v11, v7
	s_and_saveexec_b32 s2, vcc_lo
	s_cbranch_execz .LBB203_9
; %bb.8:
	s_mov_b32 s7, 0
	s_wait_dscnt 0x0
	v_dual_add_f32 v7, v7, v12 :: v_dual_mov_b32 v12, 0
	s_wait_alu 0xfffe
	s_lshl_b64 s[4:5], s[6:7], 2
	s_wait_alu 0xfffe
	s_add_nc_u64 s[4:5], s[0:1], s[4:5]
	global_store_b32 v12, v7, s[4:5]
.LBB203_9:
	s_wait_alu 0xfffe
	s_or_b32 exec_lo, exec_lo, s2
	ds_bpermute_b32 v7, v0, v10
	s_wait_dscnt 0x0
	v_add_f32_e32 v7, v10, v7
	ds_bpermute_b32 v10, v1, v7
	s_wait_dscnt 0x0
	v_add_f32_e32 v7, v7, v10
	;; [unrolled: 3-line block ×4, first 2 shown]
	ds_bpermute_b32 v10, v11, v7
	s_and_saveexec_b32 s2, vcc_lo
	s_cbranch_execz .LBB203_11
; %bb.10:
	s_lshl_b32 s4, s6, 1
	s_mov_b32 s5, 0
	s_wait_dscnt 0x0
	v_dual_add_f32 v7, v7, v10 :: v_dual_mov_b32 v10, 0
	s_wait_alu 0xfffe
	s_lshl_b64 s[4:5], s[4:5], 2
	s_wait_alu 0xfffe
	s_add_nc_u64 s[4:5], s[0:1], s[4:5]
	global_store_b32 v10, v7, s[4:5]
.LBB203_11:
	s_wait_alu 0xfffe
	s_or_b32 exec_lo, exec_lo, s2
	ds_bpermute_b32 v7, v0, v9
	s_wait_dscnt 0x0
	v_add_f32_e32 v7, v9, v7
	ds_bpermute_b32 v9, v1, v7
	s_wait_dscnt 0x0
	v_add_f32_e32 v7, v7, v9
	;; [unrolled: 3-line block ×4, first 2 shown]
	ds_bpermute_b32 v9, v11, v7
	s_and_saveexec_b32 s2, vcc_lo
	s_cbranch_execz .LBB203_13
; %bb.12:
	s_mul_i32 s4, s6, 3
	s_mov_b32 s5, 0
	s_wait_dscnt 0x0
	v_add_f32_e32 v7, v7, v9
	v_mov_b32_e32 v9, 0
	s_wait_alu 0xfffe
	s_lshl_b64 s[4:5], s[4:5], 2
	s_wait_alu 0xfffe
	s_add_nc_u64 s[4:5], s[0:1], s[4:5]
	global_store_b32 v9, v7, s[4:5]
.LBB203_13:
	s_wait_alu 0xfffe
	s_or_b32 exec_lo, exec_lo, s2
	ds_bpermute_b32 v7, v0, v8
	s_wait_dscnt 0x0
	v_add_f32_e32 v7, v8, v7
	ds_bpermute_b32 v8, v1, v7
	s_wait_dscnt 0x0
	v_add_f32_e32 v7, v7, v8
	ds_bpermute_b32 v8, v2, v7
	s_wait_dscnt 0x0
	v_add_f32_e32 v7, v7, v8
	ds_bpermute_b32 v8, v3, v7
	s_wait_dscnt 0x0
	v_add_f32_e32 v7, v7, v8
	ds_bpermute_b32 v8, v11, v7
	s_and_saveexec_b32 s2, vcc_lo
	s_cbranch_execz .LBB203_15
; %bb.14:
	s_lshl_b32 s4, s6, 2
	s_mov_b32 s5, 0
	s_wait_dscnt 0x0
	v_dual_add_f32 v7, v7, v8 :: v_dual_mov_b32 v8, 0
	s_wait_alu 0xfffe
	s_lshl_b64 s[4:5], s[4:5], 2
	s_wait_alu 0xfffe
	s_add_nc_u64 s[4:5], s[0:1], s[4:5]
	global_store_b32 v8, v7, s[4:5]
.LBB203_15:
	s_wait_alu 0xfffe
	s_or_b32 exec_lo, exec_lo, s2
	ds_bpermute_b32 v7, v0, v6
	s_wait_dscnt 0x0
	v_add_f32_e32 v6, v6, v7
	ds_bpermute_b32 v7, v1, v6
	s_wait_dscnt 0x0
	v_add_f32_e32 v6, v6, v7
	;; [unrolled: 3-line block ×4, first 2 shown]
	ds_bpermute_b32 v7, v11, v6
	s_and_saveexec_b32 s2, vcc_lo
	s_cbranch_execz .LBB203_17
; %bb.16:
	s_mul_i32 s4, s6, 5
	s_mov_b32 s5, 0
	s_wait_dscnt 0x0
	v_dual_add_f32 v6, v6, v7 :: v_dual_mov_b32 v7, 0
	s_wait_alu 0xfffe
	s_lshl_b64 s[4:5], s[4:5], 2
	s_wait_alu 0xfffe
	s_add_nc_u64 s[4:5], s[0:1], s[4:5]
	global_store_b32 v7, v6, s[4:5]
.LBB203_17:
	s_wait_alu 0xfffe
	s_or_b32 exec_lo, exec_lo, s2
	ds_bpermute_b32 v6, v0, v5
	s_wait_dscnt 0x0
	v_add_f32_e32 v5, v5, v6
	ds_bpermute_b32 v6, v1, v5
	s_wait_dscnt 0x0
	v_add_f32_e32 v5, v5, v6
	ds_bpermute_b32 v6, v2, v5
	s_wait_dscnt 0x0
	v_add_f32_e32 v5, v5, v6
	ds_bpermute_b32 v6, v3, v5
	s_wait_dscnt 0x0
	v_add_f32_e32 v5, v5, v6
	ds_bpermute_b32 v6, v11, v5
	s_and_saveexec_b32 s2, vcc_lo
	s_cbranch_execz .LBB203_19
; %bb.18:
	s_mul_i32 s4, s6, 6
	s_mov_b32 s5, 0
	s_wait_dscnt 0x0
	v_dual_add_f32 v5, v5, v6 :: v_dual_mov_b32 v6, 0
	s_wait_alu 0xfffe
	s_lshl_b64 s[4:5], s[4:5], 2
	s_wait_alu 0xfffe
	s_add_nc_u64 s[4:5], s[0:1], s[4:5]
	global_store_b32 v6, v5, s[4:5]
.LBB203_19:
	s_wait_alu 0xfffe
	s_or_b32 exec_lo, exec_lo, s2
	ds_bpermute_b32 v0, v0, v4
	s_wait_dscnt 0x0
	v_add_f32_e32 v0, v4, v0
	ds_bpermute_b32 v1, v1, v0
	s_wait_dscnt 0x0
	v_add_f32_e32 v0, v0, v1
	;; [unrolled: 3-line block ×4, first 2 shown]
	ds_bpermute_b32 v1, v11, v0
	s_and_b32 exec_lo, exec_lo, vcc_lo
	s_cbranch_execz .LBB203_21
; %bb.20:
	s_mul_i32 s2, s6, 7
	s_mov_b32 s3, 0
	s_wait_dscnt 0x0
	v_dual_add_f32 v0, v0, v1 :: v_dual_mov_b32 v1, 0
	s_wait_alu 0xfffe
	s_lshl_b64 s[2:3], s[2:3], 2
	s_wait_alu 0xfffe
	s_add_nc_u64 s[0:1], s[0:1], s[2:3]
	global_store_b32 v1, v0, s[0:1]
.LBB203_21:
	s_endpgm
	.section	.rodata,"a",@progbits
	.p2align	6, 0x0
	.amdhsa_kernel _ZL13mul_mat_vec_qIL9ggml_type18ELi8ELb0ELb0EEvPKvS2_PKi31ggml_cuda_mm_fusion_args_devicePfj15HIP_vector_typeIjLj3EEjjjS8_jjjS8_jjjj
		.amdhsa_group_segment_fixed_size 0
		.amdhsa_private_segment_fixed_size 0
		.amdhsa_kernarg_size 144
		.amdhsa_user_sgpr_count 2
		.amdhsa_user_sgpr_dispatch_ptr 0
		.amdhsa_user_sgpr_queue_ptr 0
		.amdhsa_user_sgpr_kernarg_segment_ptr 1
		.amdhsa_user_sgpr_dispatch_id 0
		.amdhsa_user_sgpr_private_segment_size 0
		.amdhsa_wavefront_size32 1
		.amdhsa_uses_dynamic_stack 0
		.amdhsa_enable_private_segment 0
		.amdhsa_system_sgpr_workgroup_id_x 1
		.amdhsa_system_sgpr_workgroup_id_y 1
		.amdhsa_system_sgpr_workgroup_id_z 1
		.amdhsa_system_sgpr_workgroup_info 0
		.amdhsa_system_vgpr_workitem_id 1
		.amdhsa_next_free_vgpr 37
		.amdhsa_next_free_sgpr 28
		.amdhsa_reserve_vcc 1
		.amdhsa_float_round_mode_32 0
		.amdhsa_float_round_mode_16_64 0
		.amdhsa_float_denorm_mode_32 3
		.amdhsa_float_denorm_mode_16_64 3
		.amdhsa_fp16_overflow 0
		.amdhsa_workgroup_processor_mode 1
		.amdhsa_memory_ordered 1
		.amdhsa_forward_progress 1
		.amdhsa_inst_pref_size 50
		.amdhsa_round_robin_scheduling 0
		.amdhsa_exception_fp_ieee_invalid_op 0
		.amdhsa_exception_fp_denorm_src 0
		.amdhsa_exception_fp_ieee_div_zero 0
		.amdhsa_exception_fp_ieee_overflow 0
		.amdhsa_exception_fp_ieee_underflow 0
		.amdhsa_exception_fp_ieee_inexact 0
		.amdhsa_exception_int_div_zero 0
	.end_amdhsa_kernel
	.section	.text._ZL13mul_mat_vec_qIL9ggml_type18ELi8ELb0ELb0EEvPKvS2_PKi31ggml_cuda_mm_fusion_args_devicePfj15HIP_vector_typeIjLj3EEjjjS8_jjjS8_jjjj,"axG",@progbits,_ZL13mul_mat_vec_qIL9ggml_type18ELi8ELb0ELb0EEvPKvS2_PKi31ggml_cuda_mm_fusion_args_devicePfj15HIP_vector_typeIjLj3EEjjjS8_jjjS8_jjjj,comdat
.Lfunc_end203:
	.size	_ZL13mul_mat_vec_qIL9ggml_type18ELi8ELb0ELb0EEvPKvS2_PKi31ggml_cuda_mm_fusion_args_devicePfj15HIP_vector_typeIjLj3EEjjjS8_jjjS8_jjjj, .Lfunc_end203-_ZL13mul_mat_vec_qIL9ggml_type18ELi8ELb0ELb0EEvPKvS2_PKi31ggml_cuda_mm_fusion_args_devicePfj15HIP_vector_typeIjLj3EEjjjS8_jjjS8_jjjj
                                        ; -- End function
	.set _ZL13mul_mat_vec_qIL9ggml_type18ELi8ELb0ELb0EEvPKvS2_PKi31ggml_cuda_mm_fusion_args_devicePfj15HIP_vector_typeIjLj3EEjjjS8_jjjS8_jjjj.num_vgpr, 37
	.set _ZL13mul_mat_vec_qIL9ggml_type18ELi8ELb0ELb0EEvPKvS2_PKi31ggml_cuda_mm_fusion_args_devicePfj15HIP_vector_typeIjLj3EEjjjS8_jjjS8_jjjj.num_agpr, 0
	.set _ZL13mul_mat_vec_qIL9ggml_type18ELi8ELb0ELb0EEvPKvS2_PKi31ggml_cuda_mm_fusion_args_devicePfj15HIP_vector_typeIjLj3EEjjjS8_jjjS8_jjjj.numbered_sgpr, 28
	.set _ZL13mul_mat_vec_qIL9ggml_type18ELi8ELb0ELb0EEvPKvS2_PKi31ggml_cuda_mm_fusion_args_devicePfj15HIP_vector_typeIjLj3EEjjjS8_jjjS8_jjjj.num_named_barrier, 0
	.set _ZL13mul_mat_vec_qIL9ggml_type18ELi8ELb0ELb0EEvPKvS2_PKi31ggml_cuda_mm_fusion_args_devicePfj15HIP_vector_typeIjLj3EEjjjS8_jjjS8_jjjj.private_seg_size, 0
	.set _ZL13mul_mat_vec_qIL9ggml_type18ELi8ELb0ELb0EEvPKvS2_PKi31ggml_cuda_mm_fusion_args_devicePfj15HIP_vector_typeIjLj3EEjjjS8_jjjS8_jjjj.uses_vcc, 1
	.set _ZL13mul_mat_vec_qIL9ggml_type18ELi8ELb0ELb0EEvPKvS2_PKi31ggml_cuda_mm_fusion_args_devicePfj15HIP_vector_typeIjLj3EEjjjS8_jjjS8_jjjj.uses_flat_scratch, 0
	.set _ZL13mul_mat_vec_qIL9ggml_type18ELi8ELb0ELb0EEvPKvS2_PKi31ggml_cuda_mm_fusion_args_devicePfj15HIP_vector_typeIjLj3EEjjjS8_jjjS8_jjjj.has_dyn_sized_stack, 0
	.set _ZL13mul_mat_vec_qIL9ggml_type18ELi8ELb0ELb0EEvPKvS2_PKi31ggml_cuda_mm_fusion_args_devicePfj15HIP_vector_typeIjLj3EEjjjS8_jjjS8_jjjj.has_recursion, 0
	.set _ZL13mul_mat_vec_qIL9ggml_type18ELi8ELb0ELb0EEvPKvS2_PKi31ggml_cuda_mm_fusion_args_devicePfj15HIP_vector_typeIjLj3EEjjjS8_jjjS8_jjjj.has_indirect_call, 0
	.section	.AMDGPU.csdata,"",@progbits
; Kernel info:
; codeLenInByte = 6328
; TotalNumSgprs: 30
; NumVgprs: 37
; ScratchSize: 0
; MemoryBound: 0
; FloatMode: 240
; IeeeMode: 1
; LDSByteSize: 0 bytes/workgroup (compile time only)
; SGPRBlocks: 0
; VGPRBlocks: 4
; NumSGPRsForWavesPerEU: 30
; NumVGPRsForWavesPerEU: 37
; Occupancy: 16
; WaveLimiterHint : 0
; COMPUTE_PGM_RSRC2:SCRATCH_EN: 0
; COMPUTE_PGM_RSRC2:USER_SGPR: 2
; COMPUTE_PGM_RSRC2:TRAP_HANDLER: 0
; COMPUTE_PGM_RSRC2:TGID_X_EN: 1
; COMPUTE_PGM_RSRC2:TGID_Y_EN: 1
; COMPUTE_PGM_RSRC2:TGID_Z_EN: 1
; COMPUTE_PGM_RSRC2:TIDIG_COMP_CNT: 1
	.section	.text._ZL17mul_mat_vec_q_moeIL9ggml_type19ELi2EEvPKvS2_PKiPfj15HIP_vector_typeIjLj3EEjjjjjjjjj,"axG",@progbits,_ZL17mul_mat_vec_q_moeIL9ggml_type19ELi2EEvPKvS2_PKiPfj15HIP_vector_typeIjLj3EEjjjjjjjjj,comdat
	.globl	_ZL17mul_mat_vec_q_moeIL9ggml_type19ELi2EEvPKvS2_PKiPfj15HIP_vector_typeIjLj3EEjjjjjjjjj ; -- Begin function _ZL17mul_mat_vec_q_moeIL9ggml_type19ELi2EEvPKvS2_PKiPfj15HIP_vector_typeIjLj3EEjjjjjjjjj
	.p2align	8
	.type	_ZL17mul_mat_vec_q_moeIL9ggml_type19ELi2EEvPKvS2_PKiPfj15HIP_vector_typeIjLj3EEjjjjjjjjj,@function
_ZL17mul_mat_vec_q_moeIL9ggml_type19ELi2EEvPKvS2_PKiPfj15HIP_vector_typeIjLj3EEjjjjjjjjj: ; @_ZL17mul_mat_vec_q_moeIL9ggml_type19ELi2EEvPKvS2_PKiPfj15HIP_vector_typeIjLj3EEjjjjjjjjj
; %bb.0:
	s_load_b256 s[4:11], s[0:1], 0x30
	v_bfe_u32 v6, v0, 10, 10
	s_mov_b32 s2, exec_lo
	s_wait_kmcnt 0x0
	s_delay_alu instid0(VALU_DEP_1)
	v_cmpx_gt_u32_e64 s11, v6
	s_cbranch_execz .LBB204_7
; %bb.1:
	s_clause 0x2
	s_load_b32 s2, s[0:1], 0x20
	s_load_b32 s20, s[0:1], 0x50
	s_load_b256 s[12:19], s[0:1], 0x0
	v_bfe_u32 v8, v0, 3, 7
	v_dual_mov_b32 v0, 0 :: v_dual_and_b32 v7, 0x3ff, v0
	v_mov_b32_e32 v1, 0
	s_mov_b32 s11, exec_lo
	s_wait_kmcnt 0x0
	s_lshr_b32 s3, s2, 8
	s_lshl_b32 s2, ttmp9, 1
	v_cmpx_gt_u32_e64 s3, v8
	s_cbranch_execz .LBB204_5
; %bb.2:
	s_mov_b32 s22, ttmp7
	v_lshrrev_b32_e32 v4, 3, v7
	v_mad_co_u64_u32 v[0:1], null, s20, v6, s[22:23]
	v_dual_mov_b32 v1, 0 :: v_dual_and_b32 v10, 7, v7
	s_load_b96 s[20:22], s[0:1], 0x24
	s_mov_b32 s1, 0
	s_delay_alu instid0(VALU_DEP_1) | instskip(NEXT) | instid1(VALU_DEP_2)
	v_lshlrev_b32_e32 v9, 1, v10
	v_lshlrev_b64_e32 v[2:3], 2, v[0:1]
	s_delay_alu instid0(VALU_DEP_1) | instskip(NEXT) | instid1(VALU_DEP_1)
	v_add_co_u32 v2, vcc_lo, s16, v2
	v_add_co_ci_u32_e64 v3, null, s17, v3, vcc_lo
	global_load_b32 v0, v[2:3], off
	v_mul_lo_u32 v2, s6, v6
	s_wait_kmcnt 0x0
	s_mul_hi_u32 s0, s20, ttmp7
	s_delay_alu instid0(SALU_CYCLE_1) | instskip(NEXT) | instid1(SALU_CYCLE_1)
	s_add_co_i32 s0, ttmp7, s0
	s_lshr_b32 s0, s0, s21
	s_delay_alu instid0(SALU_CYCLE_1) | instskip(NEXT) | instid1(VALU_DEP_1)
	s_mul_i32 s0, s0, s22
	v_mad_co_u64_u32 v[2:3], null, v2, 36, 0
	s_sub_co_i32 s0, ttmp7, s0
	s_delay_alu instid0(SALU_CYCLE_1) | instskip(SKIP_1) | instid1(VALU_DEP_1)
	s_mul_i32 s0, s0, s9
	v_mad_co_u64_u32 v[2:3], null, 0x120, v4, v[2:3]
	v_mad_co_u64_u32 v[2:3], null, s0, 36, v[2:3]
	s_add_co_i32 s0, s2, 1
	v_mad_co_u64_u32 v[2:3], null, v10, 36, v[2:3]
	v_lshlrev_b32_e32 v10, 1, v10
	s_delay_alu instid0(VALU_DEP_2) | instskip(SKIP_1) | instid1(VALU_DEP_3)
	v_add_co_u32 v5, vcc_lo, s14, v2
	s_wait_alu 0xfffd
	v_add_co_ci_u32_e64 v11, null, s15, v3, vcc_lo
	s_wait_loadcnt 0x0
	v_mul_lo_u32 v0, v0, s8
	s_delay_alu instid0(VALU_DEP_1)
	v_mad_co_u64_u32 v[2:3], null, s2, s5, v[0:1]
	s_wait_alu 0xfffe
	v_mad_co_u64_u32 v[3:4], null, s5, s0, v[0:1]
	v_add_co_u32 v4, vcc_lo, v5, 32
	s_wait_alu 0xfffd
	v_add_co_ci_u32_e64 v5, null, 0, v11, vcc_lo
	v_dual_mov_b32 v0, v1 :: v_dual_lshlrev_b32 v9, 1, v9
	s_mov_b32 s5, 0xb7000000
.LBB204_3:                              ; =>This Inner Loop Header: Depth=1
	v_add_nc_u32_e32 v11, v2, v8
	v_add_nc_u32_e32 v12, v3, v8
	s_getpc_b64 s[8:9]
	s_wait_alu 0xfffe
	s_sext_i32_i16 s9, s9
	s_add_co_u32 s8, s8, _ZL13iq1s_grid_gpu@rel32@lo+12
	s_wait_alu 0xfffe
	s_add_co_ci_u32 s9, s9, _ZL13iq1s_grid_gpu@rel32@hi+24
	v_add_nc_u32_e32 v8, 4, v8
	v_mad_co_i64_i32 v[19:20], null, v11, 50, s[12:13]
	v_mad_co_i64_i32 v[21:22], null, v12, 50, s[12:13]
	s_delay_alu instid0(VALU_DEP_3) | instskip(NEXT) | instid1(VALU_DEP_3)
	v_cmp_le_u32_e64 s0, s3, v8
	v_add_co_u32 v11, vcc_lo, v19, v9
	s_wait_alu 0xfffd
	s_delay_alu instid0(VALU_DEP_4)
	v_add_co_ci_u32_e64 v12, null, 0, v20, vcc_lo
	v_add_co_u32 v13, vcc_lo, v19, v10
	s_wait_alu 0xfffd
	v_add_co_ci_u32_e64 v14, null, 0, v20, vcc_lo
	v_add_co_u32 v15, vcc_lo, v21, v9
	s_wait_alu 0xfffd
	;; [unrolled: 3-line block ×3, first 2 shown]
	v_add_co_ci_u32_e64 v18, null, 0, v22, vcc_lo
	s_clause 0x3
	global_load_b32 v23, v[11:12], off offset:2
	global_load_u16 v24, v[13:14], off offset:34
	global_load_b32 v25, v[15:16], off offset:2
	global_load_u16 v26, v[17:18], off offset:34
	s_clause 0x1
	global_load_b128 v[11:14], v[4:5], off offset:-16
	global_load_b128 v[15:18], v[4:5], off offset:-32
	s_clause 0x1
	global_load_u16 v21, v[21:22], off
	global_load_u16 v19, v[19:20], off
	s_or_b32 s1, s0, s1
	s_wait_loadcnt 0x7
	v_lshrrev_b32_e32 v20, 24, v23
	v_and_b32_e32 v22, 0xff, v23
	v_bfe_u32 v28, v23, 8, 8
	v_bfe_u32 v23, v23, 16, 8
	s_wait_loadcnt 0x6
	v_lshlrev_b32_e32 v30, 2, v24
	s_wait_loadcnt 0x5
	v_lshrrev_b32_e32 v32, 24, v25
	s_wait_loadcnt 0x4
	v_lshrrev_b32_e32 v38, 1, v26
	v_lshlrev_b32_e32 v29, 5, v24
	v_lshlrev_b32_e32 v34, 8, v26
	v_and_or_b32 v23, 0x700, v30, v23
	s_wait_loadcnt 0x1
	v_cvt_f32_f16_e32 v21, v21
	v_and_or_b32 v30, 0x700, v38, v32
	v_lshrrev_b32_e32 v32, 16, v15
	v_lshlrev_b32_e32 v27, 8, v24
	v_lshrrev_b32_e32 v31, 1, v24
	v_bfe_u32 v35, v25, 8, 8
	v_lshlrev_b32_e32 v36, 5, v26
	v_cvt_f32_f16_e32 v32, v32
	v_and_b32_e32 v33, 0xff, v25
	v_and_or_b32 v22, 0x700, v27, v22
	v_and_or_b32 v27, 0x700, v29, v28
	v_bfe_u32 v25, v25, 16, 8
	v_and_or_b32 v20, 0x700, v31, v20
	v_and_or_b32 v28, 0x700, v34, v33
	v_lshrrev_b32_e32 v33, 11, v24
	v_and_b32_e32 v24, 0x8000, v24
	v_and_or_b32 v29, 0x700, v36, v35
	v_lshlrev_b32_e32 v22, 2, v22
	v_lshlrev_b32_e32 v27, 2, v27
	;; [unrolled: 1-line block ×3, first 2 shown]
	v_cvt_f32_u32_e32 v24, v24
	v_lshlrev_b32_e32 v37, 2, v26
	v_lshlrev_b32_e32 v28, 2, v28
	;; [unrolled: 1-line block ×3, first 2 shown]
	s_delay_alu instid0(VALU_DEP_4) | instskip(NEXT) | instid1(VALU_DEP_4)
	v_dual_fmaak_f32 v24, s5, v24, 0xbf600000 :: v_dual_lshlrev_b32 v29, 2, v29
	v_and_or_b32 v25, 0x700, v37, v25
	v_lshlrev_b32_e32 v30, 2, v30
	v_lshrrev_b32_e32 v34, 11, v26
	v_and_b32_e32 v26, 0x8000, v26
	v_and_or_b32 v33, v33, 14, 1
	v_lshlrev_b32_e32 v25, 2, v25
	s_clause 0x7
	global_load_b32 v22, v22, s[8:9]
	global_load_b32 v27, v27, s[8:9]
	;; [unrolled: 1-line block ×8, first 2 shown]
	global_load_b32 v31, v[4:5], off
	v_and_or_b32 v34, v34, 14, 1
	v_cvt_f32_u32_e32 v26, v26
	s_wait_loadcnt 0x9
	v_cvt_f32_f16_e32 v19, v19
	v_cvt_f32_ubyte0_e32 v33, v33
	v_add_co_u32 v4, vcc_lo, 0x480, v4
	s_wait_alu 0xfffd
	v_add_co_ci_u32_e64 v5, null, 0, v5, vcc_lo
	s_wait_loadcnt 0x8
	v_and_b32_e32 v35, 0xf0f0f0f, v22
	v_lshrrev_b32_e32 v22, 4, v22
	s_wait_loadcnt 0x7
	v_and_b32_e32 v36, 0xf0f0f0f, v27
	s_wait_loadcnt 0x5
	v_lshrrev_b32_e32 v39, 4, v28
	v_and_b32_e32 v28, 0xf0f0f0f, v28
	v_dot4_i32_iu8 v35, v35, v16, 0 neg_lo:[1,1,0]
	v_and_b32_e32 v22, 0xf0f0f0f, v22
	v_lshrrev_b32_e32 v27, 4, v27
	v_and_b32_e32 v39, 0xf0f0f0f, v39
	v_dot4_i32_iu8 v16, v28, v16, 0 neg_lo:[1,1,0]
	s_wait_loadcnt 0x4
	v_and_b32_e32 v28, 0xf0f0f0f, v29
	v_lshrrev_b32_e32 v29, 4, v29
	v_dot4_i32_iu8 v22, v22, v17, v35 neg_lo:[1,1,0]
	v_and_b32_e32 v37, 0xf0f0f0f, v23
	v_dot4_i32_iu8 v16, v39, v17, v16 neg_lo:[1,1,0]
	v_and_b32_e32 v17, 0xf0f0f0f, v27
	v_and_b32_e32 v27, 0xf0f0f0f, v29
	v_dot4_i32_iu8 v22, v36, v18, v22 neg_lo:[1,1,0]
	v_lshrrev_b32_e32 v23, 4, v23
	v_dot4_i32_iu8 v16, v28, v18, v16 neg_lo:[1,1,0]
	s_wait_loadcnt 0x3
	v_and_b32_e32 v18, 0xf0f0f0f, v25
	v_lshrrev_b32_e32 v25, 4, v25
	v_dot4_i32_iu8 v17, v17, v11, v22 neg_lo:[1,1,0]
	s_wait_loadcnt 0x2
	v_and_b32_e32 v38, 0xf0f0f0f, v20
	v_dot4_i32_iu8 v11, v27, v11, v16 neg_lo:[1,1,0]
	v_and_b32_e32 v16, 0xf0f0f0f, v23
	v_and_b32_e32 v22, 0xf0f0f0f, v25
	v_dot4_i32_iu8 v17, v37, v12, v17 neg_lo:[1,1,0]
	v_lshrrev_b32_e32 v20, 4, v20
	v_dot4_i32_iu8 v11, v18, v12, v11 neg_lo:[1,1,0]
	s_wait_loadcnt 0x1
	v_and_b32_e32 v12, 0xf0f0f0f, v30
	v_lshrrev_b32_e32 v18, 4, v30
	v_dot4_i32_iu8 v16, v16, v13, v17 neg_lo:[1,1,0]
	v_dot4_i32_iu8 v11, v22, v13, v11 neg_lo:[1,1,0]
	v_and_b32_e32 v13, 0xf0f0f0f, v20
	s_delay_alu instid0(VALU_DEP_4) | instskip(NEXT) | instid1(VALU_DEP_4)
	v_and_b32_e32 v17, 0xf0f0f0f, v18
	v_dot4_i32_iu8 v16, v38, v14, v16 neg_lo:[1,1,0]
	s_delay_alu instid0(VALU_DEP_4)
	v_dot4_i32_iu8 v11, v12, v14, v11 neg_lo:[1,1,0]
	v_fmaak_f32 v14, s5, v26, 0xbf600000
	v_cvt_f32_ubyte0_e32 v12, v34
	s_wait_loadcnt 0x0
	v_dot4_i32_iu8 v13, v13, v31, v16 neg_lo:[1,1,0]
	v_mul_f32_e32 v16, v24, v32
	v_dot4_i32_iu8 v11, v17, v31, v11 neg_lo:[1,1,0]
	v_dual_mul_f32 v14, v14, v32 :: v_dual_mul_f32 v17, v33, v19
	s_delay_alu instid0(VALU_DEP_4) | instskip(SKIP_1) | instid1(VALU_DEP_4)
	v_cvt_f32_i32_e32 v13, v13
	v_mul_f32_e32 v12, v12, v21
	v_cvt_f32_i32_e32 v11, v11
	s_delay_alu instid0(VALU_DEP_3) | instskip(NEXT) | instid1(VALU_DEP_2)
	v_fma_mix_f32 v13, v13, v15, v16 op_sel_hi:[0,1,0]
	v_fma_mix_f32 v11, v11, v15, v14 op_sel_hi:[0,1,0]
	s_delay_alu instid0(VALU_DEP_1)
	v_dual_fmac_f32 v1, v17, v13 :: v_dual_fmac_f32 v0, v12, v11
	s_wait_alu 0xfffe
	s_and_not1_b32 exec_lo, exec_lo, s1
	s_cbranch_execnz .LBB204_3
; %bb.4:
	s_or_b32 exec_lo, exec_lo, s1
.LBB204_5:
	s_wait_alu 0xfffe
	s_or_b32 exec_lo, exec_lo, s11
	v_mbcnt_lo_u32_b32 v2, -1, 0
	s_delay_alu instid0(VALU_DEP_1) | instskip(SKIP_1) | instid1(VALU_DEP_2)
	v_xor_b32_e32 v3, 16, v2
	v_xor_b32_e32 v5, 8, v2
	v_cmp_gt_i32_e32 vcc_lo, 32, v3
	s_wait_alu 0xfffd
	v_cndmask_b32_e32 v3, v2, v3, vcc_lo
	s_delay_alu instid0(VALU_DEP_3) | instskip(NEXT) | instid1(VALU_DEP_2)
	v_cmp_gt_i32_e32 vcc_lo, 32, v5
	v_lshlrev_b32_e32 v3, 2, v3
	ds_bpermute_b32 v4, v3, v1
	ds_bpermute_b32 v3, v3, v0
	s_wait_alu 0xfffd
	v_cndmask_b32_e32 v5, v2, v5, vcc_lo
	s_wait_dscnt 0x0
	v_dual_add_f32 v1, v1, v4 :: v_dual_add_f32 v0, v0, v3
	s_delay_alu instid0(VALU_DEP_2) | instskip(SKIP_3) | instid1(VALU_DEP_1)
	v_lshlrev_b32_e32 v5, 2, v5
	ds_bpermute_b32 v3, v5, v1
	ds_bpermute_b32 v4, v5, v0
	v_xor_b32_e32 v5, 4, v2
	v_cmp_gt_i32_e32 vcc_lo, 32, v5
	s_wait_alu 0xfffd
	v_cndmask_b32_e32 v5, v2, v5, vcc_lo
	s_delay_alu instid0(VALU_DEP_1)
	v_lshlrev_b32_e32 v5, 2, v5
	s_wait_dscnt 0x0
	v_dual_add_f32 v1, v1, v3 :: v_dual_add_f32 v0, v0, v4
	ds_bpermute_b32 v3, v5, v1
	ds_bpermute_b32 v4, v5, v0
	v_xor_b32_e32 v5, 2, v2
	s_delay_alu instid0(VALU_DEP_1) | instskip(SKIP_2) | instid1(VALU_DEP_1)
	v_cmp_gt_i32_e32 vcc_lo, 32, v5
	s_wait_alu 0xfffd
	v_cndmask_b32_e32 v5, v2, v5, vcc_lo
	v_lshlrev_b32_e32 v5, 2, v5
	s_wait_dscnt 0x1
	v_add_f32_e32 v1, v1, v3
	s_wait_dscnt 0x0
	v_add_f32_e32 v3, v0, v4
	ds_bpermute_b32 v0, v5, v1
	ds_bpermute_b32 v4, v5, v3
	v_xor_b32_e32 v5, 1, v2
	s_delay_alu instid0(VALU_DEP_1) | instskip(SKIP_4) | instid1(VALU_DEP_2)
	v_cmp_gt_i32_e32 vcc_lo, 32, v5
	s_wait_alu 0xfffd
	v_cndmask_b32_e32 v2, v2, v5, vcc_lo
	v_cmp_gt_u32_e32 vcc_lo, 2, v7
	s_wait_dscnt 0x1
	v_dual_add_f32 v0, v1, v0 :: v_dual_lshlrev_b32 v5, 2, v2
	s_wait_dscnt 0x0
	v_dual_add_f32 v1, v3, v4 :: v_dual_add_nc_u32 v4, s2, v7
	ds_bpermute_b32 v2, v5, v0
	ds_bpermute_b32 v3, v5, v1
	v_cmp_gt_u32_e64 s0, s4, v4
	s_and_b32 s0, vcc_lo, s0
	s_wait_alu 0xfffe
	s_and_b32 exec_lo, exec_lo, s0
	s_cbranch_execz .LBB204_7
; %bb.6:
	v_mul_lo_u32 v4, s7, v6
	v_or_b32_e32 v6, s2, v7
	s_mul_i32 s0, s10, ttmp7
	s_wait_dscnt 0x1
	v_dual_mov_b32 v5, 0 :: v_dual_add_f32 v2, v0, v2
	s_wait_dscnt 0x0
	v_add_f32_e32 v3, v1, v3
	v_cmp_eq_u32_e32 vcc_lo, 1, v7
	s_wait_alu 0xfffe
	v_add3_u32 v4, v6, v4, s0
	s_wait_alu 0xfffd
	v_cndmask_b32_e32 v2, v2, v3, vcc_lo
	s_delay_alu instid0(VALU_DEP_2) | instskip(NEXT) | instid1(VALU_DEP_1)
	v_lshlrev_b64_e32 v[0:1], 2, v[4:5]
	v_add_co_u32 v0, vcc_lo, s18, v0
	s_wait_alu 0xfffd
	s_delay_alu instid0(VALU_DEP_2)
	v_add_co_ci_u32_e64 v1, null, s19, v1, vcc_lo
	global_store_b32 v[0:1], v2, off
.LBB204_7:
	s_endpgm
	.section	.rodata,"a",@progbits
	.p2align	6, 0x0
	.amdhsa_kernel _ZL17mul_mat_vec_q_moeIL9ggml_type19ELi2EEvPKvS2_PKiPfj15HIP_vector_typeIjLj3EEjjjjjjjjj
		.amdhsa_group_segment_fixed_size 0
		.amdhsa_private_segment_fixed_size 0
		.amdhsa_kernarg_size 84
		.amdhsa_user_sgpr_count 2
		.amdhsa_user_sgpr_dispatch_ptr 0
		.amdhsa_user_sgpr_queue_ptr 0
		.amdhsa_user_sgpr_kernarg_segment_ptr 1
		.amdhsa_user_sgpr_dispatch_id 0
		.amdhsa_user_sgpr_private_segment_size 0
		.amdhsa_wavefront_size32 1
		.amdhsa_uses_dynamic_stack 0
		.amdhsa_enable_private_segment 0
		.amdhsa_system_sgpr_workgroup_id_x 1
		.amdhsa_system_sgpr_workgroup_id_y 1
		.amdhsa_system_sgpr_workgroup_id_z 0
		.amdhsa_system_sgpr_workgroup_info 0
		.amdhsa_system_vgpr_workitem_id 1
		.amdhsa_next_free_vgpr 40
		.amdhsa_next_free_sgpr 24
		.amdhsa_reserve_vcc 1
		.amdhsa_float_round_mode_32 0
		.amdhsa_float_round_mode_16_64 0
		.amdhsa_float_denorm_mode_32 3
		.amdhsa_float_denorm_mode_16_64 3
		.amdhsa_fp16_overflow 0
		.amdhsa_workgroup_processor_mode 1
		.amdhsa_memory_ordered 1
		.amdhsa_forward_progress 1
		.amdhsa_inst_pref_size 16
		.amdhsa_round_robin_scheduling 0
		.amdhsa_exception_fp_ieee_invalid_op 0
		.amdhsa_exception_fp_denorm_src 0
		.amdhsa_exception_fp_ieee_div_zero 0
		.amdhsa_exception_fp_ieee_overflow 0
		.amdhsa_exception_fp_ieee_underflow 0
		.amdhsa_exception_fp_ieee_inexact 0
		.amdhsa_exception_int_div_zero 0
	.end_amdhsa_kernel
	.section	.text._ZL17mul_mat_vec_q_moeIL9ggml_type19ELi2EEvPKvS2_PKiPfj15HIP_vector_typeIjLj3EEjjjjjjjjj,"axG",@progbits,_ZL17mul_mat_vec_q_moeIL9ggml_type19ELi2EEvPKvS2_PKiPfj15HIP_vector_typeIjLj3EEjjjjjjjjj,comdat
.Lfunc_end204:
	.size	_ZL17mul_mat_vec_q_moeIL9ggml_type19ELi2EEvPKvS2_PKiPfj15HIP_vector_typeIjLj3EEjjjjjjjjj, .Lfunc_end204-_ZL17mul_mat_vec_q_moeIL9ggml_type19ELi2EEvPKvS2_PKiPfj15HIP_vector_typeIjLj3EEjjjjjjjjj
                                        ; -- End function
	.set _ZL17mul_mat_vec_q_moeIL9ggml_type19ELi2EEvPKvS2_PKiPfj15HIP_vector_typeIjLj3EEjjjjjjjjj.num_vgpr, 40
	.set _ZL17mul_mat_vec_q_moeIL9ggml_type19ELi2EEvPKvS2_PKiPfj15HIP_vector_typeIjLj3EEjjjjjjjjj.num_agpr, 0
	.set _ZL17mul_mat_vec_q_moeIL9ggml_type19ELi2EEvPKvS2_PKiPfj15HIP_vector_typeIjLj3EEjjjjjjjjj.numbered_sgpr, 24
	.set _ZL17mul_mat_vec_q_moeIL9ggml_type19ELi2EEvPKvS2_PKiPfj15HIP_vector_typeIjLj3EEjjjjjjjjj.num_named_barrier, 0
	.set _ZL17mul_mat_vec_q_moeIL9ggml_type19ELi2EEvPKvS2_PKiPfj15HIP_vector_typeIjLj3EEjjjjjjjjj.private_seg_size, 0
	.set _ZL17mul_mat_vec_q_moeIL9ggml_type19ELi2EEvPKvS2_PKiPfj15HIP_vector_typeIjLj3EEjjjjjjjjj.uses_vcc, 1
	.set _ZL17mul_mat_vec_q_moeIL9ggml_type19ELi2EEvPKvS2_PKiPfj15HIP_vector_typeIjLj3EEjjjjjjjjj.uses_flat_scratch, 0
	.set _ZL17mul_mat_vec_q_moeIL9ggml_type19ELi2EEvPKvS2_PKiPfj15HIP_vector_typeIjLj3EEjjjjjjjjj.has_dyn_sized_stack, 0
	.set _ZL17mul_mat_vec_q_moeIL9ggml_type19ELi2EEvPKvS2_PKiPfj15HIP_vector_typeIjLj3EEjjjjjjjjj.has_recursion, 0
	.set _ZL17mul_mat_vec_q_moeIL9ggml_type19ELi2EEvPKvS2_PKiPfj15HIP_vector_typeIjLj3EEjjjjjjjjj.has_indirect_call, 0
	.section	.AMDGPU.csdata,"",@progbits
; Kernel info:
; codeLenInByte = 1944
; TotalNumSgprs: 26
; NumVgprs: 40
; ScratchSize: 0
; MemoryBound: 0
; FloatMode: 240
; IeeeMode: 1
; LDSByteSize: 0 bytes/workgroup (compile time only)
; SGPRBlocks: 0
; VGPRBlocks: 4
; NumSGPRsForWavesPerEU: 26
; NumVGPRsForWavesPerEU: 40
; Occupancy: 16
; WaveLimiterHint : 1
; COMPUTE_PGM_RSRC2:SCRATCH_EN: 0
; COMPUTE_PGM_RSRC2:USER_SGPR: 2
; COMPUTE_PGM_RSRC2:TRAP_HANDLER: 0
; COMPUTE_PGM_RSRC2:TGID_X_EN: 1
; COMPUTE_PGM_RSRC2:TGID_Y_EN: 1
; COMPUTE_PGM_RSRC2:TGID_Z_EN: 0
; COMPUTE_PGM_RSRC2:TIDIG_COMP_CNT: 1
	.section	.text._ZL13mul_mat_vec_qIL9ggml_type19ELi1ELb1ELb1EEvPKvS2_PKi31ggml_cuda_mm_fusion_args_devicePfj15HIP_vector_typeIjLj3EEjjjS8_jjjS8_jjjj,"axG",@progbits,_ZL13mul_mat_vec_qIL9ggml_type19ELi1ELb1ELb1EEvPKvS2_PKi31ggml_cuda_mm_fusion_args_devicePfj15HIP_vector_typeIjLj3EEjjjS8_jjjS8_jjjj,comdat
	.globl	_ZL13mul_mat_vec_qIL9ggml_type19ELi1ELb1ELb1EEvPKvS2_PKi31ggml_cuda_mm_fusion_args_devicePfj15HIP_vector_typeIjLj3EEjjjS8_jjjS8_jjjj ; -- Begin function _ZL13mul_mat_vec_qIL9ggml_type19ELi1ELb1ELb1EEvPKvS2_PKi31ggml_cuda_mm_fusion_args_devicePfj15HIP_vector_typeIjLj3EEjjjS8_jjjS8_jjjj
	.p2align	8
	.type	_ZL13mul_mat_vec_qIL9ggml_type19ELi1ELb1ELb1EEvPKvS2_PKi31ggml_cuda_mm_fusion_args_devicePfj15HIP_vector_typeIjLj3EEjjjS8_jjjS8_jjjj,@function
_ZL13mul_mat_vec_qIL9ggml_type19ELi1ELb1ELb1EEvPKvS2_PKi31ggml_cuda_mm_fusion_args_devicePfj15HIP_vector_typeIjLj3EEjjjS8_jjjS8_jjjj: ; @_ZL13mul_mat_vec_qIL9ggml_type19ELi1ELb1ELb1EEvPKvS2_PKi31ggml_cuda_mm_fusion_args_devicePfj15HIP_vector_typeIjLj3EEjjjS8_jjjS8_jjjj
; %bb.0:
	s_clause 0x3
	s_load_b256 s[8:15], s[0:1], 0x0
	s_load_b128 s[16:19], s[0:1], 0x20
	s_load_b128 s[20:23], s[0:1], 0x40
	;; [unrolled: 1-line block ×3, first 2 shown]
	s_and_b32 s27, ttmp7, 0xffff
	s_wait_kmcnt 0x0
	s_cmp_lg_u64 s[12:13], 0
	s_cselect_b32 s2, -1, 0
	s_cmp_eq_u64 s[12:13], 0
	s_cbranch_scc1 .LBB205_24
; %bb.1:
	s_lshl_b32 s3, s27, 2
	s_load_b32 s28, s[12:13], s3 offset:0x0
	s_clause 0x1
	s_load_b32 s30, s[0:1], 0x50
	s_load_b32 s29, s[0:1], 0x78
	s_cbranch_execnz .LBB205_3
.LBB205_2:
	s_load_b64 s[12:13], s[0:1], 0x5c
	s_wait_kmcnt 0x0
	s_mul_hi_u32 s3, s12, s27
	s_delay_alu instid0(SALU_CYCLE_1) | instskip(NEXT) | instid1(SALU_CYCLE_1)
	s_add_co_i32 s3, s27, s3
	s_lshr_b32 s28, s3, s13
.LBB205_3:
	s_and_not1_b32 vcc_lo, exec_lo, s2
	s_mov_b32 s3, s27
	s_mov_b32 s31, s27
	s_cbranch_vccnz .LBB205_5
; %bb.4:
	s_mul_hi_u32 s2, s21, s27
	s_wait_kmcnt 0x0
	s_mov_b32 s3, s28
	s_add_co_i32 s2, s27, s2
	s_delay_alu instid0(SALU_CYCLE_1) | instskip(NEXT) | instid1(SALU_CYCLE_1)
	s_lshr_b32 s2, s2, s22
	s_mul_i32 s2, s2, s23
	s_delay_alu instid0(SALU_CYCLE_1)
	s_sub_co_i32 s31, s27, s2
.LBB205_5:
	s_load_b96 s[24:26], s[0:1], 0x80
	v_bfe_u32 v13, v0, 10, 10
	v_dual_mov_b32 v11, 0 :: v_dual_and_b32 v10, 0x3ff, v0
	s_lshr_b32 s21, ttmp7, 16
	s_cmp_lg_u64 s[14:15], 0
	v_mov_b32_e32 v12, 0
	s_delay_alu instid0(VALU_DEP_2) | instskip(SKIP_3) | instid1(VALU_DEP_1)
	v_or_b32_e32 v0, v10, v13
	s_cselect_b32 s2, -1, 0
	s_mov_b32 s23, 0
	s_mul_i32 s12, s3, s6
	v_cmp_eq_u32_e32 vcc_lo, 0, v0
	s_and_b32 s13, s2, vcc_lo
	s_delay_alu instid0(SALU_CYCLE_1)
	s_and_saveexec_b32 s3, s13
	s_cbranch_execz .LBB205_7
; %bb.6:
	s_wait_kmcnt 0x0
	s_mul_i32 s22, s26, s21
	s_mov_b32 s13, s23
	s_lshl_b64 s[22:23], s[22:23], 2
	s_mov_b32 s34, ttmp9
	s_lshl_b64 s[36:37], s[12:13], 2
	s_add_nc_u64 s[14:15], s[14:15], s[22:23]
	s_ashr_i32 s35, ttmp9, 31
	v_lshlrev_b32_e32 v0, 2, v10
	s_add_nc_u64 s[14:15], s[14:15], s[36:37]
	s_lshl_b64 s[22:23], s[34:35], 2
	s_delay_alu instid0(SALU_CYCLE_1)
	s_add_nc_u64 s[14:15], s[14:15], s[22:23]
	global_load_b32 v12, v0, s[14:15]
.LBB205_7:
	s_or_b32 exec_lo, exec_lo, s3
	s_cmp_lg_u64 s[16:17], 0
	s_cselect_b32 s14, -1, 0
	s_cmp_lg_u64 s[18:19], 0
	s_cselect_b32 s3, -1, 0
	s_delay_alu instid0(SALU_CYCLE_1) | instskip(NEXT) | instid1(SALU_CYCLE_1)
	s_and_b32 s13, s3, s14
	s_and_b32 s13, s13, vcc_lo
	s_delay_alu instid0(SALU_CYCLE_1)
	s_and_saveexec_b32 s15, s13
	s_cbranch_execz .LBB205_9
; %bb.8:
	s_wait_kmcnt 0x0
	s_mul_i32 s34, s26, s21
	s_mov_b32 s35, 0
	s_mov_b32 s22, ttmp9
	s_lshl_b64 s[36:37], s[34:35], 2
	s_mov_b32 s13, s35
	s_add_nc_u64 s[18:19], s[18:19], s[36:37]
	s_lshl_b64 s[12:13], s[12:13], 2
	s_ashr_i32 s23, ttmp9, 31
	v_lshlrev_b32_e32 v0, 2, v10
	s_add_nc_u64 s[12:13], s[18:19], s[12:13]
	s_lshl_b64 s[18:19], s[22:23], 2
	s_delay_alu instid0(SALU_CYCLE_1)
	s_add_nc_u64 s[12:13], s[12:13], s[18:19]
	global_load_b32 v11, v0, s[12:13]
.LBB205_9:
	s_or_b32 exec_lo, exec_lo, s15
	v_lshl_add_u32 v0, v13, 5, v10
	v_dual_mov_b32 v16, 0 :: v_dual_mov_b32 v15, 0
	v_cndmask_b32_e64 v14, 0, 1, s14
	s_lshr_b32 s15, s20, 8
	s_delay_alu instid0(VALU_DEP_3) | instskip(SKIP_2) | instid1(VALU_DEP_1)
	v_lshrrev_b32_e32 v17, 3, v0
	s_mov_b32 s18, exec_lo
	s_wait_alu 0xfffe
	v_cmpx_gt_u32_e64 s15, v17
	s_cbranch_execz .LBB205_15
; %bb.10:
	v_lshrrev_b32_e32 v0, 3, v0
	s_mul_i32 s12, s31, s5
	s_mov_b32 s13, 0
	s_wait_kmcnt 0x0
	s_mul_i32 s5, s25, s21
	s_mul_u64 s[22:23], s[12:13], 36
	v_dual_mov_b32 v15, 0 :: v_dual_and_b32 v2, 7, v10
	v_mad_co_u64_u32 v[0:1], null, 0x120, v0, s[22:23]
	s_delay_alu instid0(VALU_DEP_2) | instskip(SKIP_2) | instid1(VALU_DEP_3)
	v_dual_mov_b32 v16, 0 :: v_dual_lshlrev_b32 v3, 1, v2
	s_mul_i32 s30, s30, ttmp9
	v_lshlrev_b32_e32 v18, 1, v2
	v_mad_co_u64_u32 v[0:1], null, s5, 36, v[0:1]
	s_mul_hi_u32 s5, s7, s21
	s_mul_i32 s7, s28, s4
	s_wait_alu 0xfffe
	s_add_co_i32 s4, s21, s5
	v_lshlrev_b32_e32 v19, 1, v3
	s_wait_alu 0xfffe
	s_lshr_b32 s4, s4, s29
	v_mad_co_u64_u32 v[0:1], null, v2, 36, v[0:1]
	s_wait_alu 0xfffe
	s_mul_i32 s4, s4, s24
	s_wait_alu 0xfffe
	s_add_co_i32 s4, s4, s30
	s_wait_alu 0xfffe
	s_add_co_i32 s7, s7, s4
	s_delay_alu instid0(VALU_DEP_1) | instskip(NEXT) | instid1(VALU_DEP_1)
	v_add_co_u32 v0, vcc_lo, s10, v0
	v_add_co_ci_u32_e64 v1, null, s11, v1, vcc_lo
	s_mov_b32 s10, 0xb7000000
	v_add_co_u32 v8, vcc_lo, v0, 32
	s_wait_alu 0xfffd
	v_add_co_ci_u32_e64 v9, null, 0, v1, vcc_lo
	s_branch .LBB205_12
.LBB205_11:                             ;   in Loop: Header=BB205_12 Depth=1
	s_wait_loadcnt 0x3
	v_lshrrev_b32_e32 v28, 4, v27
	v_and_b32_e32 v27, 0xf0f0f0f, v27
	v_add_co_u32 v8, s4, 0x480, v8
	s_wait_alu 0xf1ff
	v_add_co_ci_u32_e64 v9, null, 0, v9, s4
	v_and_b32_e32 v28, 0xf0f0f0f, v28
	v_dot4_i32_iu8 v5, v27, v5, 0 neg_lo:[1,1,0]
	s_wait_loadcnt 0x2
	v_and_b32_e32 v27, 0xf0f0f0f, v26
	v_lshrrev_b32_e32 v26, 4, v26
	v_add_nc_u32_e32 v17, 4, v17
	v_dot4_i32_iu8 v5, v28, v6, v5 neg_lo:[1,1,0]
	s_delay_alu instid0(VALU_DEP_3) | instskip(NEXT) | instid1(VALU_DEP_3)
	v_and_b32_e32 v6, 0xf0f0f0f, v26
	v_cmp_le_u32_e32 vcc_lo, s15, v17
	s_delay_alu instid0(VALU_DEP_3)
	v_dot4_i32_iu8 v5, v27, v7, v5 neg_lo:[1,1,0]
	s_wait_loadcnt 0x1
	v_and_b32_e32 v7, 0xf0f0f0f, v25
	v_lshrrev_b32_e32 v25, 4, v25
	s_or_b32 s13, vcc_lo, s13
	v_dot4_i32_iu8 v0, v6, v0, v5 neg_lo:[1,1,0]
	s_wait_loadcnt 0x0
	v_lshrrev_b32_e32 v6, 4, v24
	v_and_b32_e32 v5, 0xf0f0f0f, v25
	s_delay_alu instid0(VALU_DEP_3) | instskip(SKIP_2) | instid1(VALU_DEP_3)
	v_dot4_i32_iu8 v0, v7, v1, v0 neg_lo:[1,1,0]
	v_and_b32_e32 v1, 0xf0f0f0f, v24
	v_and_b32_e32 v7, 0x8000, v20
	v_dot4_i32_iu8 v0, v5, v2, v0 neg_lo:[1,1,0]
	v_lshrrev_b32_e32 v2, 11, v20
	v_and_b32_e32 v5, 0xf0f0f0f, v6
	s_delay_alu instid0(VALU_DEP_4) | instskip(NEXT) | instid1(VALU_DEP_4)
	v_cvt_f32_u32_e32 v6, v7
	v_dot4_i32_iu8 v0, v1, v3, v0 neg_lo:[1,1,0]
	s_delay_alu instid0(VALU_DEP_4) | instskip(SKIP_1) | instid1(VALU_DEP_4)
	v_and_or_b32 v1, v2, 14, 1
	v_cvt_f32_f16_e32 v3, v21
	v_fmaak_f32 v2, s10, v6, 0xbf600000
	s_delay_alu instid0(VALU_DEP_4) | instskip(NEXT) | instid1(VALU_DEP_4)
	v_dot4_i32_iu8 v0, v5, v22, v0 neg_lo:[1,1,0]
	v_cvt_f32_ubyte0_e32 v1, v1
	s_delay_alu instid0(VALU_DEP_3) | instskip(NEXT) | instid1(VALU_DEP_3)
	v_mul_f32_e32 v2, v2, v23
	v_cvt_f32_i32_e32 v0, v0
	s_delay_alu instid0(VALU_DEP_1) | instskip(NEXT) | instid1(VALU_DEP_1)
	v_dual_mul_f32 v1, v1, v3 :: v_dual_fmac_f32 v2, v0, v4
	v_fmac_f32_e32 v16, v1, v2
	s_and_not1_b32 exec_lo, exec_lo, s13
	s_cbranch_execz .LBB205_14
.LBB205_12:                             ; =>This Inner Loop Header: Depth=1
	v_add_nc_u32_e32 v28, s7, v17
	s_getpc_b64 s[4:5]
	s_wait_alu 0xfffe
	s_sext_i32_i16 s5, s5
	s_add_co_u32 s4, s4, _ZL13iq1s_grid_gpu@rel32@lo+12
	s_wait_alu 0xfffe
	s_add_co_ci_u32 s5, s5, _ZL13iq1s_grid_gpu@rel32@hi+24
	v_mad_co_i64_i32 v[0:1], null, v28, 50, s[8:9]
	s_delay_alu instid0(VALU_DEP_1) | instskip(SKIP_1) | instid1(VALU_DEP_2)
	v_add_co_u32 v2, vcc_lo, v0, v19
	s_wait_alu 0xfffd
	v_add_co_ci_u32_e64 v3, null, 0, v1, vcc_lo
	v_add_co_u32 v4, vcc_lo, v0, v18
	s_wait_alu 0xfffd
	v_add_co_ci_u32_e64 v5, null, 0, v1, vcc_lo
	s_clause 0x2
	global_load_b32 v2, v[2:3], off offset:2
	global_load_u16 v20, v[4:5], off offset:34
	global_load_u16 v21, v[0:1], off
	s_and_not1_b32 vcc_lo, exec_lo, s14
	s_wait_loadcnt 0x2
	v_and_b32_e32 v1, 0xff, v2
	s_wait_loadcnt 0x1
	v_lshlrev_b32_e32 v3, 8, v20
	v_bfe_u32 v4, v2, 8, 8
	v_lshlrev_b32_e32 v5, 5, v20
	v_lshrrev_b32_e32 v0, 24, v2
	v_bfe_u32 v2, v2, 16, 8
	v_lshlrev_b32_e32 v6, 2, v20
	v_lshrrev_b32_e32 v7, 1, v20
	v_and_or_b32 v22, 0x700, v3, v1
	v_and_or_b32 v23, 0x700, v5, v4
	s_delay_alu instid0(VALU_DEP_4) | instskip(NEXT) | instid1(VALU_DEP_4)
	v_and_or_b32 v24, 0x700, v6, v2
	v_and_or_b32 v25, 0x700, v7, v0
	s_clause 0x1
	global_load_b128 v[4:7], v[8:9], off offset:-32
	global_load_b128 v[0:3], v[8:9], off offset:-16
	v_lshlrev_b32_e32 v26, 2, v22
	v_lshlrev_b32_e32 v23, 2, v23
	;; [unrolled: 1-line block ×4, first 2 shown]
	global_load_b32 v22, v[8:9], off
	s_clause 0x3
	global_load_b32 v27, v26, s[4:5]
	global_load_b32 v26, v23, s[4:5]
	;; [unrolled: 1-line block ×4, first 2 shown]
	s_wait_loadcnt 0x6
	v_lshrrev_b32_e32 v23, 16, v4
	v_cvt_f32_f16_e32 v4, v4
	s_delay_alu instid0(VALU_DEP_2)
	v_cvt_f32_f16_e32 v23, v23
	s_wait_alu 0xfffe
	s_cbranch_vccnz .LBB205_11
; %bb.13:                               ;   in Loop: Header=BB205_12 Depth=1
	v_mad_co_i64_i32 v[28:29], null, v28, 50, s[16:17]
	s_delay_alu instid0(VALU_DEP_1) | instskip(SKIP_1) | instid1(VALU_DEP_2)
	v_add_co_u32 v30, vcc_lo, v28, v19
	s_wait_alu 0xfffd
	v_add_co_ci_u32_e64 v31, null, 0, v29, vcc_lo
	v_add_co_u32 v32, vcc_lo, v28, v18
	s_wait_alu 0xfffd
	v_add_co_ci_u32_e64 v33, null, 0, v29, vcc_lo
	s_clause 0x2
	global_load_b32 v30, v[30:31], off offset:2
	global_load_u16 v31, v[32:33], off offset:34
	global_load_u16 v28, v[28:29], off
	s_wait_loadcnt 0x1
	v_lshlrev_b32_e32 v32, 8, v31
	s_wait_loadcnt 0x0
	v_cvt_f32_f16_e32 v28, v28
	v_and_b32_e32 v29, 0xff, v30
	v_lshlrev_b32_e32 v33, 5, v31
	v_lshlrev_b32_e32 v34, 2, v31
	s_delay_alu instid0(VALU_DEP_3) | instskip(SKIP_1) | instid1(VALU_DEP_2)
	v_and_or_b32 v29, 0x700, v32, v29
	v_bfe_u32 v32, v30, 8, 8
	v_lshlrev_b32_e32 v29, 2, v29
	s_delay_alu instid0(VALU_DEP_2)
	v_and_or_b32 v32, 0x700, v33, v32
	v_bfe_u32 v33, v30, 16, 8
	v_lshrrev_b32_e32 v30, 24, v30
	global_load_b32 v29, v29, s[4:5]
	v_lshlrev_b32_e32 v32, 2, v32
	v_and_or_b32 v33, 0x700, v34, v33
	v_lshrrev_b32_e32 v34, 1, v31
	global_load_b32 v32, v32, s[4:5]
	v_lshlrev_b32_e32 v33, 2, v33
	v_and_or_b32 v30, 0x700, v34, v30
	global_load_b32 v33, v33, s[4:5]
	v_lshlrev_b32_e32 v30, 2, v30
	global_load_b32 v30, v30, s[4:5]
	s_wait_loadcnt 0x3
	v_lshrrev_b32_e32 v34, 4, v29
	v_and_b32_e32 v29, 0xf0f0f0f, v29
	s_delay_alu instid0(VALU_DEP_2) | instskip(NEXT) | instid1(VALU_DEP_2)
	v_and_b32_e32 v34, 0xf0f0f0f, v34
	v_dot4_i32_iu8 v29, v29, v5, 0 neg_lo:[1,1,0]
	s_wait_loadcnt 0x2
	v_and_b32_e32 v35, 0xf0f0f0f, v32
	v_lshrrev_b32_e32 v32, 4, v32
	s_delay_alu instid0(VALU_DEP_3) | instskip(SKIP_2) | instid1(VALU_DEP_3)
	v_dot4_i32_iu8 v29, v34, v6, v29 neg_lo:[1,1,0]
	s_wait_loadcnt 0x1
	v_and_b32_e32 v34, 0xf0f0f0f, v33
	v_and_b32_e32 v32, 0xf0f0f0f, v32
	v_lshrrev_b32_e32 v33, 4, v33
	v_dot4_i32_iu8 v29, v35, v7, v29 neg_lo:[1,1,0]
	s_delay_alu instid0(VALU_DEP_1) | instskip(NEXT) | instid1(VALU_DEP_3)
	v_dot4_i32_iu8 v29, v32, v0, v29 neg_lo:[1,1,0]
	v_and_b32_e32 v32, 0xf0f0f0f, v33
	s_wait_loadcnt 0x0
	v_lshrrev_b32_e32 v33, 4, v30
	v_and_b32_e32 v30, 0xf0f0f0f, v30
	v_dot4_i32_iu8 v29, v34, v1, v29 neg_lo:[1,1,0]
	s_delay_alu instid0(VALU_DEP_1) | instskip(NEXT) | instid1(VALU_DEP_4)
	v_dot4_i32_iu8 v29, v32, v2, v29 neg_lo:[1,1,0]
	v_and_b32_e32 v32, 0xf0f0f0f, v33
	s_delay_alu instid0(VALU_DEP_2) | instskip(SKIP_2) | instid1(VALU_DEP_3)
	v_dot4_i32_iu8 v29, v30, v3, v29 neg_lo:[1,1,0]
	v_lshrrev_b32_e32 v30, 11, v31
	v_and_b32_e32 v31, 0x8000, v31
	v_dot4_i32_iu8 v29, v32, v22, v29 neg_lo:[1,1,0]
	s_delay_alu instid0(VALU_DEP_3) | instskip(NEXT) | instid1(VALU_DEP_3)
	v_and_or_b32 v30, v30, 14, 1
	v_cvt_f32_u32_e32 v31, v31
	s_delay_alu instid0(VALU_DEP_3) | instskip(NEXT) | instid1(VALU_DEP_3)
	v_cvt_f32_i32_e32 v29, v29
	v_cvt_f32_ubyte0_e32 v30, v30
	s_delay_alu instid0(VALU_DEP_3) | instskip(NEXT) | instid1(VALU_DEP_2)
	v_fmaak_f32 v31, s10, v31, 0xbf600000
	v_dual_mul_f32 v29, v4, v29 :: v_dual_mul_f32 v28, v30, v28
	s_delay_alu instid0(VALU_DEP_1) | instskip(NEXT) | instid1(VALU_DEP_1)
	v_fmac_f32_e32 v29, v31, v23
	v_fmac_f32_e32 v15, v28, v29
	s_branch .LBB205_11
.LBB205_14:
	s_or_b32 exec_lo, exec_lo, s13
.LBB205_15:
	s_delay_alu instid0(SALU_CYCLE_1)
	s_or_b32 exec_lo, exec_lo, s18
	s_load_b32 s4, s[0:1], 0x30
	s_wait_loadcnt 0x0
	; wave barrier
	global_inv scope:SCOPE_SE
	s_mov_b32 s5, exec_lo
	v_cmpx_eq_u32_e32 0, v13
	s_cbranch_execz .LBB205_43
; %bb.16:
	v_mbcnt_lo_u32_b32 v1, -1, 0
	s_delay_alu instid0(VALU_DEP_1) | instskip(SKIP_2) | instid1(VALU_DEP_3)
	v_xor_b32_e32 v0, 16, v1
	v_xor_b32_e32 v3, 8, v1
	;; [unrolled: 1-line block ×3, first 2 shown]
	v_cmp_gt_i32_e32 vcc_lo, 32, v0
	s_wait_alu 0xfffd
	v_cndmask_b32_e32 v0, v1, v0, vcc_lo
	v_cmp_gt_i32_e32 vcc_lo, 32, v3
	s_wait_alu 0xfffd
	v_cndmask_b32_e32 v3, v1, v3, vcc_lo
	v_cmp_gt_i32_e32 vcc_lo, 32, v4
	s_delay_alu instid0(VALU_DEP_2)
	v_lshlrev_b32_e32 v3, 2, v3
	v_lshlrev_b32_e32 v0, 2, v0
	s_wait_alu 0xfffd
	v_cndmask_b32_e32 v4, v1, v4, vcc_lo
	ds_bpermute_b32 v2, v0, v16
	s_wait_dscnt 0x0
	v_add_f32_e32 v2, v16, v2
	ds_bpermute_b32 v5, v3, v2
	s_wait_dscnt 0x0
	v_add_f32_e32 v2, v2, v5
	v_xor_b32_e32 v5, 2, v1
	s_delay_alu instid0(VALU_DEP_1) | instskip(SKIP_2) | instid1(VALU_DEP_1)
	v_cmp_gt_i32_e32 vcc_lo, 32, v5
	s_wait_alu 0xfffd
	v_cndmask_b32_e32 v5, v1, v5, vcc_lo
	v_lshlrev_b32_e32 v5, 2, v5
	v_lshlrev_b32_e32 v4, 2, v4
	ds_bpermute_b32 v6, v4, v2
	s_wait_dscnt 0x0
	v_add_f32_e32 v2, v2, v6
	v_xor_b32_e32 v6, 1, v1
	ds_bpermute_b32 v7, v5, v2
	v_cmp_gt_i32_e32 vcc_lo, 32, v6
	s_wait_alu 0xfffd
	v_cndmask_b32_e32 v1, v1, v6, vcc_lo
	v_cmp_ne_u32_e32 vcc_lo, 1, v14
	s_delay_alu instid0(VALU_DEP_2)
	v_lshlrev_b32_e32 v6, 2, v1
	s_wait_dscnt 0x0
	v_add_f32_e32 v1, v2, v7
	ds_bpermute_b32 v2, v6, v1
	s_cbranch_vccnz .LBB205_18
; %bb.17:
	ds_bpermute_b32 v0, v0, v15
	s_wait_dscnt 0x0
	v_add_f32_e32 v0, v15, v0
	ds_bpermute_b32 v3, v3, v0
	s_wait_dscnt 0x0
	v_add_f32_e32 v0, v0, v3
	ds_bpermute_b32 v3, v4, v0
	s_wait_dscnt 0x0
	v_add_f32_e32 v0, v0, v3
	ds_bpermute_b32 v3, v5, v0
	s_wait_dscnt 0x0
	v_add_f32_e32 v0, v0, v3
	ds_bpermute_b32 v3, v6, v0
	s_wait_dscnt 0x0
	v_add_f32_e32 v15, v0, v3
.LBB205_18:
	v_cmp_eq_u32_e32 vcc_lo, 0, v10
	s_and_b32 exec_lo, exec_lo, vcc_lo
	s_cbranch_execz .LBB205_43
; %bb.19:
	s_wait_dscnt 0x0
	v_add_f32_e32 v0, v1, v2
	v_cmp_ne_u32_e32 vcc_lo, 1, v14
	s_delay_alu instid0(VALU_DEP_2) | instskip(NEXT) | instid1(VALU_DEP_1)
	v_add_f32_e32 v1, v12, v0
	v_cndmask_b32_e64 v0, v0, v1, s2
	s_cbranch_vccnz .LBB205_42
; %bb.20:
	v_add_f32_e32 v1, v11, v15
	s_wait_kmcnt 0x0
	s_cmp_lt_i32 s4, 2
	s_mov_b32 s2, 0
	s_delay_alu instid0(VALU_DEP_1)
	v_cndmask_b32_e64 v1, v15, v1, s3
	s_cbranch_scc1 .LBB205_25
; %bb.21:
	s_cmp_gt_i32 s4, 2
	s_cbranch_scc0 .LBB205_26
; %bb.22:
	s_cmp_eq_u32 s4, 3
	s_cbranch_scc0 .LBB205_27
; %bb.23:
	v_max_num_f32_e32 v2, v1, v1
	s_mov_b32 s3, 0xc0e00000
	s_delay_alu instid0(VALU_DEP_1) | instskip(NEXT) | instid1(VALU_DEP_1)
	v_min_num_f32_e32 v2, 0x40e00000, v2
	v_mul_f32_e32 v3, 0xbfd9db23, v2
	s_delay_alu instid0(VALU_DEP_1) | instskip(NEXT) | instid1(VALU_DEP_1)
	v_mul_f32_e32 v4, 0x3fb8aa3b, v3
	v_fma_f32 v5, 0x3fb8aa3b, v3, -v4
	v_rndne_f32_e32 v6, v4
	s_delay_alu instid0(VALU_DEP_1) | instskip(NEXT) | instid1(VALU_DEP_1)
	v_dual_fmamk_f32 v5, v3, 0x32a5705f, v5 :: v_dual_sub_f32 v4, v4, v6
	v_add_f32_e32 v4, v4, v5
	v_cvt_i32_f32_e32 v5, v6
	v_cmp_ngt_f32_e32 vcc_lo, 0xc2ce8ed0, v3
	s_delay_alu instid0(VALU_DEP_3) | instskip(NEXT) | instid1(TRANS32_DEP_1)
	v_exp_f32_e32 v4, v4
	v_ldexp_f32 v4, v4, v5
	s_wait_alu 0xfffd
	s_delay_alu instid0(VALU_DEP_1) | instskip(SKIP_2) | instid1(VALU_DEP_2)
	v_cndmask_b32_e32 v4, 0, v4, vcc_lo
	v_cmp_nlt_f32_e32 vcc_lo, 0x42b17218, v3
	s_wait_alu 0xfffd
	v_cndmask_b32_e32 v3, 0x7f800000, v4, vcc_lo
	s_delay_alu instid0(VALU_DEP_1) | instskip(NEXT) | instid1(VALU_DEP_1)
	v_add_f32_e32 v3, 1.0, v3
	v_div_scale_f32 v4, null, v3, v3, v2
	v_div_scale_f32 v7, vcc_lo, v2, v3, v2
	s_delay_alu instid0(VALU_DEP_2) | instskip(NEXT) | instid1(TRANS32_DEP_1)
	v_rcp_f32_e32 v5, v4
	v_fma_f32 v6, -v4, v5, 1.0
	s_delay_alu instid0(VALU_DEP_1) | instskip(NEXT) | instid1(VALU_DEP_1)
	v_fmac_f32_e32 v5, v6, v5
	v_mul_f32_e32 v6, v7, v5
	s_delay_alu instid0(VALU_DEP_1) | instskip(NEXT) | instid1(VALU_DEP_1)
	v_fma_f32 v8, -v4, v6, v7
	v_fmac_f32_e32 v6, v8, v5
	s_delay_alu instid0(VALU_DEP_1) | instskip(SKIP_1) | instid1(VALU_DEP_1)
	v_fma_f32 v4, -v4, v6, v7
	s_wait_alu 0xfffd
	v_div_fmas_f32 v4, v4, v5, v6
	s_delay_alu instid0(VALU_DEP_1) | instskip(SKIP_2) | instid1(VALU_DEP_1)
	v_div_fixup_f32 v2, v4, v3, v2
	v_max_num_f32_e32 v7, v0, v0
	s_wait_alu 0xfffe
	v_minmax_num_f32 v5, v7, 0x40e00000, s3
	s_mov_b32 s3, 0
	s_delay_alu instid0(VALU_DEP_1) | instskip(NEXT) | instid1(VALU_DEP_1)
	v_add_f32_e32 v3, 1.0, v5
	v_mul_f32_e32 v2, v3, v2
	s_branch .LBB205_28
.LBB205_24:
                                        ; implicit-def: $sgpr28
	s_clause 0x1
	s_load_b32 s30, s[0:1], 0x50
	s_load_b32 s29, s[0:1], 0x78
	s_branch .LBB205_2
.LBB205_25:
	s_mov_b32 s3, 0
                                        ; implicit-def: $vgpr2
	s_cbranch_execnz .LBB205_32
	s_branch .LBB205_33
.LBB205_26:
	s_mov_b32 s5, -1
	s_mov_b32 s3, 0
                                        ; implicit-def: $vgpr2
	s_branch .LBB205_29
.LBB205_27:
	s_mov_b32 s3, -1
                                        ; implicit-def: $vgpr2
.LBB205_28:
	s_mov_b32 s5, 0
.LBB205_29:
	s_wait_alu 0xfffe
	s_and_b32 vcc_lo, exec_lo, s5
	s_wait_alu 0xfffe
	s_cbranch_vccz .LBB205_31
; %bb.30:
	v_mul_f32_e32 v2, 0xbfb8aa3b, v1
	v_cmp_nlt_f32_e32 vcc_lo, 0x42ce8ed0, v1
	s_delay_alu instid0(VALU_DEP_2) | instskip(SKIP_1) | instid1(VALU_DEP_2)
	v_rndne_f32_e32 v3, v2
	v_fma_f32 v4, 0xbfb8aa3b, v1, -v2
	v_sub_f32_e32 v2, v2, v3
	s_delay_alu instid0(VALU_DEP_2) | instskip(SKIP_1) | instid1(VALU_DEP_2)
	v_fmamk_f32 v4, v1, 0xb2a5705f, v4
	v_cvt_i32_f32_e32 v3, v3
	v_add_f32_e32 v2, v2, v4
	s_delay_alu instid0(VALU_DEP_1) | instskip(NEXT) | instid1(TRANS32_DEP_1)
	v_exp_f32_e32 v2, v2
	v_ldexp_f32 v2, v2, v3
	s_wait_alu 0xfffd
	s_delay_alu instid0(VALU_DEP_1) | instskip(SKIP_2) | instid1(VALU_DEP_2)
	v_cndmask_b32_e32 v2, 0, v2, vcc_lo
	v_cmp_ngt_f32_e32 vcc_lo, 0xc2b17218, v1
	s_wait_alu 0xfffd
	v_cndmask_b32_e32 v2, 0x7f800000, v2, vcc_lo
	s_delay_alu instid0(VALU_DEP_1) | instskip(NEXT) | instid1(VALU_DEP_1)
	v_add_f32_e32 v2, 1.0, v2
	v_div_scale_f32 v3, null, v2, v2, v1
	s_delay_alu instid0(VALU_DEP_1) | instskip(NEXT) | instid1(TRANS32_DEP_1)
	v_rcp_f32_e32 v4, v3
	v_fma_f32 v5, -v3, v4, 1.0
	s_delay_alu instid0(VALU_DEP_1) | instskip(SKIP_1) | instid1(VALU_DEP_1)
	v_fmac_f32_e32 v4, v5, v4
	v_div_scale_f32 v5, vcc_lo, v1, v2, v1
	v_mul_f32_e32 v6, v5, v4
	s_delay_alu instid0(VALU_DEP_1) | instskip(NEXT) | instid1(VALU_DEP_1)
	v_fma_f32 v7, -v3, v6, v5
	v_fmac_f32_e32 v6, v7, v4
	s_delay_alu instid0(VALU_DEP_1) | instskip(SKIP_1) | instid1(VALU_DEP_1)
	v_fma_f32 v3, -v3, v6, v5
	s_wait_alu 0xfffd
	v_div_fmas_f32 v3, v3, v4, v6
	s_delay_alu instid0(VALU_DEP_1) | instskip(NEXT) | instid1(VALU_DEP_1)
	v_div_fixup_f32 v2, v3, v2, v1
	v_mul_f32_e32 v2, v0, v2
.LBB205_31:
	s_branch .LBB205_33
.LBB205_32:
	s_cmp_lg_u32 s4, 1
	s_mov_b32 s2, -1
	s_cselect_b32 s3, -1, 0
.LBB205_33:
	s_wait_alu 0xfffe
	s_and_not1_b32 vcc_lo, exec_lo, s3
	s_wait_alu 0xfffe
	s_cbranch_vccz .LBB205_35
; %bb.34:
	s_and_not1_b32 vcc_lo, exec_lo, s2
	s_wait_alu 0xfffe
	s_cbranch_vccz .LBB205_36
	s_branch .LBB205_41
.LBB205_35:
	v_mul_f32_e32 v2, v1, v0
	s_cbranch_execnz .LBB205_41
.LBB205_36:
	v_mul_f32_e32 v2, 0x3d372713, v1
	v_mul_f32_e32 v3, 0x3f4c422a, v1
	s_delay_alu instid0(VALU_DEP_2) | instskip(NEXT) | instid1(VALU_DEP_1)
	v_fma_f32 v2, v1, v2, 1.0
	v_mul_f32_e32 v2, v3, v2
                                        ; implicit-def: $vgpr3
	s_delay_alu instid0(VALU_DEP_1)
	v_cmp_ngt_f32_e64 s2, 0x3f200000, |v2|
	s_and_saveexec_b32 s3, s2
	s_wait_alu 0xfffe
	s_xor_b32 s2, exec_lo, s3
	s_cbranch_execz .LBB205_38
; %bb.37:
	v_add_f32_e64 v3, |v2|, |v2|
	s_delay_alu instid0(VALU_DEP_1) | instskip(SKIP_1) | instid1(VALU_DEP_2)
	v_mul_f32_e32 v4, 0x3fb8aa3b, v3
	v_cmp_ngt_f32_e32 vcc_lo, 0xc2ce8ed0, v3
	v_rndne_f32_e32 v5, v4
	v_fma_f32 v6, 0x3fb8aa3b, v3, -v4
	s_delay_alu instid0(VALU_DEP_2) | instskip(NEXT) | instid1(VALU_DEP_2)
	v_sub_f32_e32 v4, v4, v5
	v_fmamk_f32 v6, v3, 0x32a5705f, v6
	v_cvt_i32_f32_e32 v5, v5
	s_delay_alu instid0(VALU_DEP_2) | instskip(NEXT) | instid1(VALU_DEP_1)
	v_add_f32_e32 v4, v4, v6
	v_exp_f32_e32 v4, v4
	s_delay_alu instid0(TRANS32_DEP_1) | instskip(SKIP_1) | instid1(VALU_DEP_1)
	v_ldexp_f32 v4, v4, v5
	s_wait_alu 0xfffd
	v_cndmask_b32_e32 v4, 0, v4, vcc_lo
	v_cmp_nlt_f32_e32 vcc_lo, 0x42b17218, v3
	s_wait_alu 0xfffd
	s_delay_alu instid0(VALU_DEP_2) | instskip(NEXT) | instid1(VALU_DEP_1)
	v_cndmask_b32_e32 v3, 0x7f800000, v4, vcc_lo
	v_add_f32_e32 v3, 1.0, v3
	s_delay_alu instid0(VALU_DEP_1) | instskip(NEXT) | instid1(TRANS32_DEP_1)
	v_rcp_f32_e32 v3, v3
	v_fma_f32 v3, v3, -2.0, 1.0
.LBB205_38:
	s_wait_alu 0xfffe
	s_and_not1_saveexec_b32 s2, s2
	s_cbranch_execz .LBB205_40
; %bb.39:
	v_mul_f32_e32 v3, v2, v2
	s_mov_b32 s3, 0xbbbac73d
	s_wait_alu 0xfffe
	s_delay_alu instid0(VALU_DEP_1) | instskip(NEXT) | instid1(VALU_DEP_1)
	v_fmaak_f32 v4, s3, v3, 0x3ca908c9
	v_fmaak_f32 v4, v3, v4, 0xbd5c1c4e
	s_delay_alu instid0(VALU_DEP_1) | instskip(NEXT) | instid1(VALU_DEP_1)
	v_fmaak_f32 v4, v3, v4, 0x3e088382
	v_fmaak_f32 v4, v3, v4, 0xbeaaaa99
	s_delay_alu instid0(VALU_DEP_1) | instskip(NEXT) | instid1(VALU_DEP_1)
	v_mul_f32_e64 v4, |v2|, v4
	v_fma_f32 v3, v3, v4, |v2|
.LBB205_40:
	s_wait_alu 0xfffe
	s_or_b32 exec_lo, exec_lo, s2
	s_delay_alu instid0(VALU_DEP_1) | instskip(NEXT) | instid1(VALU_DEP_1)
	v_bfi_b32 v2, 0x7fffffff, v3, v2
	v_dual_mul_f32 v1, 0.5, v1 :: v_dual_add_f32 v2, 1.0, v2
	s_delay_alu instid0(VALU_DEP_1) | instskip(NEXT) | instid1(VALU_DEP_1)
	v_mul_f32_e32 v1, v1, v2
	v_mul_f32_e32 v2, v0, v1
.LBB205_41:
	s_delay_alu instid0(VALU_DEP_1)
	v_mov_b32_e32 v0, v2
.LBB205_42:
	s_load_b64 s[0:1], s[0:1], 0x38
	s_mul_i32 s2, s6, s27
	s_wait_kmcnt 0x0
	s_mul_i32 s3, s26, s21
	s_wait_alu 0xfffe
	s_add_co_i32 s2, s2, ttmp9
	v_lshlrev_b32_e32 v1, 2, v10
	s_wait_alu 0xfffe
	s_add_co_i32 s2, s2, s3
	s_mov_b32 s3, 0
	s_wait_alu 0xfffe
	s_lshl_b64 s[2:3], s[2:3], 2
	s_wait_alu 0xfffe
	s_add_nc_u64 s[0:1], s[0:1], s[2:3]
	global_store_b32 v1, v0, s[0:1]
.LBB205_43:
	s_endpgm
	.section	.rodata,"a",@progbits
	.p2align	6, 0x0
	.amdhsa_kernel _ZL13mul_mat_vec_qIL9ggml_type19ELi1ELb1ELb1EEvPKvS2_PKi31ggml_cuda_mm_fusion_args_devicePfj15HIP_vector_typeIjLj3EEjjjS8_jjjS8_jjjj
		.amdhsa_group_segment_fixed_size 0
		.amdhsa_private_segment_fixed_size 0
		.amdhsa_kernarg_size 144
		.amdhsa_user_sgpr_count 2
		.amdhsa_user_sgpr_dispatch_ptr 0
		.amdhsa_user_sgpr_queue_ptr 0
		.amdhsa_user_sgpr_kernarg_segment_ptr 1
		.amdhsa_user_sgpr_dispatch_id 0
		.amdhsa_user_sgpr_private_segment_size 0
		.amdhsa_wavefront_size32 1
		.amdhsa_uses_dynamic_stack 0
		.amdhsa_enable_private_segment 0
		.amdhsa_system_sgpr_workgroup_id_x 1
		.amdhsa_system_sgpr_workgroup_id_y 1
		.amdhsa_system_sgpr_workgroup_id_z 1
		.amdhsa_system_sgpr_workgroup_info 0
		.amdhsa_system_vgpr_workitem_id 1
		.amdhsa_next_free_vgpr 36
		.amdhsa_next_free_sgpr 38
		.amdhsa_reserve_vcc 1
		.amdhsa_float_round_mode_32 0
		.amdhsa_float_round_mode_16_64 0
		.amdhsa_float_denorm_mode_32 3
		.amdhsa_float_denorm_mode_16_64 3
		.amdhsa_fp16_overflow 0
		.amdhsa_workgroup_processor_mode 1
		.amdhsa_memory_ordered 1
		.amdhsa_forward_progress 1
		.amdhsa_inst_pref_size 27
		.amdhsa_round_robin_scheduling 0
		.amdhsa_exception_fp_ieee_invalid_op 0
		.amdhsa_exception_fp_denorm_src 0
		.amdhsa_exception_fp_ieee_div_zero 0
		.amdhsa_exception_fp_ieee_overflow 0
		.amdhsa_exception_fp_ieee_underflow 0
		.amdhsa_exception_fp_ieee_inexact 0
		.amdhsa_exception_int_div_zero 0
	.end_amdhsa_kernel
	.section	.text._ZL13mul_mat_vec_qIL9ggml_type19ELi1ELb1ELb1EEvPKvS2_PKi31ggml_cuda_mm_fusion_args_devicePfj15HIP_vector_typeIjLj3EEjjjS8_jjjS8_jjjj,"axG",@progbits,_ZL13mul_mat_vec_qIL9ggml_type19ELi1ELb1ELb1EEvPKvS2_PKi31ggml_cuda_mm_fusion_args_devicePfj15HIP_vector_typeIjLj3EEjjjS8_jjjS8_jjjj,comdat
.Lfunc_end205:
	.size	_ZL13mul_mat_vec_qIL9ggml_type19ELi1ELb1ELb1EEvPKvS2_PKi31ggml_cuda_mm_fusion_args_devicePfj15HIP_vector_typeIjLj3EEjjjS8_jjjS8_jjjj, .Lfunc_end205-_ZL13mul_mat_vec_qIL9ggml_type19ELi1ELb1ELb1EEvPKvS2_PKi31ggml_cuda_mm_fusion_args_devicePfj15HIP_vector_typeIjLj3EEjjjS8_jjjS8_jjjj
                                        ; -- End function
	.set _ZL13mul_mat_vec_qIL9ggml_type19ELi1ELb1ELb1EEvPKvS2_PKi31ggml_cuda_mm_fusion_args_devicePfj15HIP_vector_typeIjLj3EEjjjS8_jjjS8_jjjj.num_vgpr, 36
	.set _ZL13mul_mat_vec_qIL9ggml_type19ELi1ELb1ELb1EEvPKvS2_PKi31ggml_cuda_mm_fusion_args_devicePfj15HIP_vector_typeIjLj3EEjjjS8_jjjS8_jjjj.num_agpr, 0
	.set _ZL13mul_mat_vec_qIL9ggml_type19ELi1ELb1ELb1EEvPKvS2_PKi31ggml_cuda_mm_fusion_args_devicePfj15HIP_vector_typeIjLj3EEjjjS8_jjjS8_jjjj.numbered_sgpr, 38
	.set _ZL13mul_mat_vec_qIL9ggml_type19ELi1ELb1ELb1EEvPKvS2_PKi31ggml_cuda_mm_fusion_args_devicePfj15HIP_vector_typeIjLj3EEjjjS8_jjjS8_jjjj.num_named_barrier, 0
	.set _ZL13mul_mat_vec_qIL9ggml_type19ELi1ELb1ELb1EEvPKvS2_PKi31ggml_cuda_mm_fusion_args_devicePfj15HIP_vector_typeIjLj3EEjjjS8_jjjS8_jjjj.private_seg_size, 0
	.set _ZL13mul_mat_vec_qIL9ggml_type19ELi1ELb1ELb1EEvPKvS2_PKi31ggml_cuda_mm_fusion_args_devicePfj15HIP_vector_typeIjLj3EEjjjS8_jjjS8_jjjj.uses_vcc, 1
	.set _ZL13mul_mat_vec_qIL9ggml_type19ELi1ELb1ELb1EEvPKvS2_PKi31ggml_cuda_mm_fusion_args_devicePfj15HIP_vector_typeIjLj3EEjjjS8_jjjS8_jjjj.uses_flat_scratch, 0
	.set _ZL13mul_mat_vec_qIL9ggml_type19ELi1ELb1ELb1EEvPKvS2_PKi31ggml_cuda_mm_fusion_args_devicePfj15HIP_vector_typeIjLj3EEjjjS8_jjjS8_jjjj.has_dyn_sized_stack, 0
	.set _ZL13mul_mat_vec_qIL9ggml_type19ELi1ELb1ELb1EEvPKvS2_PKi31ggml_cuda_mm_fusion_args_devicePfj15HIP_vector_typeIjLj3EEjjjS8_jjjS8_jjjj.has_recursion, 0
	.set _ZL13mul_mat_vec_qIL9ggml_type19ELi1ELb1ELb1EEvPKvS2_PKi31ggml_cuda_mm_fusion_args_devicePfj15HIP_vector_typeIjLj3EEjjjS8_jjjS8_jjjj.has_indirect_call, 0
	.section	.AMDGPU.csdata,"",@progbits
; Kernel info:
; codeLenInByte = 3344
; TotalNumSgprs: 40
; NumVgprs: 36
; ScratchSize: 0
; MemoryBound: 0
; FloatMode: 240
; IeeeMode: 1
; LDSByteSize: 0 bytes/workgroup (compile time only)
; SGPRBlocks: 0
; VGPRBlocks: 4
; NumSGPRsForWavesPerEU: 40
; NumVGPRsForWavesPerEU: 36
; Occupancy: 16
; WaveLimiterHint : 0
; COMPUTE_PGM_RSRC2:SCRATCH_EN: 0
; COMPUTE_PGM_RSRC2:USER_SGPR: 2
; COMPUTE_PGM_RSRC2:TRAP_HANDLER: 0
; COMPUTE_PGM_RSRC2:TGID_X_EN: 1
; COMPUTE_PGM_RSRC2:TGID_Y_EN: 1
; COMPUTE_PGM_RSRC2:TGID_Z_EN: 1
; COMPUTE_PGM_RSRC2:TIDIG_COMP_CNT: 1
	.section	.text._ZL13mul_mat_vec_qIL9ggml_type19ELi1ELb0ELb1EEvPKvS2_PKi31ggml_cuda_mm_fusion_args_devicePfj15HIP_vector_typeIjLj3EEjjjS8_jjjS8_jjjj,"axG",@progbits,_ZL13mul_mat_vec_qIL9ggml_type19ELi1ELb0ELb1EEvPKvS2_PKi31ggml_cuda_mm_fusion_args_devicePfj15HIP_vector_typeIjLj3EEjjjS8_jjjS8_jjjj,comdat
	.globl	_ZL13mul_mat_vec_qIL9ggml_type19ELi1ELb0ELb1EEvPKvS2_PKi31ggml_cuda_mm_fusion_args_devicePfj15HIP_vector_typeIjLj3EEjjjS8_jjjS8_jjjj ; -- Begin function _ZL13mul_mat_vec_qIL9ggml_type19ELi1ELb0ELb1EEvPKvS2_PKi31ggml_cuda_mm_fusion_args_devicePfj15HIP_vector_typeIjLj3EEjjjS8_jjjS8_jjjj
	.p2align	8
	.type	_ZL13mul_mat_vec_qIL9ggml_type19ELi1ELb0ELb1EEvPKvS2_PKi31ggml_cuda_mm_fusion_args_devicePfj15HIP_vector_typeIjLj3EEjjjS8_jjjS8_jjjj,@function
_ZL13mul_mat_vec_qIL9ggml_type19ELi1ELb0ELb1EEvPKvS2_PKi31ggml_cuda_mm_fusion_args_devicePfj15HIP_vector_typeIjLj3EEjjjS8_jjjS8_jjjj: ; @_ZL13mul_mat_vec_qIL9ggml_type19ELi1ELb0ELb1EEvPKvS2_PKi31ggml_cuda_mm_fusion_args_devicePfj15HIP_vector_typeIjLj3EEjjjS8_jjjS8_jjjj
; %bb.0:
	s_clause 0x1
	s_load_b64 s[2:3], s[0:1], 0x10
	s_load_b128 s[8:11], s[0:1], 0x40
	s_and_b32 s15, ttmp7, 0xffff
	s_wait_kmcnt 0x0
	s_cmp_lg_u64 s[2:3], 0
	s_cselect_b32 s12, -1, 0
	s_cmp_eq_u64 s[2:3], 0
	s_cbranch_scc1 .LBB206_13
; %bb.1:
	s_lshl_b32 s4, s15, 2
	s_load_b32 s19, s[2:3], s4 offset:0x0
	s_clause 0x1
	s_load_b128 s[4:7], s[0:1], 0x68
	s_load_b32 s20, s[0:1], 0x50
	s_cbranch_execnz .LBB206_3
.LBB206_2:
	s_load_b64 s[2:3], s[0:1], 0x5c
	s_wait_kmcnt 0x0
	s_mul_hi_u32 s2, s2, s15
	s_delay_alu instid0(SALU_CYCLE_1) | instskip(NEXT) | instid1(SALU_CYCLE_1)
	s_add_co_i32 s2, s15, s2
	s_lshr_b32 s19, s2, s3
.LBB206_3:
	s_load_b32 s21, s[0:1], 0x78
	s_and_not1_b32 vcc_lo, exec_lo, s12
	s_mov_b32 s2, s15
	s_cbranch_vccnz .LBB206_5
; %bb.4:
	s_mul_hi_u32 s2, s9, s15
	s_delay_alu instid0(SALU_CYCLE_1) | instskip(NEXT) | instid1(SALU_CYCLE_1)
	s_add_co_i32 s2, s15, s2
	s_lshr_b32 s2, s2, s10
	s_delay_alu instid0(SALU_CYCLE_1) | instskip(NEXT) | instid1(SALU_CYCLE_1)
	s_mul_i32 s2, s2, s11
	s_sub_co_i32 s2, s15, s2
.LBB206_5:
	s_load_b96 s[12:14], s[0:1], 0x80
	v_bfe_u32 v3, v0, 10, 10
	v_and_b32_e32 v2, 0x3ff, v0
	v_mov_b32_e32 v4, 0
	s_lshr_b32 s18, s8, 8
	s_lshr_b32 s16, ttmp7, 16
	s_mov_b32 s17, exec_lo
	v_lshl_or_b32 v0, v3, 5, v2
	s_delay_alu instid0(VALU_DEP_1) | instskip(NEXT) | instid1(VALU_DEP_1)
	v_lshrrev_b32_e32 v5, 3, v0
	v_cmpx_gt_u32_e64 s18, v5
	s_cbranch_execz .LBB206_9
; %bb.6:
	v_lshrrev_b32_e32 v0, 3, v0
	s_wait_kmcnt 0x0
	s_mul_i32 s2, s2, s5
	s_mov_b32 s3, 0
	v_dual_mov_b32 v4, 0 :: v_dual_and_b32 v7, 7, v2
	s_mul_u64 s[8:9], s[2:3], 36
	s_mul_i32 s2, s13, s16
	v_mad_co_u64_u32 v[0:1], null, 0x120, v0, s[8:9]
	s_load_b128 s[8:11], s[0:1], 0x0
	v_lshlrev_b32_e32 v6, 1, v7
	s_mul_i32 s20, s20, ttmp9
	s_mul_i32 s4, s19, s4
	s_mov_b32 s5, 0xb7000000
	v_mad_co_u64_u32 v[0:1], null, s2, 36, v[0:1]
	s_mul_hi_u32 s2, s7, s16
	v_lshlrev_b32_e32 v6, 1, v6
	s_wait_alu 0xfffe
	s_add_co_i32 s2, s16, s2
	s_wait_alu 0xfffe
	s_lshr_b32 s2, s2, s21
	v_mad_co_u64_u32 v[0:1], null, v7, 36, v[0:1]
	s_wait_alu 0xfffe
	s_mul_i32 s2, s2, s12
	v_lshlrev_b32_e32 v7, 1, v7
	s_wait_alu 0xfffe
	s_add_co_i32 s2, s2, s20
	s_wait_alu 0xfffe
	s_add_co_i32 s4, s4, s2
	s_wait_kmcnt 0x0
	v_add_co_u32 v0, vcc_lo, s10, v0
	s_delay_alu instid0(VALU_DEP_1) | instskip(NEXT) | instid1(VALU_DEP_2)
	v_add_co_ci_u32_e64 v1, null, s11, v1, vcc_lo
	v_add_co_u32 v0, vcc_lo, v0, 32
	s_wait_alu 0xfffd
	s_delay_alu instid0(VALU_DEP_2)
	v_add_co_ci_u32_e64 v1, null, 0, v1, vcc_lo
.LBB206_7:                              ; =>This Inner Loop Header: Depth=1
	v_add_nc_u32_e32 v8, s4, v5
	s_getpc_b64 s[10:11]
	s_wait_alu 0xfffe
	s_sext_i32_i16 s11, s11
	s_add_co_u32 s10, s10, _ZL13iq1s_grid_gpu@rel32@lo+12
	s_wait_alu 0xfffe
	s_add_co_ci_u32 s11, s11, _ZL13iq1s_grid_gpu@rel32@hi+24
	v_add_nc_u32_e32 v5, 4, v5
	v_mad_co_i64_i32 v[12:13], null, v8, 50, s[8:9]
	s_delay_alu instid0(VALU_DEP_2)
	v_cmp_le_u32_e64 s2, s18, v5
	s_or_b32 s3, s2, s3
	v_add_co_u32 v8, vcc_lo, v12, v6
	s_wait_alu 0xfffd
	v_add_co_ci_u32_e64 v9, null, 0, v13, vcc_lo
	v_add_co_u32 v10, vcc_lo, v12, v7
	s_wait_alu 0xfffd
	v_add_co_ci_u32_e64 v11, null, 0, v13, vcc_lo
	s_clause 0x1
	global_load_b32 v16, v[8:9], off offset:2
	global_load_u16 v17, v[10:11], off offset:34
	global_load_b128 v[8:11], v[0:1], off offset:-32
	global_load_u16 v18, v[12:13], off
	global_load_b128 v[12:15], v[0:1], off offset:-16
	s_wait_loadcnt 0x4
	v_and_b32_e32 v19, 0xff, v16
	s_wait_loadcnt 0x3
	v_lshlrev_b32_e32 v20, 8, v17
	v_lshlrev_b32_e32 v22, 5, v17
	v_lshrrev_b32_e32 v21, 24, v16
	s_delay_alu instid0(VALU_DEP_3) | instskip(SKIP_2) | instid1(VALU_DEP_3)
	v_and_or_b32 v19, 0x700, v20, v19
	v_bfe_u32 v20, v16, 8, 8
	v_bfe_u32 v16, v16, 16, 8
	v_lshlrev_b32_e32 v19, 2, v19
	s_delay_alu instid0(VALU_DEP_3)
	v_and_or_b32 v20, 0x700, v22, v20
	v_lshlrev_b32_e32 v22, 2, v17
	global_load_b32 v19, v19, s[10:11]
	v_lshlrev_b32_e32 v20, 2, v20
	v_and_or_b32 v16, 0x700, v22, v16
	v_lshrrev_b32_e32 v22, 1, v17
	global_load_b32 v20, v20, s[10:11]
	v_lshlrev_b32_e32 v16, 2, v16
	v_and_or_b32 v21, 0x700, v22, v21
	global_load_b32 v16, v16, s[10:11]
	v_lshlrev_b32_e32 v21, 2, v21
	global_load_b32 v21, v21, s[10:11]
	global_load_b32 v22, v[0:1], off
	v_add_co_u32 v0, vcc_lo, 0x480, v0
	s_wait_alu 0xfffd
	v_add_co_ci_u32_e64 v1, null, 0, v1, vcc_lo
	s_wait_loadcnt 0x4
	v_lshrrev_b32_e32 v23, 4, v19
	v_and_b32_e32 v19, 0xf0f0f0f, v19
	s_delay_alu instid0(VALU_DEP_2) | instskip(NEXT) | instid1(VALU_DEP_2)
	v_and_b32_e32 v23, 0xf0f0f0f, v23
	v_dot4_i32_iu8 v9, v19, v9, 0 neg_lo:[1,1,0]
	s_wait_loadcnt 0x3
	v_and_b32_e32 v19, 0xf0f0f0f, v20
	v_lshrrev_b32_e32 v20, 4, v20
	s_delay_alu instid0(VALU_DEP_3) | instskip(NEXT) | instid1(VALU_DEP_2)
	v_dot4_i32_iu8 v9, v23, v10, v9 neg_lo:[1,1,0]
	v_and_b32_e32 v10, 0xf0f0f0f, v20
	s_delay_alu instid0(VALU_DEP_2) | instskip(SKIP_3) | instid1(VALU_DEP_3)
	v_dot4_i32_iu8 v9, v19, v11, v9 neg_lo:[1,1,0]
	s_wait_loadcnt 0x2
	v_and_b32_e32 v11, 0xf0f0f0f, v16
	v_lshrrev_b32_e32 v16, 4, v16
	v_dot4_i32_iu8 v9, v10, v12, v9 neg_lo:[1,1,0]
	v_lshrrev_b32_e32 v10, 16, v8
	s_delay_alu instid0(VALU_DEP_3)
	v_and_b32_e32 v12, 0xf0f0f0f, v16
	s_wait_loadcnt 0x1
	v_lshrrev_b32_e32 v16, 4, v21
	v_dot4_i32_iu8 v9, v11, v13, v9 neg_lo:[1,1,0]
	v_and_b32_e32 v11, 0x8000, v17
	v_and_b32_e32 v13, 0xf0f0f0f, v21
	v_cvt_f32_f16_e32 v10, v10
	s_delay_alu instid0(VALU_DEP_4) | instskip(SKIP_3) | instid1(VALU_DEP_4)
	v_dot4_i32_iu8 v9, v12, v14, v9 neg_lo:[1,1,0]
	v_lshrrev_b32_e32 v12, 11, v17
	v_cvt_f32_u32_e32 v11, v11
	v_and_b32_e32 v14, 0xf0f0f0f, v16
	v_dot4_i32_iu8 v9, v13, v15, v9 neg_lo:[1,1,0]
	s_delay_alu instid0(VALU_DEP_4) | instskip(NEXT) | instid1(VALU_DEP_4)
	v_and_or_b32 v12, v12, 14, 1
	v_fmaak_f32 v11, s5, v11, 0xbf600000
	v_cvt_f32_f16_e32 v13, v18
	s_wait_loadcnt 0x0
	v_dot4_i32_iu8 v9, v14, v22, v9 neg_lo:[1,1,0]
	v_cvt_f32_ubyte0_e32 v12, v12
	v_mul_f32_e32 v10, v11, v10
	s_delay_alu instid0(VALU_DEP_3) | instskip(NEXT) | instid1(VALU_DEP_3)
	v_cvt_f32_i32_e32 v9, v9
	v_mul_f32_e32 v11, v12, v13
	s_delay_alu instid0(VALU_DEP_2) | instskip(NEXT) | instid1(VALU_DEP_1)
	v_fma_mix_f32 v8, v9, v8, v10 op_sel_hi:[0,1,0]
	v_fmac_f32_e32 v4, v11, v8
	s_wait_alu 0xfffe
	s_and_not1_b32 exec_lo, exec_lo, s3
	s_cbranch_execnz .LBB206_7
; %bb.8:
	s_or_b32 exec_lo, exec_lo, s3
.LBB206_9:
	s_delay_alu instid0(SALU_CYCLE_1)
	s_or_b32 exec_lo, exec_lo, s17
	; wave barrier
	global_inv scope:SCOPE_SE
	s_mov_b32 s2, exec_lo
	v_cmpx_eq_u32_e32 0, v3
	s_cbranch_execz .LBB206_12
; %bb.10:
	v_mbcnt_lo_u32_b32 v0, -1, 0
	s_delay_alu instid0(VALU_DEP_1) | instskip(SKIP_1) | instid1(VALU_DEP_2)
	v_xor_b32_e32 v1, 16, v0
	v_xor_b32_e32 v3, 8, v0
	v_cmp_gt_i32_e32 vcc_lo, 32, v1
	s_wait_alu 0xfffd
	v_cndmask_b32_e32 v1, v0, v1, vcc_lo
	s_delay_alu instid0(VALU_DEP_3) | instskip(NEXT) | instid1(VALU_DEP_2)
	v_cmp_gt_i32_e32 vcc_lo, 32, v3
	v_lshlrev_b32_e32 v1, 2, v1
	s_wait_alu 0xfffd
	v_cndmask_b32_e32 v3, v0, v3, vcc_lo
	ds_bpermute_b32 v1, v1, v4
	v_lshlrev_b32_e32 v3, 2, v3
	s_wait_dscnt 0x0
	v_add_f32_e32 v1, v4, v1
	v_xor_b32_e32 v4, 4, v0
	ds_bpermute_b32 v3, v3, v1
	v_cmp_gt_i32_e32 vcc_lo, 32, v4
	s_wait_alu 0xfffd
	v_cndmask_b32_e32 v4, v0, v4, vcc_lo
	s_wait_dscnt 0x0
	s_delay_alu instid0(VALU_DEP_1) | instskip(SKIP_2) | instid1(VALU_DEP_1)
	v_dual_add_f32 v1, v1, v3 :: v_dual_lshlrev_b32 v4, 2, v4
	ds_bpermute_b32 v3, v4, v1
	v_xor_b32_e32 v4, 2, v0
	v_cmp_gt_i32_e32 vcc_lo, 32, v4
	s_wait_alu 0xfffd
	v_cndmask_b32_e32 v4, v0, v4, vcc_lo
	s_wait_dscnt 0x0
	s_delay_alu instid0(VALU_DEP_1) | instskip(SKIP_2) | instid1(VALU_DEP_1)
	v_dual_add_f32 v1, v1, v3 :: v_dual_lshlrev_b32 v4, 2, v4
	ds_bpermute_b32 v3, v4, v1
	v_xor_b32_e32 v4, 1, v0
	v_cmp_gt_i32_e32 vcc_lo, 32, v4
	s_wait_alu 0xfffd
	v_cndmask_b32_e32 v0, v0, v4, vcc_lo
	v_cmp_eq_u32_e32 vcc_lo, 0, v2
	s_delay_alu instid0(VALU_DEP_2)
	v_lshlrev_b32_e32 v4, 2, v0
	s_wait_dscnt 0x0
	v_add_f32_e32 v0, v1, v3
	ds_bpermute_b32 v1, v4, v0
	s_and_b32 exec_lo, exec_lo, vcc_lo
	s_cbranch_execz .LBB206_12
; %bb.11:
	s_load_b64 s[0:1], s[0:1], 0x38
	s_wait_kmcnt 0x0
	s_mul_i32 s2, s6, s15
	s_mul_i32 s3, s14, s16
	s_wait_alu 0xfffe
	s_add_co_i32 s2, s2, ttmp9
	s_wait_dscnt 0x0
	v_dual_add_f32 v0, v0, v1 :: v_dual_mov_b32 v1, 0
	s_wait_alu 0xfffe
	s_add_co_i32 s2, s2, s3
	s_mov_b32 s3, 0
	s_wait_alu 0xfffe
	s_lshl_b64 s[2:3], s[2:3], 2
	s_wait_alu 0xfffe
	s_add_nc_u64 s[0:1], s[0:1], s[2:3]
	global_store_b32 v1, v0, s[0:1]
.LBB206_12:
	s_endpgm
.LBB206_13:
                                        ; implicit-def: $sgpr19
	s_clause 0x1
	s_load_b128 s[4:7], s[0:1], 0x68
	s_load_b32 s20, s[0:1], 0x50
	s_branch .LBB206_2
	.section	.rodata,"a",@progbits
	.p2align	6, 0x0
	.amdhsa_kernel _ZL13mul_mat_vec_qIL9ggml_type19ELi1ELb0ELb1EEvPKvS2_PKi31ggml_cuda_mm_fusion_args_devicePfj15HIP_vector_typeIjLj3EEjjjS8_jjjS8_jjjj
		.amdhsa_group_segment_fixed_size 0
		.amdhsa_private_segment_fixed_size 0
		.amdhsa_kernarg_size 144
		.amdhsa_user_sgpr_count 2
		.amdhsa_user_sgpr_dispatch_ptr 0
		.amdhsa_user_sgpr_queue_ptr 0
		.amdhsa_user_sgpr_kernarg_segment_ptr 1
		.amdhsa_user_sgpr_dispatch_id 0
		.amdhsa_user_sgpr_private_segment_size 0
		.amdhsa_wavefront_size32 1
		.amdhsa_uses_dynamic_stack 0
		.amdhsa_enable_private_segment 0
		.amdhsa_system_sgpr_workgroup_id_x 1
		.amdhsa_system_sgpr_workgroup_id_y 1
		.amdhsa_system_sgpr_workgroup_id_z 1
		.amdhsa_system_sgpr_workgroup_info 0
		.amdhsa_system_vgpr_workitem_id 1
		.amdhsa_next_free_vgpr 24
		.amdhsa_next_free_sgpr 22
		.amdhsa_reserve_vcc 1
		.amdhsa_float_round_mode_32 0
		.amdhsa_float_round_mode_16_64 0
		.amdhsa_float_denorm_mode_32 3
		.amdhsa_float_denorm_mode_16_64 3
		.amdhsa_fp16_overflow 0
		.amdhsa_workgroup_processor_mode 1
		.amdhsa_memory_ordered 1
		.amdhsa_forward_progress 1
		.amdhsa_inst_pref_size 12
		.amdhsa_round_robin_scheduling 0
		.amdhsa_exception_fp_ieee_invalid_op 0
		.amdhsa_exception_fp_denorm_src 0
		.amdhsa_exception_fp_ieee_div_zero 0
		.amdhsa_exception_fp_ieee_overflow 0
		.amdhsa_exception_fp_ieee_underflow 0
		.amdhsa_exception_fp_ieee_inexact 0
		.amdhsa_exception_int_div_zero 0
	.end_amdhsa_kernel
	.section	.text._ZL13mul_mat_vec_qIL9ggml_type19ELi1ELb0ELb1EEvPKvS2_PKi31ggml_cuda_mm_fusion_args_devicePfj15HIP_vector_typeIjLj3EEjjjS8_jjjS8_jjjj,"axG",@progbits,_ZL13mul_mat_vec_qIL9ggml_type19ELi1ELb0ELb1EEvPKvS2_PKi31ggml_cuda_mm_fusion_args_devicePfj15HIP_vector_typeIjLj3EEjjjS8_jjjS8_jjjj,comdat
.Lfunc_end206:
	.size	_ZL13mul_mat_vec_qIL9ggml_type19ELi1ELb0ELb1EEvPKvS2_PKi31ggml_cuda_mm_fusion_args_devicePfj15HIP_vector_typeIjLj3EEjjjS8_jjjS8_jjjj, .Lfunc_end206-_ZL13mul_mat_vec_qIL9ggml_type19ELi1ELb0ELb1EEvPKvS2_PKi31ggml_cuda_mm_fusion_args_devicePfj15HIP_vector_typeIjLj3EEjjjS8_jjjS8_jjjj
                                        ; -- End function
	.set _ZL13mul_mat_vec_qIL9ggml_type19ELi1ELb0ELb1EEvPKvS2_PKi31ggml_cuda_mm_fusion_args_devicePfj15HIP_vector_typeIjLj3EEjjjS8_jjjS8_jjjj.num_vgpr, 24
	.set _ZL13mul_mat_vec_qIL9ggml_type19ELi1ELb0ELb1EEvPKvS2_PKi31ggml_cuda_mm_fusion_args_devicePfj15HIP_vector_typeIjLj3EEjjjS8_jjjS8_jjjj.num_agpr, 0
	.set _ZL13mul_mat_vec_qIL9ggml_type19ELi1ELb0ELb1EEvPKvS2_PKi31ggml_cuda_mm_fusion_args_devicePfj15HIP_vector_typeIjLj3EEjjjS8_jjjS8_jjjj.numbered_sgpr, 22
	.set _ZL13mul_mat_vec_qIL9ggml_type19ELi1ELb0ELb1EEvPKvS2_PKi31ggml_cuda_mm_fusion_args_devicePfj15HIP_vector_typeIjLj3EEjjjS8_jjjS8_jjjj.num_named_barrier, 0
	.set _ZL13mul_mat_vec_qIL9ggml_type19ELi1ELb0ELb1EEvPKvS2_PKi31ggml_cuda_mm_fusion_args_devicePfj15HIP_vector_typeIjLj3EEjjjS8_jjjS8_jjjj.private_seg_size, 0
	.set _ZL13mul_mat_vec_qIL9ggml_type19ELi1ELb0ELb1EEvPKvS2_PKi31ggml_cuda_mm_fusion_args_devicePfj15HIP_vector_typeIjLj3EEjjjS8_jjjS8_jjjj.uses_vcc, 1
	.set _ZL13mul_mat_vec_qIL9ggml_type19ELi1ELb0ELb1EEvPKvS2_PKi31ggml_cuda_mm_fusion_args_devicePfj15HIP_vector_typeIjLj3EEjjjS8_jjjS8_jjjj.uses_flat_scratch, 0
	.set _ZL13mul_mat_vec_qIL9ggml_type19ELi1ELb0ELb1EEvPKvS2_PKi31ggml_cuda_mm_fusion_args_devicePfj15HIP_vector_typeIjLj3EEjjjS8_jjjS8_jjjj.has_dyn_sized_stack, 0
	.set _ZL13mul_mat_vec_qIL9ggml_type19ELi1ELb0ELb1EEvPKvS2_PKi31ggml_cuda_mm_fusion_args_devicePfj15HIP_vector_typeIjLj3EEjjjS8_jjjS8_jjjj.has_recursion, 0
	.set _ZL13mul_mat_vec_qIL9ggml_type19ELi1ELb0ELb1EEvPKvS2_PKi31ggml_cuda_mm_fusion_args_devicePfj15HIP_vector_typeIjLj3EEjjjS8_jjjS8_jjjj.has_indirect_call, 0
	.section	.AMDGPU.csdata,"",@progbits
; Kernel info:
; codeLenInByte = 1428
; TotalNumSgprs: 24
; NumVgprs: 24
; ScratchSize: 0
; MemoryBound: 0
; FloatMode: 240
; IeeeMode: 1
; LDSByteSize: 0 bytes/workgroup (compile time only)
; SGPRBlocks: 0
; VGPRBlocks: 2
; NumSGPRsForWavesPerEU: 24
; NumVGPRsForWavesPerEU: 24
; Occupancy: 16
; WaveLimiterHint : 0
; COMPUTE_PGM_RSRC2:SCRATCH_EN: 0
; COMPUTE_PGM_RSRC2:USER_SGPR: 2
; COMPUTE_PGM_RSRC2:TRAP_HANDLER: 0
; COMPUTE_PGM_RSRC2:TGID_X_EN: 1
; COMPUTE_PGM_RSRC2:TGID_Y_EN: 1
; COMPUTE_PGM_RSRC2:TGID_Z_EN: 1
; COMPUTE_PGM_RSRC2:TIDIG_COMP_CNT: 1
	.section	.text._ZL13mul_mat_vec_qIL9ggml_type19ELi1ELb1ELb0EEvPKvS2_PKi31ggml_cuda_mm_fusion_args_devicePfj15HIP_vector_typeIjLj3EEjjjS8_jjjS8_jjjj,"axG",@progbits,_ZL13mul_mat_vec_qIL9ggml_type19ELi1ELb1ELb0EEvPKvS2_PKi31ggml_cuda_mm_fusion_args_devicePfj15HIP_vector_typeIjLj3EEjjjS8_jjjS8_jjjj,comdat
	.globl	_ZL13mul_mat_vec_qIL9ggml_type19ELi1ELb1ELb0EEvPKvS2_PKi31ggml_cuda_mm_fusion_args_devicePfj15HIP_vector_typeIjLj3EEjjjS8_jjjS8_jjjj ; -- Begin function _ZL13mul_mat_vec_qIL9ggml_type19ELi1ELb1ELb0EEvPKvS2_PKi31ggml_cuda_mm_fusion_args_devicePfj15HIP_vector_typeIjLj3EEjjjS8_jjjS8_jjjj
	.p2align	8
	.type	_ZL13mul_mat_vec_qIL9ggml_type19ELi1ELb1ELb0EEvPKvS2_PKi31ggml_cuda_mm_fusion_args_devicePfj15HIP_vector_typeIjLj3EEjjjS8_jjjS8_jjjj,@function
_ZL13mul_mat_vec_qIL9ggml_type19ELi1ELb1ELb0EEvPKvS2_PKi31ggml_cuda_mm_fusion_args_devicePfj15HIP_vector_typeIjLj3EEjjjS8_jjjS8_jjjj: ; @_ZL13mul_mat_vec_qIL9ggml_type19ELi1ELb1ELb0EEvPKvS2_PKi31ggml_cuda_mm_fusion_args_devicePfj15HIP_vector_typeIjLj3EEjjjS8_jjjS8_jjjj
; %bb.0:
	s_clause 0x3
	s_load_b256 s[8:15], s[0:1], 0x0
	s_load_b128 s[16:19], s[0:1], 0x20
	s_load_b128 s[20:23], s[0:1], 0x40
	;; [unrolled: 1-line block ×3, first 2 shown]
	s_and_b32 s27, ttmp7, 0xffff
	s_wait_kmcnt 0x0
	s_cmp_lg_u64 s[12:13], 0
	s_cselect_b32 s2, -1, 0
	s_cmp_eq_u64 s[12:13], 0
	s_cbranch_scc1 .LBB207_24
; %bb.1:
	s_lshl_b32 s3, s27, 2
	s_load_b32 s28, s[12:13], s3 offset:0x0
	s_clause 0x1
	s_load_b32 s30, s[0:1], 0x50
	s_load_b32 s29, s[0:1], 0x78
	s_cbranch_execnz .LBB207_3
.LBB207_2:
	s_load_b64 s[12:13], s[0:1], 0x5c
	s_wait_kmcnt 0x0
	s_mul_hi_u32 s3, s12, s27
	s_delay_alu instid0(SALU_CYCLE_1) | instskip(NEXT) | instid1(SALU_CYCLE_1)
	s_add_co_i32 s3, s27, s3
	s_lshr_b32 s28, s3, s13
.LBB207_3:
	s_and_not1_b32 vcc_lo, exec_lo, s2
	s_mov_b32 s3, s27
	s_mov_b32 s31, s27
	s_cbranch_vccnz .LBB207_5
; %bb.4:
	s_mul_hi_u32 s2, s21, s27
	s_wait_kmcnt 0x0
	s_mov_b32 s3, s28
	s_add_co_i32 s2, s27, s2
	s_delay_alu instid0(SALU_CYCLE_1) | instskip(NEXT) | instid1(SALU_CYCLE_1)
	s_lshr_b32 s2, s2, s22
	s_mul_i32 s2, s2, s23
	s_delay_alu instid0(SALU_CYCLE_1)
	s_sub_co_i32 s31, s27, s2
.LBB207_5:
	s_load_b96 s[24:26], s[0:1], 0x80
	v_bfe_u32 v13, v0, 10, 10
	v_dual_mov_b32 v11, 0 :: v_dual_and_b32 v10, 0x3ff, v0
	s_lshr_b32 s21, ttmp7, 16
	s_cmp_lg_u64 s[14:15], 0
	v_mov_b32_e32 v12, 0
	s_delay_alu instid0(VALU_DEP_2) | instskip(SKIP_3) | instid1(VALU_DEP_1)
	v_or_b32_e32 v0, v10, v13
	s_cselect_b32 s2, -1, 0
	s_mov_b32 s23, 0
	s_mul_i32 s12, s3, s6
	v_cmp_eq_u32_e32 vcc_lo, 0, v0
	s_and_b32 s13, s2, vcc_lo
	s_delay_alu instid0(SALU_CYCLE_1)
	s_and_saveexec_b32 s3, s13
	s_cbranch_execz .LBB207_7
; %bb.6:
	s_wait_kmcnt 0x0
	s_mul_i32 s22, s26, s21
	s_mov_b32 s13, s23
	s_lshl_b64 s[22:23], s[22:23], 2
	s_mov_b32 s34, ttmp9
	s_lshl_b64 s[36:37], s[12:13], 2
	s_add_nc_u64 s[14:15], s[14:15], s[22:23]
	s_ashr_i32 s35, ttmp9, 31
	v_lshlrev_b32_e32 v0, 2, v10
	s_add_nc_u64 s[14:15], s[14:15], s[36:37]
	s_lshl_b64 s[22:23], s[34:35], 2
	s_delay_alu instid0(SALU_CYCLE_1)
	s_add_nc_u64 s[14:15], s[14:15], s[22:23]
	global_load_b32 v12, v0, s[14:15]
.LBB207_7:
	s_or_b32 exec_lo, exec_lo, s3
	s_cmp_lg_u64 s[16:17], 0
	s_cselect_b32 s14, -1, 0
	s_cmp_lg_u64 s[18:19], 0
	s_cselect_b32 s3, -1, 0
	s_delay_alu instid0(SALU_CYCLE_1) | instskip(NEXT) | instid1(SALU_CYCLE_1)
	s_and_b32 s13, s3, s14
	s_and_b32 s13, s13, vcc_lo
	s_delay_alu instid0(SALU_CYCLE_1)
	s_and_saveexec_b32 s15, s13
	s_cbranch_execz .LBB207_9
; %bb.8:
	s_wait_kmcnt 0x0
	s_mul_i32 s34, s26, s21
	s_mov_b32 s35, 0
	s_mov_b32 s22, ttmp9
	s_lshl_b64 s[36:37], s[34:35], 2
	s_mov_b32 s13, s35
	s_add_nc_u64 s[18:19], s[18:19], s[36:37]
	s_lshl_b64 s[12:13], s[12:13], 2
	s_ashr_i32 s23, ttmp9, 31
	v_lshlrev_b32_e32 v0, 2, v10
	s_add_nc_u64 s[12:13], s[18:19], s[12:13]
	s_lshl_b64 s[18:19], s[22:23], 2
	s_delay_alu instid0(SALU_CYCLE_1)
	s_add_nc_u64 s[12:13], s[12:13], s[18:19]
	global_load_b32 v11, v0, s[12:13]
.LBB207_9:
	s_or_b32 exec_lo, exec_lo, s15
	v_lshl_add_u32 v0, v13, 5, v10
	v_dual_mov_b32 v16, 0 :: v_dual_mov_b32 v15, 0
	v_cndmask_b32_e64 v14, 0, 1, s14
	s_lshr_b32 s15, s20, 8
	s_delay_alu instid0(VALU_DEP_3) | instskip(SKIP_2) | instid1(VALU_DEP_1)
	v_lshrrev_b32_e32 v17, 3, v0
	s_mov_b32 s18, exec_lo
	s_wait_alu 0xfffe
	v_cmpx_gt_u32_e64 s15, v17
	s_cbranch_execz .LBB207_15
; %bb.10:
	v_lshrrev_b32_e32 v0, 3, v0
	s_mul_i32 s12, s31, s5
	s_mov_b32 s13, 0
	s_wait_kmcnt 0x0
	s_mul_i32 s5, s25, s21
	s_mul_u64 s[22:23], s[12:13], 36
	v_dual_mov_b32 v15, 0 :: v_dual_and_b32 v2, 7, v10
	v_mad_co_u64_u32 v[0:1], null, 0x120, v0, s[22:23]
	s_delay_alu instid0(VALU_DEP_2) | instskip(SKIP_2) | instid1(VALU_DEP_3)
	v_dual_mov_b32 v16, 0 :: v_dual_lshlrev_b32 v3, 1, v2
	s_mul_i32 s30, s30, ttmp9
	v_lshlrev_b32_e32 v18, 1, v2
	v_mad_co_u64_u32 v[0:1], null, s5, 36, v[0:1]
	s_mul_hi_u32 s5, s7, s21
	s_mul_i32 s7, s28, s4
	s_wait_alu 0xfffe
	s_add_co_i32 s4, s21, s5
	v_lshlrev_b32_e32 v19, 1, v3
	s_wait_alu 0xfffe
	s_lshr_b32 s4, s4, s29
	v_mad_co_u64_u32 v[0:1], null, v2, 36, v[0:1]
	s_wait_alu 0xfffe
	s_mul_i32 s4, s4, s24
	s_wait_alu 0xfffe
	s_add_co_i32 s4, s4, s30
	s_wait_alu 0xfffe
	s_add_co_i32 s7, s7, s4
	s_delay_alu instid0(VALU_DEP_1) | instskip(NEXT) | instid1(VALU_DEP_1)
	v_add_co_u32 v0, vcc_lo, s10, v0
	v_add_co_ci_u32_e64 v1, null, s11, v1, vcc_lo
	s_mov_b32 s10, 0xb7000000
	v_add_co_u32 v8, vcc_lo, v0, 32
	s_wait_alu 0xfffd
	v_add_co_ci_u32_e64 v9, null, 0, v1, vcc_lo
	s_branch .LBB207_12
.LBB207_11:                             ;   in Loop: Header=BB207_12 Depth=1
	s_wait_loadcnt 0x3
	v_lshrrev_b32_e32 v28, 4, v27
	v_and_b32_e32 v27, 0xf0f0f0f, v27
	v_add_co_u32 v8, s4, 0x480, v8
	s_wait_alu 0xf1ff
	v_add_co_ci_u32_e64 v9, null, 0, v9, s4
	v_and_b32_e32 v28, 0xf0f0f0f, v28
	v_dot4_i32_iu8 v5, v27, v5, 0 neg_lo:[1,1,0]
	s_wait_loadcnt 0x2
	v_and_b32_e32 v27, 0xf0f0f0f, v26
	v_lshrrev_b32_e32 v26, 4, v26
	v_add_nc_u32_e32 v17, 4, v17
	v_dot4_i32_iu8 v5, v28, v6, v5 neg_lo:[1,1,0]
	s_delay_alu instid0(VALU_DEP_3) | instskip(NEXT) | instid1(VALU_DEP_3)
	v_and_b32_e32 v6, 0xf0f0f0f, v26
	v_cmp_le_u32_e32 vcc_lo, s15, v17
	s_delay_alu instid0(VALU_DEP_3)
	v_dot4_i32_iu8 v5, v27, v7, v5 neg_lo:[1,1,0]
	s_wait_loadcnt 0x1
	v_and_b32_e32 v7, 0xf0f0f0f, v25
	v_lshrrev_b32_e32 v25, 4, v25
	s_or_b32 s13, vcc_lo, s13
	v_dot4_i32_iu8 v0, v6, v0, v5 neg_lo:[1,1,0]
	s_wait_loadcnt 0x0
	v_lshrrev_b32_e32 v6, 4, v24
	v_and_b32_e32 v5, 0xf0f0f0f, v25
	s_delay_alu instid0(VALU_DEP_3) | instskip(SKIP_2) | instid1(VALU_DEP_3)
	v_dot4_i32_iu8 v0, v7, v1, v0 neg_lo:[1,1,0]
	v_and_b32_e32 v1, 0xf0f0f0f, v24
	v_and_b32_e32 v7, 0x8000, v20
	v_dot4_i32_iu8 v0, v5, v2, v0 neg_lo:[1,1,0]
	v_lshrrev_b32_e32 v2, 11, v20
	v_and_b32_e32 v5, 0xf0f0f0f, v6
	s_delay_alu instid0(VALU_DEP_4) | instskip(NEXT) | instid1(VALU_DEP_4)
	v_cvt_f32_u32_e32 v6, v7
	v_dot4_i32_iu8 v0, v1, v3, v0 neg_lo:[1,1,0]
	s_delay_alu instid0(VALU_DEP_4) | instskip(SKIP_1) | instid1(VALU_DEP_4)
	v_and_or_b32 v1, v2, 14, 1
	v_cvt_f32_f16_e32 v3, v21
	v_fmaak_f32 v2, s10, v6, 0xbf600000
	s_delay_alu instid0(VALU_DEP_4) | instskip(NEXT) | instid1(VALU_DEP_4)
	v_dot4_i32_iu8 v0, v5, v22, v0 neg_lo:[1,1,0]
	v_cvt_f32_ubyte0_e32 v1, v1
	s_delay_alu instid0(VALU_DEP_3) | instskip(NEXT) | instid1(VALU_DEP_3)
	v_mul_f32_e32 v2, v2, v23
	v_cvt_f32_i32_e32 v0, v0
	s_delay_alu instid0(VALU_DEP_1) | instskip(NEXT) | instid1(VALU_DEP_1)
	v_dual_mul_f32 v1, v1, v3 :: v_dual_fmac_f32 v2, v0, v4
	v_fmac_f32_e32 v16, v1, v2
	s_and_not1_b32 exec_lo, exec_lo, s13
	s_cbranch_execz .LBB207_14
.LBB207_12:                             ; =>This Inner Loop Header: Depth=1
	v_add_nc_u32_e32 v28, s7, v17
	s_getpc_b64 s[4:5]
	s_wait_alu 0xfffe
	s_sext_i32_i16 s5, s5
	s_add_co_u32 s4, s4, _ZL13iq1s_grid_gpu@rel32@lo+12
	s_wait_alu 0xfffe
	s_add_co_ci_u32 s5, s5, _ZL13iq1s_grid_gpu@rel32@hi+24
	v_mad_co_i64_i32 v[0:1], null, v28, 50, s[8:9]
	s_delay_alu instid0(VALU_DEP_1) | instskip(SKIP_1) | instid1(VALU_DEP_2)
	v_add_co_u32 v2, vcc_lo, v0, v19
	s_wait_alu 0xfffd
	v_add_co_ci_u32_e64 v3, null, 0, v1, vcc_lo
	v_add_co_u32 v4, vcc_lo, v0, v18
	s_wait_alu 0xfffd
	v_add_co_ci_u32_e64 v5, null, 0, v1, vcc_lo
	s_clause 0x2
	global_load_b32 v2, v[2:3], off offset:2
	global_load_u16 v20, v[4:5], off offset:34
	global_load_u16 v21, v[0:1], off
	s_and_not1_b32 vcc_lo, exec_lo, s14
	s_wait_loadcnt 0x2
	v_and_b32_e32 v1, 0xff, v2
	s_wait_loadcnt 0x1
	v_lshlrev_b32_e32 v3, 8, v20
	v_bfe_u32 v4, v2, 8, 8
	v_lshlrev_b32_e32 v5, 5, v20
	v_lshrrev_b32_e32 v0, 24, v2
	v_bfe_u32 v2, v2, 16, 8
	v_lshlrev_b32_e32 v6, 2, v20
	v_lshrrev_b32_e32 v7, 1, v20
	v_and_or_b32 v22, 0x700, v3, v1
	v_and_or_b32 v23, 0x700, v5, v4
	s_delay_alu instid0(VALU_DEP_4) | instskip(NEXT) | instid1(VALU_DEP_4)
	v_and_or_b32 v24, 0x700, v6, v2
	v_and_or_b32 v25, 0x700, v7, v0
	s_clause 0x1
	global_load_b128 v[4:7], v[8:9], off offset:-32
	global_load_b128 v[0:3], v[8:9], off offset:-16
	v_lshlrev_b32_e32 v26, 2, v22
	v_lshlrev_b32_e32 v23, 2, v23
	v_lshlrev_b32_e32 v24, 2, v24
	v_lshlrev_b32_e32 v29, 2, v25
	global_load_b32 v22, v[8:9], off
	s_clause 0x3
	global_load_b32 v27, v26, s[4:5]
	global_load_b32 v26, v23, s[4:5]
	;; [unrolled: 1-line block ×4, first 2 shown]
	s_wait_loadcnt 0x6
	v_lshrrev_b32_e32 v23, 16, v4
	v_cvt_f32_f16_e32 v4, v4
	s_delay_alu instid0(VALU_DEP_2)
	v_cvt_f32_f16_e32 v23, v23
	s_wait_alu 0xfffe
	s_cbranch_vccnz .LBB207_11
; %bb.13:                               ;   in Loop: Header=BB207_12 Depth=1
	v_mad_co_i64_i32 v[28:29], null, v28, 50, s[16:17]
	s_delay_alu instid0(VALU_DEP_1) | instskip(SKIP_1) | instid1(VALU_DEP_2)
	v_add_co_u32 v30, vcc_lo, v28, v19
	s_wait_alu 0xfffd
	v_add_co_ci_u32_e64 v31, null, 0, v29, vcc_lo
	v_add_co_u32 v32, vcc_lo, v28, v18
	s_wait_alu 0xfffd
	v_add_co_ci_u32_e64 v33, null, 0, v29, vcc_lo
	s_clause 0x2
	global_load_b32 v30, v[30:31], off offset:2
	global_load_u16 v31, v[32:33], off offset:34
	global_load_u16 v28, v[28:29], off
	s_wait_loadcnt 0x1
	v_lshlrev_b32_e32 v32, 8, v31
	s_wait_loadcnt 0x0
	v_cvt_f32_f16_e32 v28, v28
	v_and_b32_e32 v29, 0xff, v30
	v_lshlrev_b32_e32 v33, 5, v31
	v_lshlrev_b32_e32 v34, 2, v31
	s_delay_alu instid0(VALU_DEP_3) | instskip(SKIP_1) | instid1(VALU_DEP_2)
	v_and_or_b32 v29, 0x700, v32, v29
	v_bfe_u32 v32, v30, 8, 8
	v_lshlrev_b32_e32 v29, 2, v29
	s_delay_alu instid0(VALU_DEP_2)
	v_and_or_b32 v32, 0x700, v33, v32
	v_bfe_u32 v33, v30, 16, 8
	v_lshrrev_b32_e32 v30, 24, v30
	global_load_b32 v29, v29, s[4:5]
	v_lshlrev_b32_e32 v32, 2, v32
	v_and_or_b32 v33, 0x700, v34, v33
	v_lshrrev_b32_e32 v34, 1, v31
	global_load_b32 v32, v32, s[4:5]
	v_lshlrev_b32_e32 v33, 2, v33
	v_and_or_b32 v30, 0x700, v34, v30
	global_load_b32 v33, v33, s[4:5]
	v_lshlrev_b32_e32 v30, 2, v30
	global_load_b32 v30, v30, s[4:5]
	s_wait_loadcnt 0x3
	v_lshrrev_b32_e32 v34, 4, v29
	v_and_b32_e32 v29, 0xf0f0f0f, v29
	s_delay_alu instid0(VALU_DEP_2) | instskip(NEXT) | instid1(VALU_DEP_2)
	v_and_b32_e32 v34, 0xf0f0f0f, v34
	v_dot4_i32_iu8 v29, v29, v5, 0 neg_lo:[1,1,0]
	s_wait_loadcnt 0x2
	v_and_b32_e32 v35, 0xf0f0f0f, v32
	v_lshrrev_b32_e32 v32, 4, v32
	s_delay_alu instid0(VALU_DEP_3) | instskip(SKIP_2) | instid1(VALU_DEP_3)
	v_dot4_i32_iu8 v29, v34, v6, v29 neg_lo:[1,1,0]
	s_wait_loadcnt 0x1
	v_and_b32_e32 v34, 0xf0f0f0f, v33
	v_and_b32_e32 v32, 0xf0f0f0f, v32
	v_lshrrev_b32_e32 v33, 4, v33
	v_dot4_i32_iu8 v29, v35, v7, v29 neg_lo:[1,1,0]
	s_delay_alu instid0(VALU_DEP_1) | instskip(NEXT) | instid1(VALU_DEP_3)
	v_dot4_i32_iu8 v29, v32, v0, v29 neg_lo:[1,1,0]
	v_and_b32_e32 v32, 0xf0f0f0f, v33
	s_wait_loadcnt 0x0
	v_lshrrev_b32_e32 v33, 4, v30
	v_and_b32_e32 v30, 0xf0f0f0f, v30
	v_dot4_i32_iu8 v29, v34, v1, v29 neg_lo:[1,1,0]
	s_delay_alu instid0(VALU_DEP_1) | instskip(NEXT) | instid1(VALU_DEP_4)
	v_dot4_i32_iu8 v29, v32, v2, v29 neg_lo:[1,1,0]
	v_and_b32_e32 v32, 0xf0f0f0f, v33
	s_delay_alu instid0(VALU_DEP_2) | instskip(SKIP_2) | instid1(VALU_DEP_3)
	v_dot4_i32_iu8 v29, v30, v3, v29 neg_lo:[1,1,0]
	v_lshrrev_b32_e32 v30, 11, v31
	v_and_b32_e32 v31, 0x8000, v31
	v_dot4_i32_iu8 v29, v32, v22, v29 neg_lo:[1,1,0]
	s_delay_alu instid0(VALU_DEP_3) | instskip(NEXT) | instid1(VALU_DEP_3)
	v_and_or_b32 v30, v30, 14, 1
	v_cvt_f32_u32_e32 v31, v31
	s_delay_alu instid0(VALU_DEP_3) | instskip(NEXT) | instid1(VALU_DEP_3)
	v_cvt_f32_i32_e32 v29, v29
	v_cvt_f32_ubyte0_e32 v30, v30
	s_delay_alu instid0(VALU_DEP_3) | instskip(NEXT) | instid1(VALU_DEP_2)
	v_fmaak_f32 v31, s10, v31, 0xbf600000
	v_dual_mul_f32 v29, v4, v29 :: v_dual_mul_f32 v28, v30, v28
	s_delay_alu instid0(VALU_DEP_1) | instskip(NEXT) | instid1(VALU_DEP_1)
	v_fmac_f32_e32 v29, v31, v23
	v_fmac_f32_e32 v15, v28, v29
	s_branch .LBB207_11
.LBB207_14:
	s_or_b32 exec_lo, exec_lo, s13
.LBB207_15:
	s_delay_alu instid0(SALU_CYCLE_1)
	s_or_b32 exec_lo, exec_lo, s18
	s_load_b32 s4, s[0:1], 0x30
	s_wait_loadcnt 0x0
	; wave barrier
	global_inv scope:SCOPE_SE
	s_mov_b32 s5, exec_lo
	v_cmpx_eq_u32_e32 0, v13
	s_cbranch_execz .LBB207_43
; %bb.16:
	v_mbcnt_lo_u32_b32 v1, -1, 0
	s_delay_alu instid0(VALU_DEP_1) | instskip(SKIP_2) | instid1(VALU_DEP_3)
	v_xor_b32_e32 v0, 16, v1
	v_xor_b32_e32 v3, 8, v1
	;; [unrolled: 1-line block ×3, first 2 shown]
	v_cmp_gt_i32_e32 vcc_lo, 32, v0
	s_wait_alu 0xfffd
	v_cndmask_b32_e32 v0, v1, v0, vcc_lo
	v_cmp_gt_i32_e32 vcc_lo, 32, v3
	s_wait_alu 0xfffd
	v_cndmask_b32_e32 v3, v1, v3, vcc_lo
	v_cmp_gt_i32_e32 vcc_lo, 32, v4
	s_delay_alu instid0(VALU_DEP_2)
	v_lshlrev_b32_e32 v3, 2, v3
	v_lshlrev_b32_e32 v0, 2, v0
	s_wait_alu 0xfffd
	v_cndmask_b32_e32 v4, v1, v4, vcc_lo
	ds_bpermute_b32 v2, v0, v16
	s_wait_dscnt 0x0
	v_add_f32_e32 v2, v16, v2
	ds_bpermute_b32 v5, v3, v2
	s_wait_dscnt 0x0
	v_add_f32_e32 v2, v2, v5
	v_xor_b32_e32 v5, 2, v1
	s_delay_alu instid0(VALU_DEP_1) | instskip(SKIP_2) | instid1(VALU_DEP_1)
	v_cmp_gt_i32_e32 vcc_lo, 32, v5
	s_wait_alu 0xfffd
	v_cndmask_b32_e32 v5, v1, v5, vcc_lo
	v_lshlrev_b32_e32 v5, 2, v5
	v_lshlrev_b32_e32 v4, 2, v4
	ds_bpermute_b32 v6, v4, v2
	s_wait_dscnt 0x0
	v_add_f32_e32 v2, v2, v6
	v_xor_b32_e32 v6, 1, v1
	ds_bpermute_b32 v7, v5, v2
	v_cmp_gt_i32_e32 vcc_lo, 32, v6
	s_wait_alu 0xfffd
	v_cndmask_b32_e32 v1, v1, v6, vcc_lo
	v_cmp_ne_u32_e32 vcc_lo, 1, v14
	s_delay_alu instid0(VALU_DEP_2)
	v_lshlrev_b32_e32 v6, 2, v1
	s_wait_dscnt 0x0
	v_add_f32_e32 v1, v2, v7
	ds_bpermute_b32 v2, v6, v1
	s_cbranch_vccnz .LBB207_18
; %bb.17:
	ds_bpermute_b32 v0, v0, v15
	s_wait_dscnt 0x0
	v_add_f32_e32 v0, v15, v0
	ds_bpermute_b32 v3, v3, v0
	s_wait_dscnt 0x0
	v_add_f32_e32 v0, v0, v3
	;; [unrolled: 3-line block ×5, first 2 shown]
.LBB207_18:
	v_cmp_eq_u32_e32 vcc_lo, 0, v10
	s_and_b32 exec_lo, exec_lo, vcc_lo
	s_cbranch_execz .LBB207_43
; %bb.19:
	s_wait_dscnt 0x0
	v_add_f32_e32 v0, v1, v2
	v_cmp_ne_u32_e32 vcc_lo, 1, v14
	s_delay_alu instid0(VALU_DEP_2) | instskip(NEXT) | instid1(VALU_DEP_1)
	v_add_f32_e32 v1, v12, v0
	v_cndmask_b32_e64 v0, v0, v1, s2
	s_cbranch_vccnz .LBB207_42
; %bb.20:
	v_add_f32_e32 v1, v11, v15
	s_wait_kmcnt 0x0
	s_cmp_lt_i32 s4, 2
	s_mov_b32 s2, 0
	s_delay_alu instid0(VALU_DEP_1)
	v_cndmask_b32_e64 v1, v15, v1, s3
	s_cbranch_scc1 .LBB207_25
; %bb.21:
	s_cmp_gt_i32 s4, 2
	s_cbranch_scc0 .LBB207_26
; %bb.22:
	s_cmp_eq_u32 s4, 3
	s_cbranch_scc0 .LBB207_27
; %bb.23:
	v_max_num_f32_e32 v2, v1, v1
	s_mov_b32 s3, 0xc0e00000
	s_delay_alu instid0(VALU_DEP_1) | instskip(NEXT) | instid1(VALU_DEP_1)
	v_min_num_f32_e32 v2, 0x40e00000, v2
	v_mul_f32_e32 v3, 0xbfd9db23, v2
	s_delay_alu instid0(VALU_DEP_1) | instskip(NEXT) | instid1(VALU_DEP_1)
	v_mul_f32_e32 v4, 0x3fb8aa3b, v3
	v_fma_f32 v5, 0x3fb8aa3b, v3, -v4
	v_rndne_f32_e32 v6, v4
	s_delay_alu instid0(VALU_DEP_1) | instskip(NEXT) | instid1(VALU_DEP_1)
	v_dual_fmamk_f32 v5, v3, 0x32a5705f, v5 :: v_dual_sub_f32 v4, v4, v6
	v_add_f32_e32 v4, v4, v5
	v_cvt_i32_f32_e32 v5, v6
	v_cmp_ngt_f32_e32 vcc_lo, 0xc2ce8ed0, v3
	s_delay_alu instid0(VALU_DEP_3) | instskip(NEXT) | instid1(TRANS32_DEP_1)
	v_exp_f32_e32 v4, v4
	v_ldexp_f32 v4, v4, v5
	s_wait_alu 0xfffd
	s_delay_alu instid0(VALU_DEP_1) | instskip(SKIP_2) | instid1(VALU_DEP_2)
	v_cndmask_b32_e32 v4, 0, v4, vcc_lo
	v_cmp_nlt_f32_e32 vcc_lo, 0x42b17218, v3
	s_wait_alu 0xfffd
	v_cndmask_b32_e32 v3, 0x7f800000, v4, vcc_lo
	s_delay_alu instid0(VALU_DEP_1) | instskip(NEXT) | instid1(VALU_DEP_1)
	v_add_f32_e32 v3, 1.0, v3
	v_div_scale_f32 v4, null, v3, v3, v2
	v_div_scale_f32 v7, vcc_lo, v2, v3, v2
	s_delay_alu instid0(VALU_DEP_2) | instskip(NEXT) | instid1(TRANS32_DEP_1)
	v_rcp_f32_e32 v5, v4
	v_fma_f32 v6, -v4, v5, 1.0
	s_delay_alu instid0(VALU_DEP_1) | instskip(NEXT) | instid1(VALU_DEP_1)
	v_fmac_f32_e32 v5, v6, v5
	v_mul_f32_e32 v6, v7, v5
	s_delay_alu instid0(VALU_DEP_1) | instskip(NEXT) | instid1(VALU_DEP_1)
	v_fma_f32 v8, -v4, v6, v7
	v_fmac_f32_e32 v6, v8, v5
	s_delay_alu instid0(VALU_DEP_1) | instskip(SKIP_1) | instid1(VALU_DEP_1)
	v_fma_f32 v4, -v4, v6, v7
	s_wait_alu 0xfffd
	v_div_fmas_f32 v4, v4, v5, v6
	s_delay_alu instid0(VALU_DEP_1) | instskip(SKIP_2) | instid1(VALU_DEP_1)
	v_div_fixup_f32 v2, v4, v3, v2
	v_max_num_f32_e32 v7, v0, v0
	s_wait_alu 0xfffe
	v_minmax_num_f32 v5, v7, 0x40e00000, s3
	s_mov_b32 s3, 0
	s_delay_alu instid0(VALU_DEP_1) | instskip(NEXT) | instid1(VALU_DEP_1)
	v_add_f32_e32 v3, 1.0, v5
	v_mul_f32_e32 v2, v3, v2
	s_branch .LBB207_28
.LBB207_24:
                                        ; implicit-def: $sgpr28
	s_clause 0x1
	s_load_b32 s30, s[0:1], 0x50
	s_load_b32 s29, s[0:1], 0x78
	s_branch .LBB207_2
.LBB207_25:
	s_mov_b32 s3, 0
                                        ; implicit-def: $vgpr2
	s_cbranch_execnz .LBB207_32
	s_branch .LBB207_33
.LBB207_26:
	s_mov_b32 s5, -1
	s_mov_b32 s3, 0
                                        ; implicit-def: $vgpr2
	s_branch .LBB207_29
.LBB207_27:
	s_mov_b32 s3, -1
                                        ; implicit-def: $vgpr2
.LBB207_28:
	s_mov_b32 s5, 0
.LBB207_29:
	s_wait_alu 0xfffe
	s_and_b32 vcc_lo, exec_lo, s5
	s_wait_alu 0xfffe
	s_cbranch_vccz .LBB207_31
; %bb.30:
	v_mul_f32_e32 v2, 0xbfb8aa3b, v1
	v_cmp_nlt_f32_e32 vcc_lo, 0x42ce8ed0, v1
	s_delay_alu instid0(VALU_DEP_2) | instskip(SKIP_1) | instid1(VALU_DEP_2)
	v_rndne_f32_e32 v3, v2
	v_fma_f32 v4, 0xbfb8aa3b, v1, -v2
	v_sub_f32_e32 v2, v2, v3
	s_delay_alu instid0(VALU_DEP_2) | instskip(SKIP_1) | instid1(VALU_DEP_2)
	v_fmamk_f32 v4, v1, 0xb2a5705f, v4
	v_cvt_i32_f32_e32 v3, v3
	v_add_f32_e32 v2, v2, v4
	s_delay_alu instid0(VALU_DEP_1) | instskip(NEXT) | instid1(TRANS32_DEP_1)
	v_exp_f32_e32 v2, v2
	v_ldexp_f32 v2, v2, v3
	s_wait_alu 0xfffd
	s_delay_alu instid0(VALU_DEP_1) | instskip(SKIP_2) | instid1(VALU_DEP_2)
	v_cndmask_b32_e32 v2, 0, v2, vcc_lo
	v_cmp_ngt_f32_e32 vcc_lo, 0xc2b17218, v1
	s_wait_alu 0xfffd
	v_cndmask_b32_e32 v2, 0x7f800000, v2, vcc_lo
	s_delay_alu instid0(VALU_DEP_1) | instskip(NEXT) | instid1(VALU_DEP_1)
	v_add_f32_e32 v2, 1.0, v2
	v_div_scale_f32 v3, null, v2, v2, v1
	s_delay_alu instid0(VALU_DEP_1) | instskip(NEXT) | instid1(TRANS32_DEP_1)
	v_rcp_f32_e32 v4, v3
	v_fma_f32 v5, -v3, v4, 1.0
	s_delay_alu instid0(VALU_DEP_1) | instskip(SKIP_1) | instid1(VALU_DEP_1)
	v_fmac_f32_e32 v4, v5, v4
	v_div_scale_f32 v5, vcc_lo, v1, v2, v1
	v_mul_f32_e32 v6, v5, v4
	s_delay_alu instid0(VALU_DEP_1) | instskip(NEXT) | instid1(VALU_DEP_1)
	v_fma_f32 v7, -v3, v6, v5
	v_fmac_f32_e32 v6, v7, v4
	s_delay_alu instid0(VALU_DEP_1) | instskip(SKIP_1) | instid1(VALU_DEP_1)
	v_fma_f32 v3, -v3, v6, v5
	s_wait_alu 0xfffd
	v_div_fmas_f32 v3, v3, v4, v6
	s_delay_alu instid0(VALU_DEP_1) | instskip(NEXT) | instid1(VALU_DEP_1)
	v_div_fixup_f32 v2, v3, v2, v1
	v_mul_f32_e32 v2, v0, v2
.LBB207_31:
	s_branch .LBB207_33
.LBB207_32:
	s_cmp_lg_u32 s4, 1
	s_mov_b32 s2, -1
	s_cselect_b32 s3, -1, 0
.LBB207_33:
	s_wait_alu 0xfffe
	s_and_not1_b32 vcc_lo, exec_lo, s3
	s_wait_alu 0xfffe
	s_cbranch_vccz .LBB207_35
; %bb.34:
	s_and_not1_b32 vcc_lo, exec_lo, s2
	s_wait_alu 0xfffe
	s_cbranch_vccz .LBB207_36
	s_branch .LBB207_41
.LBB207_35:
	v_mul_f32_e32 v2, v1, v0
	s_cbranch_execnz .LBB207_41
.LBB207_36:
	v_mul_f32_e32 v2, 0x3d372713, v1
	v_mul_f32_e32 v3, 0x3f4c422a, v1
	s_delay_alu instid0(VALU_DEP_2) | instskip(NEXT) | instid1(VALU_DEP_1)
	v_fma_f32 v2, v1, v2, 1.0
	v_mul_f32_e32 v2, v3, v2
                                        ; implicit-def: $vgpr3
	s_delay_alu instid0(VALU_DEP_1)
	v_cmp_ngt_f32_e64 s2, 0x3f200000, |v2|
	s_and_saveexec_b32 s3, s2
	s_wait_alu 0xfffe
	s_xor_b32 s2, exec_lo, s3
	s_cbranch_execz .LBB207_38
; %bb.37:
	v_add_f32_e64 v3, |v2|, |v2|
	s_delay_alu instid0(VALU_DEP_1) | instskip(SKIP_1) | instid1(VALU_DEP_2)
	v_mul_f32_e32 v4, 0x3fb8aa3b, v3
	v_cmp_ngt_f32_e32 vcc_lo, 0xc2ce8ed0, v3
	v_rndne_f32_e32 v5, v4
	v_fma_f32 v6, 0x3fb8aa3b, v3, -v4
	s_delay_alu instid0(VALU_DEP_2) | instskip(NEXT) | instid1(VALU_DEP_2)
	v_sub_f32_e32 v4, v4, v5
	v_fmamk_f32 v6, v3, 0x32a5705f, v6
	v_cvt_i32_f32_e32 v5, v5
	s_delay_alu instid0(VALU_DEP_2) | instskip(NEXT) | instid1(VALU_DEP_1)
	v_add_f32_e32 v4, v4, v6
	v_exp_f32_e32 v4, v4
	s_delay_alu instid0(TRANS32_DEP_1) | instskip(SKIP_1) | instid1(VALU_DEP_1)
	v_ldexp_f32 v4, v4, v5
	s_wait_alu 0xfffd
	v_cndmask_b32_e32 v4, 0, v4, vcc_lo
	v_cmp_nlt_f32_e32 vcc_lo, 0x42b17218, v3
	s_wait_alu 0xfffd
	s_delay_alu instid0(VALU_DEP_2) | instskip(NEXT) | instid1(VALU_DEP_1)
	v_cndmask_b32_e32 v3, 0x7f800000, v4, vcc_lo
	v_add_f32_e32 v3, 1.0, v3
	s_delay_alu instid0(VALU_DEP_1) | instskip(NEXT) | instid1(TRANS32_DEP_1)
	v_rcp_f32_e32 v3, v3
	v_fma_f32 v3, v3, -2.0, 1.0
.LBB207_38:
	s_wait_alu 0xfffe
	s_and_not1_saveexec_b32 s2, s2
	s_cbranch_execz .LBB207_40
; %bb.39:
	v_mul_f32_e32 v3, v2, v2
	s_mov_b32 s3, 0xbbbac73d
	s_wait_alu 0xfffe
	s_delay_alu instid0(VALU_DEP_1) | instskip(NEXT) | instid1(VALU_DEP_1)
	v_fmaak_f32 v4, s3, v3, 0x3ca908c9
	v_fmaak_f32 v4, v3, v4, 0xbd5c1c4e
	s_delay_alu instid0(VALU_DEP_1) | instskip(NEXT) | instid1(VALU_DEP_1)
	v_fmaak_f32 v4, v3, v4, 0x3e088382
	v_fmaak_f32 v4, v3, v4, 0xbeaaaa99
	s_delay_alu instid0(VALU_DEP_1) | instskip(NEXT) | instid1(VALU_DEP_1)
	v_mul_f32_e64 v4, |v2|, v4
	v_fma_f32 v3, v3, v4, |v2|
.LBB207_40:
	s_wait_alu 0xfffe
	s_or_b32 exec_lo, exec_lo, s2
	s_delay_alu instid0(VALU_DEP_1) | instskip(NEXT) | instid1(VALU_DEP_1)
	v_bfi_b32 v2, 0x7fffffff, v3, v2
	v_dual_mul_f32 v1, 0.5, v1 :: v_dual_add_f32 v2, 1.0, v2
	s_delay_alu instid0(VALU_DEP_1) | instskip(NEXT) | instid1(VALU_DEP_1)
	v_mul_f32_e32 v1, v1, v2
	v_mul_f32_e32 v2, v0, v1
.LBB207_41:
	s_delay_alu instid0(VALU_DEP_1)
	v_mov_b32_e32 v0, v2
.LBB207_42:
	s_load_b64 s[0:1], s[0:1], 0x38
	s_mul_i32 s2, s6, s27
	s_wait_kmcnt 0x0
	s_mul_i32 s3, s26, s21
	s_wait_alu 0xfffe
	s_add_co_i32 s2, s2, ttmp9
	v_lshlrev_b32_e32 v1, 2, v10
	s_wait_alu 0xfffe
	s_add_co_i32 s2, s2, s3
	s_mov_b32 s3, 0
	s_wait_alu 0xfffe
	s_lshl_b64 s[2:3], s[2:3], 2
	s_wait_alu 0xfffe
	s_add_nc_u64 s[0:1], s[0:1], s[2:3]
	global_store_b32 v1, v0, s[0:1]
.LBB207_43:
	s_endpgm
	.section	.rodata,"a",@progbits
	.p2align	6, 0x0
	.amdhsa_kernel _ZL13mul_mat_vec_qIL9ggml_type19ELi1ELb1ELb0EEvPKvS2_PKi31ggml_cuda_mm_fusion_args_devicePfj15HIP_vector_typeIjLj3EEjjjS8_jjjS8_jjjj
		.amdhsa_group_segment_fixed_size 0
		.amdhsa_private_segment_fixed_size 0
		.amdhsa_kernarg_size 144
		.amdhsa_user_sgpr_count 2
		.amdhsa_user_sgpr_dispatch_ptr 0
		.amdhsa_user_sgpr_queue_ptr 0
		.amdhsa_user_sgpr_kernarg_segment_ptr 1
		.amdhsa_user_sgpr_dispatch_id 0
		.amdhsa_user_sgpr_private_segment_size 0
		.amdhsa_wavefront_size32 1
		.amdhsa_uses_dynamic_stack 0
		.amdhsa_enable_private_segment 0
		.amdhsa_system_sgpr_workgroup_id_x 1
		.amdhsa_system_sgpr_workgroup_id_y 1
		.amdhsa_system_sgpr_workgroup_id_z 1
		.amdhsa_system_sgpr_workgroup_info 0
		.amdhsa_system_vgpr_workitem_id 1
		.amdhsa_next_free_vgpr 36
		.amdhsa_next_free_sgpr 38
		.amdhsa_reserve_vcc 1
		.amdhsa_float_round_mode_32 0
		.amdhsa_float_round_mode_16_64 0
		.amdhsa_float_denorm_mode_32 3
		.amdhsa_float_denorm_mode_16_64 3
		.amdhsa_fp16_overflow 0
		.amdhsa_workgroup_processor_mode 1
		.amdhsa_memory_ordered 1
		.amdhsa_forward_progress 1
		.amdhsa_inst_pref_size 27
		.amdhsa_round_robin_scheduling 0
		.amdhsa_exception_fp_ieee_invalid_op 0
		.amdhsa_exception_fp_denorm_src 0
		.amdhsa_exception_fp_ieee_div_zero 0
		.amdhsa_exception_fp_ieee_overflow 0
		.amdhsa_exception_fp_ieee_underflow 0
		.amdhsa_exception_fp_ieee_inexact 0
		.amdhsa_exception_int_div_zero 0
	.end_amdhsa_kernel
	.section	.text._ZL13mul_mat_vec_qIL9ggml_type19ELi1ELb1ELb0EEvPKvS2_PKi31ggml_cuda_mm_fusion_args_devicePfj15HIP_vector_typeIjLj3EEjjjS8_jjjS8_jjjj,"axG",@progbits,_ZL13mul_mat_vec_qIL9ggml_type19ELi1ELb1ELb0EEvPKvS2_PKi31ggml_cuda_mm_fusion_args_devicePfj15HIP_vector_typeIjLj3EEjjjS8_jjjS8_jjjj,comdat
.Lfunc_end207:
	.size	_ZL13mul_mat_vec_qIL9ggml_type19ELi1ELb1ELb0EEvPKvS2_PKi31ggml_cuda_mm_fusion_args_devicePfj15HIP_vector_typeIjLj3EEjjjS8_jjjS8_jjjj, .Lfunc_end207-_ZL13mul_mat_vec_qIL9ggml_type19ELi1ELb1ELb0EEvPKvS2_PKi31ggml_cuda_mm_fusion_args_devicePfj15HIP_vector_typeIjLj3EEjjjS8_jjjS8_jjjj
                                        ; -- End function
	.set _ZL13mul_mat_vec_qIL9ggml_type19ELi1ELb1ELb0EEvPKvS2_PKi31ggml_cuda_mm_fusion_args_devicePfj15HIP_vector_typeIjLj3EEjjjS8_jjjS8_jjjj.num_vgpr, 36
	.set _ZL13mul_mat_vec_qIL9ggml_type19ELi1ELb1ELb0EEvPKvS2_PKi31ggml_cuda_mm_fusion_args_devicePfj15HIP_vector_typeIjLj3EEjjjS8_jjjS8_jjjj.num_agpr, 0
	.set _ZL13mul_mat_vec_qIL9ggml_type19ELi1ELb1ELb0EEvPKvS2_PKi31ggml_cuda_mm_fusion_args_devicePfj15HIP_vector_typeIjLj3EEjjjS8_jjjS8_jjjj.numbered_sgpr, 38
	.set _ZL13mul_mat_vec_qIL9ggml_type19ELi1ELb1ELb0EEvPKvS2_PKi31ggml_cuda_mm_fusion_args_devicePfj15HIP_vector_typeIjLj3EEjjjS8_jjjS8_jjjj.num_named_barrier, 0
	.set _ZL13mul_mat_vec_qIL9ggml_type19ELi1ELb1ELb0EEvPKvS2_PKi31ggml_cuda_mm_fusion_args_devicePfj15HIP_vector_typeIjLj3EEjjjS8_jjjS8_jjjj.private_seg_size, 0
	.set _ZL13mul_mat_vec_qIL9ggml_type19ELi1ELb1ELb0EEvPKvS2_PKi31ggml_cuda_mm_fusion_args_devicePfj15HIP_vector_typeIjLj3EEjjjS8_jjjS8_jjjj.uses_vcc, 1
	.set _ZL13mul_mat_vec_qIL9ggml_type19ELi1ELb1ELb0EEvPKvS2_PKi31ggml_cuda_mm_fusion_args_devicePfj15HIP_vector_typeIjLj3EEjjjS8_jjjS8_jjjj.uses_flat_scratch, 0
	.set _ZL13mul_mat_vec_qIL9ggml_type19ELi1ELb1ELb0EEvPKvS2_PKi31ggml_cuda_mm_fusion_args_devicePfj15HIP_vector_typeIjLj3EEjjjS8_jjjS8_jjjj.has_dyn_sized_stack, 0
	.set _ZL13mul_mat_vec_qIL9ggml_type19ELi1ELb1ELb0EEvPKvS2_PKi31ggml_cuda_mm_fusion_args_devicePfj15HIP_vector_typeIjLj3EEjjjS8_jjjS8_jjjj.has_recursion, 0
	.set _ZL13mul_mat_vec_qIL9ggml_type19ELi1ELb1ELb0EEvPKvS2_PKi31ggml_cuda_mm_fusion_args_devicePfj15HIP_vector_typeIjLj3EEjjjS8_jjjS8_jjjj.has_indirect_call, 0
	.section	.AMDGPU.csdata,"",@progbits
; Kernel info:
; codeLenInByte = 3344
; TotalNumSgprs: 40
; NumVgprs: 36
; ScratchSize: 0
; MemoryBound: 0
; FloatMode: 240
; IeeeMode: 1
; LDSByteSize: 0 bytes/workgroup (compile time only)
; SGPRBlocks: 0
; VGPRBlocks: 4
; NumSGPRsForWavesPerEU: 40
; NumVGPRsForWavesPerEU: 36
; Occupancy: 16
; WaveLimiterHint : 0
; COMPUTE_PGM_RSRC2:SCRATCH_EN: 0
; COMPUTE_PGM_RSRC2:USER_SGPR: 2
; COMPUTE_PGM_RSRC2:TRAP_HANDLER: 0
; COMPUTE_PGM_RSRC2:TGID_X_EN: 1
; COMPUTE_PGM_RSRC2:TGID_Y_EN: 1
; COMPUTE_PGM_RSRC2:TGID_Z_EN: 1
; COMPUTE_PGM_RSRC2:TIDIG_COMP_CNT: 1
	.section	.text._ZL13mul_mat_vec_qIL9ggml_type19ELi1ELb0ELb0EEvPKvS2_PKi31ggml_cuda_mm_fusion_args_devicePfj15HIP_vector_typeIjLj3EEjjjS8_jjjS8_jjjj,"axG",@progbits,_ZL13mul_mat_vec_qIL9ggml_type19ELi1ELb0ELb0EEvPKvS2_PKi31ggml_cuda_mm_fusion_args_devicePfj15HIP_vector_typeIjLj3EEjjjS8_jjjS8_jjjj,comdat
	.globl	_ZL13mul_mat_vec_qIL9ggml_type19ELi1ELb0ELb0EEvPKvS2_PKi31ggml_cuda_mm_fusion_args_devicePfj15HIP_vector_typeIjLj3EEjjjS8_jjjS8_jjjj ; -- Begin function _ZL13mul_mat_vec_qIL9ggml_type19ELi1ELb0ELb0EEvPKvS2_PKi31ggml_cuda_mm_fusion_args_devicePfj15HIP_vector_typeIjLj3EEjjjS8_jjjS8_jjjj
	.p2align	8
	.type	_ZL13mul_mat_vec_qIL9ggml_type19ELi1ELb0ELb0EEvPKvS2_PKi31ggml_cuda_mm_fusion_args_devicePfj15HIP_vector_typeIjLj3EEjjjS8_jjjS8_jjjj,@function
_ZL13mul_mat_vec_qIL9ggml_type19ELi1ELb0ELb0EEvPKvS2_PKi31ggml_cuda_mm_fusion_args_devicePfj15HIP_vector_typeIjLj3EEjjjS8_jjjS8_jjjj: ; @_ZL13mul_mat_vec_qIL9ggml_type19ELi1ELb0ELb0EEvPKvS2_PKi31ggml_cuda_mm_fusion_args_devicePfj15HIP_vector_typeIjLj3EEjjjS8_jjjS8_jjjj
; %bb.0:
	s_clause 0x1
	s_load_b64 s[2:3], s[0:1], 0x10
	s_load_b128 s[8:11], s[0:1], 0x40
	s_and_b32 s15, ttmp7, 0xffff
	s_wait_kmcnt 0x0
	s_cmp_lg_u64 s[2:3], 0
	s_cselect_b32 s12, -1, 0
	s_cmp_eq_u64 s[2:3], 0
	s_cbranch_scc1 .LBB208_13
; %bb.1:
	s_lshl_b32 s4, s15, 2
	s_load_b32 s19, s[2:3], s4 offset:0x0
	s_clause 0x1
	s_load_b128 s[4:7], s[0:1], 0x68
	s_load_b32 s20, s[0:1], 0x50
	s_cbranch_execnz .LBB208_3
.LBB208_2:
	s_load_b64 s[2:3], s[0:1], 0x5c
	s_wait_kmcnt 0x0
	s_mul_hi_u32 s2, s2, s15
	s_delay_alu instid0(SALU_CYCLE_1) | instskip(NEXT) | instid1(SALU_CYCLE_1)
	s_add_co_i32 s2, s15, s2
	s_lshr_b32 s19, s2, s3
.LBB208_3:
	s_load_b32 s21, s[0:1], 0x78
	s_and_not1_b32 vcc_lo, exec_lo, s12
	s_mov_b32 s2, s15
	s_cbranch_vccnz .LBB208_5
; %bb.4:
	s_mul_hi_u32 s2, s9, s15
	s_delay_alu instid0(SALU_CYCLE_1) | instskip(NEXT) | instid1(SALU_CYCLE_1)
	s_add_co_i32 s2, s15, s2
	s_lshr_b32 s2, s2, s10
	s_delay_alu instid0(SALU_CYCLE_1) | instskip(NEXT) | instid1(SALU_CYCLE_1)
	s_mul_i32 s2, s2, s11
	s_sub_co_i32 s2, s15, s2
.LBB208_5:
	s_load_b96 s[12:14], s[0:1], 0x80
	v_bfe_u32 v3, v0, 10, 10
	v_and_b32_e32 v2, 0x3ff, v0
	v_mov_b32_e32 v4, 0
	s_lshr_b32 s18, s8, 8
	s_lshr_b32 s16, ttmp7, 16
	s_mov_b32 s17, exec_lo
	v_lshl_or_b32 v0, v3, 5, v2
	s_delay_alu instid0(VALU_DEP_1) | instskip(NEXT) | instid1(VALU_DEP_1)
	v_lshrrev_b32_e32 v5, 3, v0
	v_cmpx_gt_u32_e64 s18, v5
	s_cbranch_execz .LBB208_9
; %bb.6:
	v_lshrrev_b32_e32 v0, 3, v0
	s_wait_kmcnt 0x0
	s_mul_i32 s2, s2, s5
	s_mov_b32 s3, 0
	v_dual_mov_b32 v4, 0 :: v_dual_and_b32 v7, 7, v2
	s_mul_u64 s[8:9], s[2:3], 36
	s_mul_i32 s2, s13, s16
	v_mad_co_u64_u32 v[0:1], null, 0x120, v0, s[8:9]
	s_load_b128 s[8:11], s[0:1], 0x0
	v_lshlrev_b32_e32 v6, 1, v7
	s_mul_i32 s20, s20, ttmp9
	s_mul_i32 s4, s19, s4
	s_mov_b32 s5, 0xb7000000
	v_mad_co_u64_u32 v[0:1], null, s2, 36, v[0:1]
	s_mul_hi_u32 s2, s7, s16
	v_lshlrev_b32_e32 v6, 1, v6
	s_wait_alu 0xfffe
	s_add_co_i32 s2, s16, s2
	s_wait_alu 0xfffe
	s_lshr_b32 s2, s2, s21
	v_mad_co_u64_u32 v[0:1], null, v7, 36, v[0:1]
	s_wait_alu 0xfffe
	s_mul_i32 s2, s2, s12
	v_lshlrev_b32_e32 v7, 1, v7
	s_wait_alu 0xfffe
	s_add_co_i32 s2, s2, s20
	s_wait_alu 0xfffe
	s_add_co_i32 s4, s4, s2
	s_wait_kmcnt 0x0
	v_add_co_u32 v0, vcc_lo, s10, v0
	s_delay_alu instid0(VALU_DEP_1) | instskip(NEXT) | instid1(VALU_DEP_2)
	v_add_co_ci_u32_e64 v1, null, s11, v1, vcc_lo
	v_add_co_u32 v0, vcc_lo, v0, 32
	s_wait_alu 0xfffd
	s_delay_alu instid0(VALU_DEP_2)
	v_add_co_ci_u32_e64 v1, null, 0, v1, vcc_lo
.LBB208_7:                              ; =>This Inner Loop Header: Depth=1
	v_add_nc_u32_e32 v8, s4, v5
	s_getpc_b64 s[10:11]
	s_wait_alu 0xfffe
	s_sext_i32_i16 s11, s11
	s_add_co_u32 s10, s10, _ZL13iq1s_grid_gpu@rel32@lo+12
	s_wait_alu 0xfffe
	s_add_co_ci_u32 s11, s11, _ZL13iq1s_grid_gpu@rel32@hi+24
	v_add_nc_u32_e32 v5, 4, v5
	v_mad_co_i64_i32 v[12:13], null, v8, 50, s[8:9]
	s_delay_alu instid0(VALU_DEP_2)
	v_cmp_le_u32_e64 s2, s18, v5
	s_or_b32 s3, s2, s3
	v_add_co_u32 v8, vcc_lo, v12, v6
	s_wait_alu 0xfffd
	v_add_co_ci_u32_e64 v9, null, 0, v13, vcc_lo
	v_add_co_u32 v10, vcc_lo, v12, v7
	s_wait_alu 0xfffd
	v_add_co_ci_u32_e64 v11, null, 0, v13, vcc_lo
	s_clause 0x1
	global_load_b32 v16, v[8:9], off offset:2
	global_load_u16 v17, v[10:11], off offset:34
	global_load_b128 v[8:11], v[0:1], off offset:-32
	global_load_u16 v18, v[12:13], off
	global_load_b128 v[12:15], v[0:1], off offset:-16
	s_wait_loadcnt 0x4
	v_and_b32_e32 v19, 0xff, v16
	s_wait_loadcnt 0x3
	v_lshlrev_b32_e32 v20, 8, v17
	v_lshlrev_b32_e32 v22, 5, v17
	v_lshrrev_b32_e32 v21, 24, v16
	s_delay_alu instid0(VALU_DEP_3) | instskip(SKIP_2) | instid1(VALU_DEP_3)
	v_and_or_b32 v19, 0x700, v20, v19
	v_bfe_u32 v20, v16, 8, 8
	v_bfe_u32 v16, v16, 16, 8
	v_lshlrev_b32_e32 v19, 2, v19
	s_delay_alu instid0(VALU_DEP_3)
	v_and_or_b32 v20, 0x700, v22, v20
	v_lshlrev_b32_e32 v22, 2, v17
	global_load_b32 v19, v19, s[10:11]
	v_lshlrev_b32_e32 v20, 2, v20
	v_and_or_b32 v16, 0x700, v22, v16
	v_lshrrev_b32_e32 v22, 1, v17
	global_load_b32 v20, v20, s[10:11]
	v_lshlrev_b32_e32 v16, 2, v16
	v_and_or_b32 v21, 0x700, v22, v21
	global_load_b32 v16, v16, s[10:11]
	v_lshlrev_b32_e32 v21, 2, v21
	global_load_b32 v21, v21, s[10:11]
	global_load_b32 v22, v[0:1], off
	v_add_co_u32 v0, vcc_lo, 0x480, v0
	s_wait_alu 0xfffd
	v_add_co_ci_u32_e64 v1, null, 0, v1, vcc_lo
	s_wait_loadcnt 0x4
	v_lshrrev_b32_e32 v23, 4, v19
	v_and_b32_e32 v19, 0xf0f0f0f, v19
	s_delay_alu instid0(VALU_DEP_2) | instskip(NEXT) | instid1(VALU_DEP_2)
	v_and_b32_e32 v23, 0xf0f0f0f, v23
	v_dot4_i32_iu8 v9, v19, v9, 0 neg_lo:[1,1,0]
	s_wait_loadcnt 0x3
	v_and_b32_e32 v19, 0xf0f0f0f, v20
	v_lshrrev_b32_e32 v20, 4, v20
	s_delay_alu instid0(VALU_DEP_3) | instskip(NEXT) | instid1(VALU_DEP_2)
	v_dot4_i32_iu8 v9, v23, v10, v9 neg_lo:[1,1,0]
	v_and_b32_e32 v10, 0xf0f0f0f, v20
	s_delay_alu instid0(VALU_DEP_2) | instskip(SKIP_3) | instid1(VALU_DEP_3)
	v_dot4_i32_iu8 v9, v19, v11, v9 neg_lo:[1,1,0]
	s_wait_loadcnt 0x2
	v_and_b32_e32 v11, 0xf0f0f0f, v16
	v_lshrrev_b32_e32 v16, 4, v16
	v_dot4_i32_iu8 v9, v10, v12, v9 neg_lo:[1,1,0]
	v_lshrrev_b32_e32 v10, 16, v8
	s_delay_alu instid0(VALU_DEP_3)
	v_and_b32_e32 v12, 0xf0f0f0f, v16
	s_wait_loadcnt 0x1
	v_lshrrev_b32_e32 v16, 4, v21
	v_dot4_i32_iu8 v9, v11, v13, v9 neg_lo:[1,1,0]
	v_and_b32_e32 v11, 0x8000, v17
	v_and_b32_e32 v13, 0xf0f0f0f, v21
	v_cvt_f32_f16_e32 v10, v10
	s_delay_alu instid0(VALU_DEP_4) | instskip(SKIP_3) | instid1(VALU_DEP_4)
	v_dot4_i32_iu8 v9, v12, v14, v9 neg_lo:[1,1,0]
	v_lshrrev_b32_e32 v12, 11, v17
	v_cvt_f32_u32_e32 v11, v11
	v_and_b32_e32 v14, 0xf0f0f0f, v16
	v_dot4_i32_iu8 v9, v13, v15, v9 neg_lo:[1,1,0]
	s_delay_alu instid0(VALU_DEP_4) | instskip(NEXT) | instid1(VALU_DEP_4)
	v_and_or_b32 v12, v12, 14, 1
	v_fmaak_f32 v11, s5, v11, 0xbf600000
	v_cvt_f32_f16_e32 v13, v18
	s_wait_loadcnt 0x0
	v_dot4_i32_iu8 v9, v14, v22, v9 neg_lo:[1,1,0]
	v_cvt_f32_ubyte0_e32 v12, v12
	v_mul_f32_e32 v10, v11, v10
	s_delay_alu instid0(VALU_DEP_3) | instskip(NEXT) | instid1(VALU_DEP_3)
	v_cvt_f32_i32_e32 v9, v9
	v_mul_f32_e32 v11, v12, v13
	s_delay_alu instid0(VALU_DEP_2) | instskip(NEXT) | instid1(VALU_DEP_1)
	v_fma_mix_f32 v8, v9, v8, v10 op_sel_hi:[0,1,0]
	v_fmac_f32_e32 v4, v11, v8
	s_wait_alu 0xfffe
	s_and_not1_b32 exec_lo, exec_lo, s3
	s_cbranch_execnz .LBB208_7
; %bb.8:
	s_or_b32 exec_lo, exec_lo, s3
.LBB208_9:
	s_delay_alu instid0(SALU_CYCLE_1)
	s_or_b32 exec_lo, exec_lo, s17
	; wave barrier
	global_inv scope:SCOPE_SE
	s_mov_b32 s2, exec_lo
	v_cmpx_eq_u32_e32 0, v3
	s_cbranch_execz .LBB208_12
; %bb.10:
	v_mbcnt_lo_u32_b32 v0, -1, 0
	s_delay_alu instid0(VALU_DEP_1) | instskip(SKIP_1) | instid1(VALU_DEP_2)
	v_xor_b32_e32 v1, 16, v0
	v_xor_b32_e32 v3, 8, v0
	v_cmp_gt_i32_e32 vcc_lo, 32, v1
	s_wait_alu 0xfffd
	v_cndmask_b32_e32 v1, v0, v1, vcc_lo
	s_delay_alu instid0(VALU_DEP_3) | instskip(NEXT) | instid1(VALU_DEP_2)
	v_cmp_gt_i32_e32 vcc_lo, 32, v3
	v_lshlrev_b32_e32 v1, 2, v1
	s_wait_alu 0xfffd
	v_cndmask_b32_e32 v3, v0, v3, vcc_lo
	ds_bpermute_b32 v1, v1, v4
	v_lshlrev_b32_e32 v3, 2, v3
	s_wait_dscnt 0x0
	v_add_f32_e32 v1, v4, v1
	v_xor_b32_e32 v4, 4, v0
	ds_bpermute_b32 v3, v3, v1
	v_cmp_gt_i32_e32 vcc_lo, 32, v4
	s_wait_alu 0xfffd
	v_cndmask_b32_e32 v4, v0, v4, vcc_lo
	s_wait_dscnt 0x0
	s_delay_alu instid0(VALU_DEP_1) | instskip(SKIP_2) | instid1(VALU_DEP_1)
	v_dual_add_f32 v1, v1, v3 :: v_dual_lshlrev_b32 v4, 2, v4
	ds_bpermute_b32 v3, v4, v1
	v_xor_b32_e32 v4, 2, v0
	v_cmp_gt_i32_e32 vcc_lo, 32, v4
	s_wait_alu 0xfffd
	v_cndmask_b32_e32 v4, v0, v4, vcc_lo
	s_wait_dscnt 0x0
	s_delay_alu instid0(VALU_DEP_1) | instskip(SKIP_2) | instid1(VALU_DEP_1)
	v_dual_add_f32 v1, v1, v3 :: v_dual_lshlrev_b32 v4, 2, v4
	ds_bpermute_b32 v3, v4, v1
	v_xor_b32_e32 v4, 1, v0
	v_cmp_gt_i32_e32 vcc_lo, 32, v4
	s_wait_alu 0xfffd
	v_cndmask_b32_e32 v0, v0, v4, vcc_lo
	v_cmp_eq_u32_e32 vcc_lo, 0, v2
	s_delay_alu instid0(VALU_DEP_2)
	v_lshlrev_b32_e32 v4, 2, v0
	s_wait_dscnt 0x0
	v_add_f32_e32 v0, v1, v3
	ds_bpermute_b32 v1, v4, v0
	s_and_b32 exec_lo, exec_lo, vcc_lo
	s_cbranch_execz .LBB208_12
; %bb.11:
	s_load_b64 s[0:1], s[0:1], 0x38
	s_wait_kmcnt 0x0
	s_mul_i32 s2, s6, s15
	s_mul_i32 s3, s14, s16
	s_wait_alu 0xfffe
	s_add_co_i32 s2, s2, ttmp9
	s_wait_dscnt 0x0
	v_dual_add_f32 v0, v0, v1 :: v_dual_mov_b32 v1, 0
	s_wait_alu 0xfffe
	s_add_co_i32 s2, s2, s3
	s_mov_b32 s3, 0
	s_wait_alu 0xfffe
	s_lshl_b64 s[2:3], s[2:3], 2
	s_wait_alu 0xfffe
	s_add_nc_u64 s[0:1], s[0:1], s[2:3]
	global_store_b32 v1, v0, s[0:1]
.LBB208_12:
	s_endpgm
.LBB208_13:
                                        ; implicit-def: $sgpr19
	s_clause 0x1
	s_load_b128 s[4:7], s[0:1], 0x68
	s_load_b32 s20, s[0:1], 0x50
	s_branch .LBB208_2
	.section	.rodata,"a",@progbits
	.p2align	6, 0x0
	.amdhsa_kernel _ZL13mul_mat_vec_qIL9ggml_type19ELi1ELb0ELb0EEvPKvS2_PKi31ggml_cuda_mm_fusion_args_devicePfj15HIP_vector_typeIjLj3EEjjjS8_jjjS8_jjjj
		.amdhsa_group_segment_fixed_size 0
		.amdhsa_private_segment_fixed_size 0
		.amdhsa_kernarg_size 144
		.amdhsa_user_sgpr_count 2
		.amdhsa_user_sgpr_dispatch_ptr 0
		.amdhsa_user_sgpr_queue_ptr 0
		.amdhsa_user_sgpr_kernarg_segment_ptr 1
		.amdhsa_user_sgpr_dispatch_id 0
		.amdhsa_user_sgpr_private_segment_size 0
		.amdhsa_wavefront_size32 1
		.amdhsa_uses_dynamic_stack 0
		.amdhsa_enable_private_segment 0
		.amdhsa_system_sgpr_workgroup_id_x 1
		.amdhsa_system_sgpr_workgroup_id_y 1
		.amdhsa_system_sgpr_workgroup_id_z 1
		.amdhsa_system_sgpr_workgroup_info 0
		.amdhsa_system_vgpr_workitem_id 1
		.amdhsa_next_free_vgpr 24
		.amdhsa_next_free_sgpr 22
		.amdhsa_reserve_vcc 1
		.amdhsa_float_round_mode_32 0
		.amdhsa_float_round_mode_16_64 0
		.amdhsa_float_denorm_mode_32 3
		.amdhsa_float_denorm_mode_16_64 3
		.amdhsa_fp16_overflow 0
		.amdhsa_workgroup_processor_mode 1
		.amdhsa_memory_ordered 1
		.amdhsa_forward_progress 1
		.amdhsa_inst_pref_size 12
		.amdhsa_round_robin_scheduling 0
		.amdhsa_exception_fp_ieee_invalid_op 0
		.amdhsa_exception_fp_denorm_src 0
		.amdhsa_exception_fp_ieee_div_zero 0
		.amdhsa_exception_fp_ieee_overflow 0
		.amdhsa_exception_fp_ieee_underflow 0
		.amdhsa_exception_fp_ieee_inexact 0
		.amdhsa_exception_int_div_zero 0
	.end_amdhsa_kernel
	.section	.text._ZL13mul_mat_vec_qIL9ggml_type19ELi1ELb0ELb0EEvPKvS2_PKi31ggml_cuda_mm_fusion_args_devicePfj15HIP_vector_typeIjLj3EEjjjS8_jjjS8_jjjj,"axG",@progbits,_ZL13mul_mat_vec_qIL9ggml_type19ELi1ELb0ELb0EEvPKvS2_PKi31ggml_cuda_mm_fusion_args_devicePfj15HIP_vector_typeIjLj3EEjjjS8_jjjS8_jjjj,comdat
.Lfunc_end208:
	.size	_ZL13mul_mat_vec_qIL9ggml_type19ELi1ELb0ELb0EEvPKvS2_PKi31ggml_cuda_mm_fusion_args_devicePfj15HIP_vector_typeIjLj3EEjjjS8_jjjS8_jjjj, .Lfunc_end208-_ZL13mul_mat_vec_qIL9ggml_type19ELi1ELb0ELb0EEvPKvS2_PKi31ggml_cuda_mm_fusion_args_devicePfj15HIP_vector_typeIjLj3EEjjjS8_jjjS8_jjjj
                                        ; -- End function
	.set _ZL13mul_mat_vec_qIL9ggml_type19ELi1ELb0ELb0EEvPKvS2_PKi31ggml_cuda_mm_fusion_args_devicePfj15HIP_vector_typeIjLj3EEjjjS8_jjjS8_jjjj.num_vgpr, 24
	.set _ZL13mul_mat_vec_qIL9ggml_type19ELi1ELb0ELb0EEvPKvS2_PKi31ggml_cuda_mm_fusion_args_devicePfj15HIP_vector_typeIjLj3EEjjjS8_jjjS8_jjjj.num_agpr, 0
	.set _ZL13mul_mat_vec_qIL9ggml_type19ELi1ELb0ELb0EEvPKvS2_PKi31ggml_cuda_mm_fusion_args_devicePfj15HIP_vector_typeIjLj3EEjjjS8_jjjS8_jjjj.numbered_sgpr, 22
	.set _ZL13mul_mat_vec_qIL9ggml_type19ELi1ELb0ELb0EEvPKvS2_PKi31ggml_cuda_mm_fusion_args_devicePfj15HIP_vector_typeIjLj3EEjjjS8_jjjS8_jjjj.num_named_barrier, 0
	.set _ZL13mul_mat_vec_qIL9ggml_type19ELi1ELb0ELb0EEvPKvS2_PKi31ggml_cuda_mm_fusion_args_devicePfj15HIP_vector_typeIjLj3EEjjjS8_jjjS8_jjjj.private_seg_size, 0
	.set _ZL13mul_mat_vec_qIL9ggml_type19ELi1ELb0ELb0EEvPKvS2_PKi31ggml_cuda_mm_fusion_args_devicePfj15HIP_vector_typeIjLj3EEjjjS8_jjjS8_jjjj.uses_vcc, 1
	.set _ZL13mul_mat_vec_qIL9ggml_type19ELi1ELb0ELb0EEvPKvS2_PKi31ggml_cuda_mm_fusion_args_devicePfj15HIP_vector_typeIjLj3EEjjjS8_jjjS8_jjjj.uses_flat_scratch, 0
	.set _ZL13mul_mat_vec_qIL9ggml_type19ELi1ELb0ELb0EEvPKvS2_PKi31ggml_cuda_mm_fusion_args_devicePfj15HIP_vector_typeIjLj3EEjjjS8_jjjS8_jjjj.has_dyn_sized_stack, 0
	.set _ZL13mul_mat_vec_qIL9ggml_type19ELi1ELb0ELb0EEvPKvS2_PKi31ggml_cuda_mm_fusion_args_devicePfj15HIP_vector_typeIjLj3EEjjjS8_jjjS8_jjjj.has_recursion, 0
	.set _ZL13mul_mat_vec_qIL9ggml_type19ELi1ELb0ELb0EEvPKvS2_PKi31ggml_cuda_mm_fusion_args_devicePfj15HIP_vector_typeIjLj3EEjjjS8_jjjS8_jjjj.has_indirect_call, 0
	.section	.AMDGPU.csdata,"",@progbits
; Kernel info:
; codeLenInByte = 1428
; TotalNumSgprs: 24
; NumVgprs: 24
; ScratchSize: 0
; MemoryBound: 0
; FloatMode: 240
; IeeeMode: 1
; LDSByteSize: 0 bytes/workgroup (compile time only)
; SGPRBlocks: 0
; VGPRBlocks: 2
; NumSGPRsForWavesPerEU: 24
; NumVGPRsForWavesPerEU: 24
; Occupancy: 16
; WaveLimiterHint : 0
; COMPUTE_PGM_RSRC2:SCRATCH_EN: 0
; COMPUTE_PGM_RSRC2:USER_SGPR: 2
; COMPUTE_PGM_RSRC2:TRAP_HANDLER: 0
; COMPUTE_PGM_RSRC2:TGID_X_EN: 1
; COMPUTE_PGM_RSRC2:TGID_Y_EN: 1
; COMPUTE_PGM_RSRC2:TGID_Z_EN: 1
; COMPUTE_PGM_RSRC2:TIDIG_COMP_CNT: 1
	.section	.text._ZL13mul_mat_vec_qIL9ggml_type19ELi2ELb0ELb0EEvPKvS2_PKi31ggml_cuda_mm_fusion_args_devicePfj15HIP_vector_typeIjLj3EEjjjS8_jjjS8_jjjj,"axG",@progbits,_ZL13mul_mat_vec_qIL9ggml_type19ELi2ELb0ELb0EEvPKvS2_PKi31ggml_cuda_mm_fusion_args_devicePfj15HIP_vector_typeIjLj3EEjjjS8_jjjS8_jjjj,comdat
	.globl	_ZL13mul_mat_vec_qIL9ggml_type19ELi2ELb0ELb0EEvPKvS2_PKi31ggml_cuda_mm_fusion_args_devicePfj15HIP_vector_typeIjLj3EEjjjS8_jjjS8_jjjj ; -- Begin function _ZL13mul_mat_vec_qIL9ggml_type19ELi2ELb0ELb0EEvPKvS2_PKi31ggml_cuda_mm_fusion_args_devicePfj15HIP_vector_typeIjLj3EEjjjS8_jjjS8_jjjj
	.p2align	8
	.type	_ZL13mul_mat_vec_qIL9ggml_type19ELi2ELb0ELb0EEvPKvS2_PKi31ggml_cuda_mm_fusion_args_devicePfj15HIP_vector_typeIjLj3EEjjjS8_jjjS8_jjjj,@function
_ZL13mul_mat_vec_qIL9ggml_type19ELi2ELb0ELb0EEvPKvS2_PKi31ggml_cuda_mm_fusion_args_devicePfj15HIP_vector_typeIjLj3EEjjjS8_jjjS8_jjjj: ; @_ZL13mul_mat_vec_qIL9ggml_type19ELi2ELb0ELb0EEvPKvS2_PKi31ggml_cuda_mm_fusion_args_devicePfj15HIP_vector_typeIjLj3EEjjjS8_jjjS8_jjjj
; %bb.0:
	s_clause 0x5
	s_load_b96 s[16:18], s[0:1], 0x80
	s_load_b32 s2, s[0:1], 0x40
	s_load_b128 s[4:7], s[0:1], 0x50
	s_load_b32 s23, s[0:1], 0x60
	s_load_b128 s[8:11], s[0:1], 0x68
	s_load_b32 s24, s[0:1], 0x78
	v_bfe_u32 v6, v0, 10, 10
	v_dual_mov_b32 v5, 0 :: v_dual_and_b32 v4, 0x3ff, v0
	v_mov_b32_e32 v8, 0
	s_and_b32 s19, ttmp7, 0xffff
	s_lshr_b32 s20, ttmp7, 16
	s_delay_alu instid0(VALU_DEP_2) | instskip(SKIP_1) | instid1(VALU_DEP_1)
	v_lshl_or_b32 v0, v6, 5, v4
	s_mov_b32 s22, exec_lo
	v_lshrrev_b32_e32 v7, 3, v0
	s_wait_kmcnt 0x0
	s_lshr_b32 s21, s2, 8
	s_delay_alu instid0(VALU_DEP_1) | instid1(SALU_CYCLE_1)
	v_cmpx_gt_u32_e64 s21, v7
	s_cbranch_execz .LBB209_4
; %bb.1:
	v_lshl_add_u32 v0, v6, 5, v4
	s_mov_b32 s3, 0
	s_mul_i32 s12, s9, s19
	s_mov_b32 s13, s3
	s_mul_i32 s2, s17, s20
	v_lshrrev_b32_e32 v0, 3, v0
	s_mul_u64 s[26:27], s[12:13], 36
	s_load_b128 s[12:15], s[0:1], 0x0
	v_dual_mov_b32 v5, 0 :: v_dual_and_b32 v8, 7, v4
	s_delay_alu instid0(VALU_DEP_2)
	v_mad_co_u64_u32 v[0:1], null, 0x120, v0, s[26:27]
	s_mul_i32 s9, s4, ttmp9
	s_mul_hi_u32 s4, s7, s19
	s_mul_hi_u32 s7, s11, s20
	v_lshl_add_u32 v9, v7, 3, s5
	s_add_co_i32 s11, s19, s4
	s_mul_u64 s[4:5], s[2:3], 36
	v_mad_co_u64_u32 v[0:1], null, s2, 36, v[0:1]
	v_lshlrev_b32_e32 v10, 1, v8
	s_add_co_i32 s7, s20, s7
	s_lshr_b32 s2, s11, s23
	s_lshr_b32 s7, s7, s24
	s_wait_alu 0xfffe
	s_mul_i32 s2, s2, s8
	v_lshlrev_b32_e32 v10, 1, v10
	v_mad_co_u64_u32 v[0:1], null, v8, 36, v[0:1]
	s_wait_kmcnt 0x0
	s_add_nc_u64 s[4:5], s[14:15], s[4:5]
	v_lshlrev_b32_e32 v11, 1, v8
	s_wait_alu 0xfffe
	s_add_nc_u64 s[4:5], s[4:5], s[26:27]
	s_mul_i32 s7, s7, s16
	s_add_co_i32 s2, s2, s9
	v_add_co_u32 v2, vcc_lo, s14, v0
	s_delay_alu instid0(VALU_DEP_1) | instskip(SKIP_2) | instid1(VALU_DEP_3)
	v_add_co_ci_u32_e64 v3, null, s15, v1, vcc_lo
	s_wait_alu 0xfffe
	v_mad_co_u64_u32 v[0:1], null, v8, 36, s[4:5]
	v_add_co_u32 v2, vcc_lo, v2, 32
	s_wait_alu 0xfffd
	v_add_co_ci_u32_e64 v3, null, 0, v3, vcc_lo
	v_mov_b32_e32 v8, 0
	s_add_co_i32 s4, s7, s2
	s_mov_b32 s5, 0xb7000000
.LBB209_2:                              ; =>This Inner Loop Header: Depth=1
	s_wait_alu 0xfffe
	v_add_nc_u32_e32 v12, s4, v7
	v_mad_co_u64_u32 v[30:31], null, v9, 36, v[0:1]
	s_getpc_b64 s[8:9]
	s_sext_i32_i16 s9, s9
	s_add_co_u32 s8, s8, _ZL13iq1s_grid_gpu@rel32@lo+8
	s_add_co_ci_u32 s9, s9, _ZL13iq1s_grid_gpu@rel32@hi+16
	v_add_nc_u32_e32 v7, 4, v7
	v_mad_co_i64_i32 v[28:29], null, v12, 50, s[12:13]
	v_add_nc_u32_e32 v9, 32, v9
	s_delay_alu instid0(VALU_DEP_3) | instskip(NEXT) | instid1(VALU_DEP_3)
	v_cmp_le_u32_e64 s2, s21, v7
	v_add_co_u32 v12, vcc_lo, v28, v10
	s_wait_alu 0xfffd
	s_delay_alu instid0(VALU_DEP_4)
	v_add_co_ci_u32_e64 v13, null, 0, v29, vcc_lo
	v_add_co_u32 v14, vcc_lo, v28, v11
	s_wait_alu 0xfffd
	v_add_co_ci_u32_e64 v15, null, 0, v29, vcc_lo
	s_clause 0x1
	global_load_b32 v32, v[12:13], off offset:2
	global_load_u16 v33, v[14:15], off offset:34
	s_clause 0x1
	global_load_b128 v[12:15], v[2:3], off offset:-32
	global_load_b128 v[16:19], v[2:3], off offset:-16
	s_clause 0x1
	global_load_b128 v[20:23], v[30:31], off
	global_load_b128 v[24:27], v[30:31], off offset:16
	global_load_u16 v28, v[28:29], off
	s_or_b32 s3, s2, s3
	s_wait_loadcnt 0x6
	v_and_b32_e32 v34, 0xff, v32
	s_wait_loadcnt 0x5
	v_lshlrev_b32_e32 v35, 8, v33
	v_bfe_u32 v36, v32, 8, 8
	v_lshlrev_b32_e32 v37, 5, v33
	v_lshrrev_b32_e32 v29, 24, v32
	v_bfe_u32 v32, v32, 16, 8
	v_and_or_b32 v34, 0x700, v35, v34
	v_lshlrev_b32_e32 v38, 2, v33
	v_and_or_b32 v35, 0x700, v37, v36
	v_lshrrev_b32_e32 v36, 1, v33
	s_delay_alu instid0(VALU_DEP_4) | instskip(NEXT) | instid1(VALU_DEP_4)
	v_lshlrev_b32_e32 v34, 2, v34
	v_and_or_b32 v32, 0x700, v38, v32
	s_delay_alu instid0(VALU_DEP_4)
	v_lshlrev_b32_e32 v35, 2, v35
	s_clause 0x1
	global_load_b32 v34, v34, s[8:9]
	global_load_b32 v35, v35, s[8:9]
	v_lshlrev_b32_e32 v32, 2, v32
	v_and_or_b32 v29, 0x700, v36, v29
	global_load_b32 v32, v32, s[8:9]
	v_lshlrev_b32_e32 v29, 2, v29
	global_load_b32 v29, v29, s[8:9]
	global_load_b32 v36, v[2:3], off
	global_load_b32 v30, v[30:31], off offset:32
	v_add_co_u32 v2, vcc_lo, 0x480, v2
	s_wait_alu 0xfffd
	v_add_co_ci_u32_e64 v3, null, 0, v3, vcc_lo
	s_wait_loadcnt 0x5
	v_lshrrev_b32_e32 v31, 4, v34
	v_and_b32_e32 v34, 0xf0f0f0f, v34
	s_wait_loadcnt 0x4
	v_and_b32_e32 v37, 0xf0f0f0f, v35
	v_lshrrev_b32_e32 v35, 4, v35
	v_and_b32_e32 v31, 0xf0f0f0f, v31
	v_dot4_i32_iu8 v13, v34, v13, 0 neg_lo:[1,1,0]
	v_dot4_i32_iu8 v21, v34, v21, 0 neg_lo:[1,1,0]
	s_delay_alu instid0(VALU_DEP_2) | instskip(NEXT) | instid1(VALU_DEP_2)
	v_dot4_i32_iu8 v13, v31, v14, v13 neg_lo:[1,1,0]
	v_dot4_i32_iu8 v14, v31, v22, v21 neg_lo:[1,1,0]
	v_and_b32_e32 v22, 0xf0f0f0f, v35
	s_wait_loadcnt 0x3
	v_lshrrev_b32_e32 v31, 4, v32
	v_lshrrev_b32_e32 v21, 16, v12
	v_dot4_i32_iu8 v13, v37, v15, v13 neg_lo:[1,1,0]
	v_dot4_i32_iu8 v14, v37, v23, v14 neg_lo:[1,1,0]
	v_and_b32_e32 v23, 0xf0f0f0f, v32
	v_lshrrev_b32_e32 v15, 16, v20
	v_cvt_f32_f16_e32 v21, v21
	v_dot4_i32_iu8 v13, v22, v16, v13 neg_lo:[1,1,0]
	v_dot4_i32_iu8 v14, v22, v24, v14 neg_lo:[1,1,0]
	v_and_b32_e32 v22, 0xf0f0f0f, v31
	s_wait_loadcnt 0x2
	v_lshrrev_b32_e32 v24, 4, v29
	v_cvt_f32_f16_e32 v15, v15
	v_dot4_i32_iu8 v13, v23, v17, v13 neg_lo:[1,1,0]
	v_dot4_i32_iu8 v14, v23, v25, v14 neg_lo:[1,1,0]
	v_and_b32_e32 v17, 0x8000, v33
	v_and_b32_e32 v23, 0xf0f0f0f, v29
	v_cvt_f32_f16_e32 v16, v28
	v_dot4_i32_iu8 v13, v22, v18, v13 neg_lo:[1,1,0]
	v_dot4_i32_iu8 v14, v22, v26, v14 neg_lo:[1,1,0]
	v_lshrrev_b32_e32 v18, 11, v33
	v_cvt_f32_u32_e32 v17, v17
	v_and_b32_e32 v22, 0xf0f0f0f, v24
	v_dot4_i32_iu8 v13, v23, v19, v13 neg_lo:[1,1,0]
	v_dot4_i32_iu8 v14, v23, v27, v14 neg_lo:[1,1,0]
	v_and_or_b32 v18, v18, 14, 1
	v_fmaak_f32 v17, s5, v17, 0xbf600000
	s_wait_loadcnt 0x1
	v_dot4_i32_iu8 v13, v22, v36, v13 neg_lo:[1,1,0]
	s_wait_loadcnt 0x0
	v_dot4_i32_iu8 v14, v22, v30, v14 neg_lo:[1,1,0]
	v_cvt_f32_ubyte0_e32 v18, v18
	v_mul_f32_e32 v19, v17, v21
	v_mul_f32_e32 v15, v17, v15
	v_cvt_f32_i32_e32 v13, v13
	v_cvt_f32_i32_e32 v14, v14
	v_mul_f32_e32 v16, v18, v16
	s_delay_alu instid0(VALU_DEP_3) | instskip(NEXT) | instid1(VALU_DEP_3)
	v_fma_mix_f32 v12, v13, v12, v19 op_sel_hi:[0,1,0]
	v_fma_mix_f32 v13, v14, v20, v15 op_sel_hi:[0,1,0]
	s_delay_alu instid0(VALU_DEP_2) | instskip(NEXT) | instid1(VALU_DEP_2)
	v_fmac_f32_e32 v8, v16, v12
	v_fmac_f32_e32 v5, v16, v13
	s_wait_alu 0xfffe
	s_and_not1_b32 exec_lo, exec_lo, s3
	s_cbranch_execnz .LBB209_2
; %bb.3:
	s_or_b32 exec_lo, exec_lo, s3
.LBB209_4:
	s_delay_alu instid0(SALU_CYCLE_1)
	s_or_b32 exec_lo, exec_lo, s22
	s_mov_b32 s3, 0
	; wave barrier
	global_inv scope:SCOPE_SE
	s_mov_b32 s2, exec_lo
	v_cmpx_eq_u32_e32 0, v6
	s_cbranch_execz .LBB209_9
; %bb.5:
	v_mbcnt_lo_u32_b32 v6, -1, 0
	s_load_b64 s[0:1], s[0:1], 0x38
	s_mul_i32 s2, s10, s19
	s_mul_i32 s4, s18, s20
	s_wait_alu 0xfffe
	s_add_co_i32 s2, s2, ttmp9
	v_xor_b32_e32 v0, 16, v6
	v_xor_b32_e32 v1, 8, v6
	;; [unrolled: 1-line block ×3, first 2 shown]
	s_wait_alu 0xfffe
	s_add_co_i32 s2, s2, s4
	s_wait_alu 0xfffe
	s_lshl_b64 s[2:3], s[2:3], 2
	v_cmp_gt_i32_e32 vcc_lo, 32, v0
	s_wait_alu 0xfffd
	v_cndmask_b32_e32 v0, v6, v0, vcc_lo
	v_cmp_gt_i32_e32 vcc_lo, 32, v1
	s_wait_kmcnt 0x0
	s_wait_alu 0xfffe
	s_add_nc_u64 s[0:1], s[0:1], s[2:3]
	s_wait_alu 0xfffd
	v_cndmask_b32_e32 v1, v6, v1, vcc_lo
	s_delay_alu instid0(VALU_DEP_1)
	v_lshlrev_b32_e32 v1, 2, v1
	v_lshlrev_b32_e32 v0, 2, v0
	ds_bpermute_b32 v2, v0, v8
	s_wait_dscnt 0x0
	v_add_f32_e32 v3, v8, v2
	v_xor_b32_e32 v2, 4, v6
	ds_bpermute_b32 v7, v1, v3
	v_cmp_gt_i32_e32 vcc_lo, 32, v2
	s_wait_dscnt 0x0
	s_wait_alu 0xfffd
	v_dual_cndmask_b32 v2, v6, v2 :: v_dual_add_f32 v7, v3, v7
	s_delay_alu instid0(VALU_DEP_1)
	v_lshlrev_b32_e32 v2, 2, v2
	v_xor_b32_e32 v3, 2, v6
	ds_bpermute_b32 v8, v2, v7
	v_cmp_gt_i32_e32 vcc_lo, 32, v3
	s_wait_alu 0xfffd
	v_cndmask_b32_e32 v3, v6, v3, vcc_lo
	v_cmp_gt_i32_e32 vcc_lo, 32, v9
	s_wait_alu 0xfffd
	v_cndmask_b32_e32 v6, v6, v9, vcc_lo
	v_cmp_eq_u32_e32 vcc_lo, 0, v4
	s_delay_alu instid0(VALU_DEP_2)
	v_lshlrev_b32_e32 v6, 2, v6
	v_lshlrev_b32_e32 v3, 2, v3
	s_wait_dscnt 0x0
	v_add_f32_e32 v7, v7, v8
	ds_bpermute_b32 v8, v3, v7
	s_wait_dscnt 0x0
	v_add_f32_e32 v7, v7, v8
	ds_bpermute_b32 v8, v6, v7
	s_and_saveexec_b32 s2, vcc_lo
	s_cbranch_execz .LBB209_7
; %bb.6:
	s_wait_dscnt 0x0
	v_dual_add_f32 v4, v7, v8 :: v_dual_mov_b32 v7, 0
	global_store_b32 v7, v4, s[0:1]
.LBB209_7:
	s_wait_alu 0xfffe
	s_or_b32 exec_lo, exec_lo, s2
	ds_bpermute_b32 v0, v0, v5
	s_wait_dscnt 0x0
	v_add_f32_e32 v0, v5, v0
	ds_bpermute_b32 v1, v1, v0
	s_wait_dscnt 0x0
	v_add_f32_e32 v0, v0, v1
	;; [unrolled: 3-line block ×4, first 2 shown]
	ds_bpermute_b32 v1, v6, v0
	s_and_b32 exec_lo, exec_lo, vcc_lo
	s_cbranch_execz .LBB209_9
; %bb.8:
	s_mov_b32 s7, 0
	s_wait_dscnt 0x0
	v_dual_add_f32 v0, v0, v1 :: v_dual_mov_b32 v1, 0
	s_lshl_b64 s[2:3], s[6:7], 2
	s_wait_alu 0xfffe
	s_add_nc_u64 s[0:1], s[0:1], s[2:3]
	global_store_b32 v1, v0, s[0:1]
.LBB209_9:
	s_endpgm
	.section	.rodata,"a",@progbits
	.p2align	6, 0x0
	.amdhsa_kernel _ZL13mul_mat_vec_qIL9ggml_type19ELi2ELb0ELb0EEvPKvS2_PKi31ggml_cuda_mm_fusion_args_devicePfj15HIP_vector_typeIjLj3EEjjjS8_jjjS8_jjjj
		.amdhsa_group_segment_fixed_size 0
		.amdhsa_private_segment_fixed_size 0
		.amdhsa_kernarg_size 144
		.amdhsa_user_sgpr_count 2
		.amdhsa_user_sgpr_dispatch_ptr 0
		.amdhsa_user_sgpr_queue_ptr 0
		.amdhsa_user_sgpr_kernarg_segment_ptr 1
		.amdhsa_user_sgpr_dispatch_id 0
		.amdhsa_user_sgpr_private_segment_size 0
		.amdhsa_wavefront_size32 1
		.amdhsa_uses_dynamic_stack 0
		.amdhsa_enable_private_segment 0
		.amdhsa_system_sgpr_workgroup_id_x 1
		.amdhsa_system_sgpr_workgroup_id_y 1
		.amdhsa_system_sgpr_workgroup_id_z 1
		.amdhsa_system_sgpr_workgroup_info 0
		.amdhsa_system_vgpr_workitem_id 1
		.amdhsa_next_free_vgpr 39
		.amdhsa_next_free_sgpr 28
		.amdhsa_reserve_vcc 1
		.amdhsa_float_round_mode_32 0
		.amdhsa_float_round_mode_16_64 0
		.amdhsa_float_denorm_mode_32 3
		.amdhsa_float_denorm_mode_16_64 3
		.amdhsa_fp16_overflow 0
		.amdhsa_workgroup_processor_mode 1
		.amdhsa_memory_ordered 1
		.amdhsa_forward_progress 1
		.amdhsa_inst_pref_size 13
		.amdhsa_round_robin_scheduling 0
		.amdhsa_exception_fp_ieee_invalid_op 0
		.amdhsa_exception_fp_denorm_src 0
		.amdhsa_exception_fp_ieee_div_zero 0
		.amdhsa_exception_fp_ieee_overflow 0
		.amdhsa_exception_fp_ieee_underflow 0
		.amdhsa_exception_fp_ieee_inexact 0
		.amdhsa_exception_int_div_zero 0
	.end_amdhsa_kernel
	.section	.text._ZL13mul_mat_vec_qIL9ggml_type19ELi2ELb0ELb0EEvPKvS2_PKi31ggml_cuda_mm_fusion_args_devicePfj15HIP_vector_typeIjLj3EEjjjS8_jjjS8_jjjj,"axG",@progbits,_ZL13mul_mat_vec_qIL9ggml_type19ELi2ELb0ELb0EEvPKvS2_PKi31ggml_cuda_mm_fusion_args_devicePfj15HIP_vector_typeIjLj3EEjjjS8_jjjS8_jjjj,comdat
.Lfunc_end209:
	.size	_ZL13mul_mat_vec_qIL9ggml_type19ELi2ELb0ELb0EEvPKvS2_PKi31ggml_cuda_mm_fusion_args_devicePfj15HIP_vector_typeIjLj3EEjjjS8_jjjS8_jjjj, .Lfunc_end209-_ZL13mul_mat_vec_qIL9ggml_type19ELi2ELb0ELb0EEvPKvS2_PKi31ggml_cuda_mm_fusion_args_devicePfj15HIP_vector_typeIjLj3EEjjjS8_jjjS8_jjjj
                                        ; -- End function
	.set _ZL13mul_mat_vec_qIL9ggml_type19ELi2ELb0ELb0EEvPKvS2_PKi31ggml_cuda_mm_fusion_args_devicePfj15HIP_vector_typeIjLj3EEjjjS8_jjjS8_jjjj.num_vgpr, 39
	.set _ZL13mul_mat_vec_qIL9ggml_type19ELi2ELb0ELb0EEvPKvS2_PKi31ggml_cuda_mm_fusion_args_devicePfj15HIP_vector_typeIjLj3EEjjjS8_jjjS8_jjjj.num_agpr, 0
	.set _ZL13mul_mat_vec_qIL9ggml_type19ELi2ELb0ELb0EEvPKvS2_PKi31ggml_cuda_mm_fusion_args_devicePfj15HIP_vector_typeIjLj3EEjjjS8_jjjS8_jjjj.numbered_sgpr, 28
	.set _ZL13mul_mat_vec_qIL9ggml_type19ELi2ELb0ELb0EEvPKvS2_PKi31ggml_cuda_mm_fusion_args_devicePfj15HIP_vector_typeIjLj3EEjjjS8_jjjS8_jjjj.num_named_barrier, 0
	.set _ZL13mul_mat_vec_qIL9ggml_type19ELi2ELb0ELb0EEvPKvS2_PKi31ggml_cuda_mm_fusion_args_devicePfj15HIP_vector_typeIjLj3EEjjjS8_jjjS8_jjjj.private_seg_size, 0
	.set _ZL13mul_mat_vec_qIL9ggml_type19ELi2ELb0ELb0EEvPKvS2_PKi31ggml_cuda_mm_fusion_args_devicePfj15HIP_vector_typeIjLj3EEjjjS8_jjjS8_jjjj.uses_vcc, 1
	.set _ZL13mul_mat_vec_qIL9ggml_type19ELi2ELb0ELb0EEvPKvS2_PKi31ggml_cuda_mm_fusion_args_devicePfj15HIP_vector_typeIjLj3EEjjjS8_jjjS8_jjjj.uses_flat_scratch, 0
	.set _ZL13mul_mat_vec_qIL9ggml_type19ELi2ELb0ELb0EEvPKvS2_PKi31ggml_cuda_mm_fusion_args_devicePfj15HIP_vector_typeIjLj3EEjjjS8_jjjS8_jjjj.has_dyn_sized_stack, 0
	.set _ZL13mul_mat_vec_qIL9ggml_type19ELi2ELb0ELb0EEvPKvS2_PKi31ggml_cuda_mm_fusion_args_devicePfj15HIP_vector_typeIjLj3EEjjjS8_jjjS8_jjjj.has_recursion, 0
	.set _ZL13mul_mat_vec_qIL9ggml_type19ELi2ELb0ELb0EEvPKvS2_PKi31ggml_cuda_mm_fusion_args_devicePfj15HIP_vector_typeIjLj3EEjjjS8_jjjS8_jjjj.has_indirect_call, 0
	.section	.AMDGPU.csdata,"",@progbits
; Kernel info:
; codeLenInByte = 1608
; TotalNumSgprs: 30
; NumVgprs: 39
; ScratchSize: 0
; MemoryBound: 0
; FloatMode: 240
; IeeeMode: 1
; LDSByteSize: 0 bytes/workgroup (compile time only)
; SGPRBlocks: 0
; VGPRBlocks: 4
; NumSGPRsForWavesPerEU: 30
; NumVGPRsForWavesPerEU: 39
; Occupancy: 16
; WaveLimiterHint : 0
; COMPUTE_PGM_RSRC2:SCRATCH_EN: 0
; COMPUTE_PGM_RSRC2:USER_SGPR: 2
; COMPUTE_PGM_RSRC2:TRAP_HANDLER: 0
; COMPUTE_PGM_RSRC2:TGID_X_EN: 1
; COMPUTE_PGM_RSRC2:TGID_Y_EN: 1
; COMPUTE_PGM_RSRC2:TGID_Z_EN: 1
; COMPUTE_PGM_RSRC2:TIDIG_COMP_CNT: 1
	.section	.text._ZL13mul_mat_vec_qIL9ggml_type19ELi3ELb0ELb0EEvPKvS2_PKi31ggml_cuda_mm_fusion_args_devicePfj15HIP_vector_typeIjLj3EEjjjS8_jjjS8_jjjj,"axG",@progbits,_ZL13mul_mat_vec_qIL9ggml_type19ELi3ELb0ELb0EEvPKvS2_PKi31ggml_cuda_mm_fusion_args_devicePfj15HIP_vector_typeIjLj3EEjjjS8_jjjS8_jjjj,comdat
	.globl	_ZL13mul_mat_vec_qIL9ggml_type19ELi3ELb0ELb0EEvPKvS2_PKi31ggml_cuda_mm_fusion_args_devicePfj15HIP_vector_typeIjLj3EEjjjS8_jjjS8_jjjj ; -- Begin function _ZL13mul_mat_vec_qIL9ggml_type19ELi3ELb0ELb0EEvPKvS2_PKi31ggml_cuda_mm_fusion_args_devicePfj15HIP_vector_typeIjLj3EEjjjS8_jjjS8_jjjj
	.p2align	8
	.type	_ZL13mul_mat_vec_qIL9ggml_type19ELi3ELb0ELb0EEvPKvS2_PKi31ggml_cuda_mm_fusion_args_devicePfj15HIP_vector_typeIjLj3EEjjjS8_jjjS8_jjjj,@function
_ZL13mul_mat_vec_qIL9ggml_type19ELi3ELb0ELb0EEvPKvS2_PKi31ggml_cuda_mm_fusion_args_devicePfj15HIP_vector_typeIjLj3EEjjjS8_jjjS8_jjjj: ; @_ZL13mul_mat_vec_qIL9ggml_type19ELi3ELb0ELb0EEvPKvS2_PKi31ggml_cuda_mm_fusion_args_devicePfj15HIP_vector_typeIjLj3EEjjjS8_jjjS8_jjjj
; %bb.0:
	s_clause 0x5
	s_load_b96 s[16:18], s[0:1], 0x80
	s_load_b32 s3, s[0:1], 0x40
	s_load_b128 s[4:7], s[0:1], 0x50
	s_load_b32 s2, s[0:1], 0x60
	s_load_b128 s[8:11], s[0:1], 0x68
	s_load_b32 s23, s[0:1], 0x78
	v_bfe_u32 v6, v0, 10, 10
	v_dual_mov_b32 v5, 0 :: v_dual_and_b32 v4, 0x3ff, v0
	v_mov_b32_e32 v7, 0
	v_mov_b32_e32 v9, 0
	s_and_b32 s19, ttmp7, 0xffff
	s_delay_alu instid0(VALU_DEP_3) | instskip(SKIP_2) | instid1(VALU_DEP_1)
	v_lshl_or_b32 v0, v6, 5, v4
	s_lshr_b32 s20, ttmp7, 16
	s_mov_b32 s21, exec_lo
	v_lshrrev_b32_e32 v8, 3, v0
	s_wait_kmcnt 0x0
	s_lshr_b32 s22, s3, 8
	s_delay_alu instid0(VALU_DEP_1) | instid1(SALU_CYCLE_1)
	v_cmpx_gt_u32_e64 s22, v8
	s_cbranch_execz .LBB210_4
; %bb.1:
	v_lshl_add_u32 v0, v6, 5, v4
	s_mov_b32 s3, 0
	s_mul_i32 s24, s9, s19
	s_mov_b32 s25, s3
	s_mul_hi_u32 s7, s7, s19
	v_lshrrev_b32_e32 v0, 3, v0
	s_mul_u64 s[24:25], s[24:25], 36
	s_add_co_i32 s7, s19, s7
	s_load_b128 s[12:15], s[0:1], 0x0
	s_lshr_b32 s2, s7, s2
	v_mad_co_u64_u32 v[0:1], null, 0x120, v0, s[24:25]
	s_mul_i32 s7, s2, s8
	s_mul_i32 s2, s17, s20
	v_and_b32_e32 v7, 7, v4
	s_mul_u64 s[8:9], s[2:3], 36
	s_mul_hi_u32 s11, s11, s20
	v_lshlrev_b32_e32 v9, 3, v8
	v_mad_co_u64_u32 v[0:1], null, s2, 36, v[0:1]
	v_dual_mov_b32 v5, 0 :: v_dual_lshlrev_b32 v12, 1, v7
	s_add_co_i32 s11, s20, s11
	s_mul_i32 s4, s4, ttmp9
	s_lshr_b32 s2, s11, s23
	v_add_nc_u32_e32 v10, s5, v9
	s_delay_alu instid0(VALU_DEP_3)
	v_mad_co_u64_u32 v[2:3], null, v7, 36, v[0:1]
	s_wait_kmcnt 0x0
	s_add_nc_u64 s[8:9], s[14:15], s[8:9]
	v_lshl_add_u32 v11, s5, 1, v9
	s_add_nc_u64 s[8:9], s[8:9], s[24:25]
	v_dual_mov_b32 v9, 0 :: v_dual_lshlrev_b32 v12, 1, v12
	v_mad_co_u64_u32 v[0:1], null, v7, 36, s[8:9]
	s_delay_alu instid0(VALU_DEP_4) | instskip(NEXT) | instid1(VALU_DEP_1)
	v_add_co_u32 v2, vcc_lo, s14, v2
	v_add_co_ci_u32_e64 v3, null, s15, v3, vcc_lo
	v_lshlrev_b32_e32 v13, 1, v7
	s_delay_alu instid0(VALU_DEP_3) | instskip(SKIP_1) | instid1(VALU_DEP_3)
	v_add_co_u32 v2, vcc_lo, v2, 16
	s_wait_alu 0xfffd
	v_add_co_ci_u32_e64 v3, null, 0, v3, vcc_lo
	v_mov_b32_e32 v7, 0
	s_wait_alu 0xfffe
	s_mul_i32 s2, s2, s16
	s_add_co_i32 s7, s7, s4
	s_mov_b32 s4, 0xb7000000
	s_wait_alu 0xfffe
	s_add_co_i32 s2, s2, s7
.LBB210_2:                              ; =>This Inner Loop Header: Depth=1
	s_wait_alu 0xfffe
	v_add_nc_u32_e32 v14, s2, v8
	v_mad_co_u64_u32 v[30:31], null, v10, 36, v[0:1]
	v_mad_co_u64_u32 v[34:35], null, v11, 36, v[0:1]
	s_delay_alu instid0(VALU_DEP_3)
	v_mad_co_i64_i32 v[38:39], null, v14, 50, s[12:13]
	s_getpc_b64 s[8:9]
	s_wait_alu 0xfffe
	s_sext_i32_i16 s9, s9
	s_add_co_u32 s8, s8, _ZL13iq1s_grid_gpu@rel32@lo+12
	s_wait_alu 0xfffe
	s_add_co_ci_u32 s9, s9, _ZL13iq1s_grid_gpu@rel32@hi+24
	v_add_nc_u32_e32 v8, 4, v8
	v_add_nc_u32_e32 v11, 32, v11
	v_add_co_u32 v14, vcc_lo, v38, v12
	s_wait_alu 0xfffd
	v_add_co_ci_u32_e64 v15, null, 0, v39, vcc_lo
	v_add_co_u32 v16, vcc_lo, v38, v13
	s_wait_alu 0xfffd
	v_add_co_ci_u32_e64 v17, null, 0, v39, vcc_lo
	s_clause 0x1
	global_load_b32 v40, v[14:15], off offset:2
	global_load_u16 v41, v[16:17], off offset:34
	s_clause 0x1
	global_load_b128 v[14:17], v[2:3], off offset:-16
	global_load_b128 v[18:21], v[2:3], off
	s_clause 0x5
	global_load_b128 v[22:25], v[30:31], off
	global_load_b128 v[26:29], v[30:31], off offset:16
	global_load_b32 v42, v[30:31], off offset:32
	global_load_b128 v[30:33], v[34:35], off
	global_load_b32 v43, v[34:35], off offset:32
	global_load_b128 v[34:37], v[34:35], off offset:16
	global_load_u16 v38, v[38:39], off
	s_wait_loadcnt 0xa
	v_and_b32_e32 v44, 0xff, v40
	s_wait_loadcnt 0x9
	v_and_b32_e32 v50, 0x8000, v41
	v_bfe_u32 v46, v40, 8, 8
	s_wait_loadcnt 0x0
	v_cvt_f32_f16_e32 v38, v38
	v_lshlrev_b32_e32 v47, 5, v41
	v_lshrrev_b32_e32 v39, 24, v40
	v_cvt_f32_u32_e32 v50, v50
	v_lshlrev_b32_e32 v45, 8, v41
	v_bfe_u32 v40, v40, 16, 8
	v_lshlrev_b32_e32 v48, 2, v41
	v_lshrrev_b32_e32 v49, 1, v41
	v_fmaak_f32 v50, s4, v50, 0xbf600000
	v_and_or_b32 v44, 0x700, v45, v44
	v_and_or_b32 v45, 0x700, v47, v46
	;; [unrolled: 1-line block ×4, first 2 shown]
	v_lshrrev_b32_e32 v49, 16, v30
	v_lshlrev_b32_e32 v44, 2, v44
	v_lshlrev_b32_e32 v45, 2, v45
	;; [unrolled: 1-line block ×3, first 2 shown]
	v_lshrrev_b32_e32 v47, 16, v14
	v_cvt_f32_f16_e32 v49, v49
	v_lshlrev_b32_e32 v39, 2, v39
	s_clause 0x3
	global_load_b32 v44, v44, s[8:9]
	global_load_b32 v45, v45, s[8:9]
	;; [unrolled: 1-line block ×4, first 2 shown]
	global_load_b32 v46, v[2:3], off offset:16
	v_lshrrev_b32_e32 v48, 16, v22
	v_lshrrev_b32_e32 v41, 11, v41
	v_cvt_f32_f16_e32 v47, v47
	v_add_co_u32 v2, vcc_lo, 0x480, v2
	s_delay_alu instid0(VALU_DEP_4) | instskip(NEXT) | instid1(VALU_DEP_4)
	v_cvt_f32_f16_e32 v48, v48
	v_and_or_b32 v41, v41, 14, 1
	s_delay_alu instid0(VALU_DEP_4) | instskip(SKIP_2) | instid1(VALU_DEP_3)
	v_dual_mul_f32 v47, v50, v47 :: v_dual_add_nc_u32 v10, 32, v10
	s_wait_alu 0xfffd
	v_add_co_ci_u32_e64 v3, null, 0, v3, vcc_lo
	v_cvt_f32_ubyte0_e32 v41, v41
	v_cmp_le_u32_e32 vcc_lo, s22, v8
	s_or_b32 s3, vcc_lo, s3
	s_wait_loadcnt 0x4
	v_lshrrev_b32_e32 v51, 4, v44
	v_and_b32_e32 v44, 0xf0f0f0f, v44
	s_wait_loadcnt 0x3
	v_and_b32_e32 v52, 0xf0f0f0f, v45
	v_lshrrev_b32_e32 v45, 4, v45
	s_wait_loadcnt 0x2
	v_and_b32_e32 v53, 0xf0f0f0f, v40
	v_and_b32_e32 v51, 0xf0f0f0f, v51
	v_dot4_i32_iu8 v15, v44, v15, 0 neg_lo:[1,1,0]
	v_dot4_i32_iu8 v23, v44, v23, 0 neg_lo:[1,1,0]
	;; [unrolled: 1-line block ×3, first 2 shown]
	v_lshrrev_b32_e32 v40, 4, v40
	s_delay_alu instid0(VALU_DEP_4) | instskip(NEXT) | instid1(VALU_DEP_4)
	v_dot4_i32_iu8 v15, v51, v16, v15 neg_lo:[1,1,0]
	v_dot4_i32_iu8 v16, v51, v24, v23 neg_lo:[1,1,0]
	s_delay_alu instid0(VALU_DEP_4) | instskip(SKIP_1) | instid1(VALU_DEP_4)
	v_dot4_i32_iu8 v23, v51, v32, v31 neg_lo:[1,1,0]
	v_and_b32_e32 v24, 0xf0f0f0f, v45
	v_dot4_i32_iu8 v15, v52, v17, v15 neg_lo:[1,1,0]
	s_delay_alu instid0(VALU_DEP_4) | instskip(NEXT) | instid1(VALU_DEP_4)
	v_dot4_i32_iu8 v16, v52, v25, v16 neg_lo:[1,1,0]
	v_dot4_i32_iu8 v17, v52, v33, v23 neg_lo:[1,1,0]
	s_wait_loadcnt 0x1
	v_and_b32_e32 v23, 0xf0f0f0f, v39
	v_dot4_i32_iu8 v15, v24, v18, v15 neg_lo:[1,1,0]
	v_dot4_i32_iu8 v16, v24, v26, v16 neg_lo:[1,1,0]
	;; [unrolled: 1-line block ×3, first 2 shown]
	v_and_b32_e32 v18, 0xf0f0f0f, v40
	s_delay_alu instid0(VALU_DEP_4) | instskip(NEXT) | instid1(VALU_DEP_4)
	v_dot4_i32_iu8 v15, v53, v19, v15 neg_lo:[1,1,0]
	v_dot4_i32_iu8 v16, v53, v27, v16 neg_lo:[1,1,0]
	s_delay_alu instid0(VALU_DEP_4) | instskip(SKIP_1) | instid1(VALU_DEP_4)
	v_dot4_i32_iu8 v17, v53, v35, v17 neg_lo:[1,1,0]
	v_lshrrev_b32_e32 v19, 4, v39
	v_dot4_i32_iu8 v15, v18, v20, v15 neg_lo:[1,1,0]
	s_delay_alu instid0(VALU_DEP_4) | instskip(NEXT) | instid1(VALU_DEP_4)
	v_dot4_i32_iu8 v16, v18, v28, v16 neg_lo:[1,1,0]
	v_dot4_i32_iu8 v17, v18, v36, v17 neg_lo:[1,1,0]
	s_delay_alu instid0(VALU_DEP_4) | instskip(NEXT) | instid1(VALU_DEP_4)
	v_dual_mul_f32 v19, v50, v48 :: v_dual_and_b32 v18, 0xf0f0f0f, v19
	v_dot4_i32_iu8 v15, v23, v21, v15 neg_lo:[1,1,0]
	s_delay_alu instid0(VALU_DEP_4) | instskip(NEXT) | instid1(VALU_DEP_4)
	v_dot4_i32_iu8 v16, v23, v29, v16 neg_lo:[1,1,0]
	v_dot4_i32_iu8 v17, v23, v37, v17 neg_lo:[1,1,0]
	v_mul_f32_e32 v20, v41, v38
	s_wait_loadcnt 0x0
	v_dot4_i32_iu8 v15, v18, v46, v15 neg_lo:[1,1,0]
	v_dot4_i32_iu8 v16, v18, v42, v16 neg_lo:[1,1,0]
	;; [unrolled: 1-line block ×3, first 2 shown]
	v_mul_f32_e32 v18, v50, v49
	s_delay_alu instid0(VALU_DEP_4) | instskip(NEXT) | instid1(VALU_DEP_4)
	v_cvt_f32_i32_e32 v15, v15
	v_cvt_f32_i32_e32 v16, v16
	s_delay_alu instid0(VALU_DEP_4) | instskip(NEXT) | instid1(VALU_DEP_3)
	v_cvt_f32_i32_e32 v17, v17
	v_fma_mix_f32 v14, v15, v14, v47 op_sel_hi:[0,1,0]
	s_delay_alu instid0(VALU_DEP_3) | instskip(NEXT) | instid1(VALU_DEP_3)
	v_fma_mix_f32 v15, v16, v22, v19 op_sel_hi:[0,1,0]
	v_fma_mix_f32 v16, v17, v30, v18 op_sel_hi:[0,1,0]
	s_delay_alu instid0(VALU_DEP_3) | instskip(NEXT) | instid1(VALU_DEP_3)
	v_fmac_f32_e32 v9, v20, v14
	v_fmac_f32_e32 v7, v20, v15
	s_delay_alu instid0(VALU_DEP_3)
	v_fmac_f32_e32 v5, v20, v16
	s_wait_alu 0xfffe
	s_and_not1_b32 exec_lo, exec_lo, s3
	s_cbranch_execnz .LBB210_2
; %bb.3:
	s_or_b32 exec_lo, exec_lo, s3
.LBB210_4:
	s_delay_alu instid0(SALU_CYCLE_1)
	s_or_b32 exec_lo, exec_lo, s21
	s_mov_b32 s3, 0
	; wave barrier
	global_inv scope:SCOPE_SE
	s_mov_b32 s2, exec_lo
	v_cmpx_eq_u32_e32 0, v6
	s_cbranch_execz .LBB210_11
; %bb.5:
	v_mbcnt_lo_u32_b32 v6, -1, 0
	s_load_b64 s[0:1], s[0:1], 0x38
	s_mul_i32 s2, s10, s19
	s_mul_i32 s4, s18, s20
	s_wait_alu 0xfffe
	s_add_co_i32 s2, s2, ttmp9
	v_xor_b32_e32 v0, 16, v6
	v_xor_b32_e32 v1, 8, v6
	;; [unrolled: 1-line block ×3, first 2 shown]
	s_wait_alu 0xfffe
	s_add_co_i32 s2, s2, s4
	s_wait_alu 0xfffe
	s_lshl_b64 s[2:3], s[2:3], 2
	v_cmp_gt_i32_e32 vcc_lo, 32, v0
	s_wait_alu 0xfffd
	v_cndmask_b32_e32 v0, v6, v0, vcc_lo
	v_cmp_gt_i32_e32 vcc_lo, 32, v1
	s_wait_kmcnt 0x0
	s_wait_alu 0xfffe
	s_add_nc_u64 s[0:1], s[0:1], s[2:3]
	s_wait_alu 0xfffd
	v_cndmask_b32_e32 v1, v6, v1, vcc_lo
	s_delay_alu instid0(VALU_DEP_1)
	v_lshlrev_b32_e32 v1, 2, v1
	v_lshlrev_b32_e32 v0, 2, v0
	ds_bpermute_b32 v2, v0, v9
	s_wait_dscnt 0x0
	v_add_f32_e32 v3, v9, v2
	v_xor_b32_e32 v2, 4, v6
	ds_bpermute_b32 v8, v1, v3
	v_cmp_gt_i32_e32 vcc_lo, 32, v2
	s_wait_alu 0xfffd
	v_cndmask_b32_e32 v2, v6, v2, vcc_lo
	s_wait_dscnt 0x0
	v_add_f32_e32 v8, v3, v8
	v_xor_b32_e32 v3, 2, v6
	s_delay_alu instid0(VALU_DEP_1) | instskip(SKIP_3) | instid1(VALU_DEP_2)
	v_cmp_gt_i32_e32 vcc_lo, 32, v3
	s_wait_alu 0xfffd
	v_cndmask_b32_e32 v3, v6, v3, vcc_lo
	v_cmp_gt_i32_e32 vcc_lo, 32, v10
	v_lshlrev_b32_e32 v3, 2, v3
	v_lshlrev_b32_e32 v2, 2, v2
	s_wait_alu 0xfffd
	v_cndmask_b32_e32 v6, v6, v10, vcc_lo
	v_cmp_eq_u32_e32 vcc_lo, 0, v4
	ds_bpermute_b32 v9, v2, v8
	v_lshlrev_b32_e32 v6, 2, v6
	s_wait_dscnt 0x0
	v_add_f32_e32 v8, v8, v9
	ds_bpermute_b32 v9, v3, v8
	s_wait_dscnt 0x0
	v_add_f32_e32 v8, v8, v9
	ds_bpermute_b32 v9, v6, v8
	s_and_saveexec_b32 s2, vcc_lo
	s_cbranch_execz .LBB210_7
; %bb.6:
	s_wait_dscnt 0x0
	v_add_f32_e32 v4, v8, v9
	v_mov_b32_e32 v8, 0
	global_store_b32 v8, v4, s[0:1]
.LBB210_7:
	s_wait_alu 0xfffe
	s_or_b32 exec_lo, exec_lo, s2
	ds_bpermute_b32 v4, v0, v7
	s_wait_dscnt 0x0
	v_add_f32_e32 v4, v7, v4
	ds_bpermute_b32 v7, v1, v4
	s_wait_dscnt 0x0
	v_add_f32_e32 v4, v4, v7
	;; [unrolled: 3-line block ×4, first 2 shown]
	ds_bpermute_b32 v7, v6, v4
	s_and_saveexec_b32 s2, vcc_lo
	s_cbranch_execz .LBB210_9
; %bb.8:
	s_mov_b32 s7, 0
	s_wait_dscnt 0x0
	v_dual_add_f32 v4, v4, v7 :: v_dual_mov_b32 v7, 0
	s_lshl_b64 s[4:5], s[6:7], 2
	s_wait_alu 0xfffe
	s_add_nc_u64 s[4:5], s[0:1], s[4:5]
	global_store_b32 v7, v4, s[4:5]
.LBB210_9:
	s_wait_alu 0xfffe
	s_or_b32 exec_lo, exec_lo, s2
	ds_bpermute_b32 v0, v0, v5
	s_wait_dscnt 0x0
	v_add_f32_e32 v0, v5, v0
	ds_bpermute_b32 v1, v1, v0
	s_wait_dscnt 0x0
	v_add_f32_e32 v0, v0, v1
	ds_bpermute_b32 v1, v2, v0
	s_wait_dscnt 0x0
	v_add_f32_e32 v0, v0, v1
	ds_bpermute_b32 v1, v3, v0
	s_wait_dscnt 0x0
	v_add_f32_e32 v0, v0, v1
	ds_bpermute_b32 v1, v6, v0
	s_and_b32 exec_lo, exec_lo, vcc_lo
	s_cbranch_execz .LBB210_11
; %bb.10:
	s_lshl_b32 s2, s6, 1
	s_mov_b32 s3, 0
	s_wait_dscnt 0x0
	v_dual_add_f32 v0, v0, v1 :: v_dual_mov_b32 v1, 0
	s_wait_alu 0xfffe
	s_lshl_b64 s[2:3], s[2:3], 2
	s_wait_alu 0xfffe
	s_add_nc_u64 s[0:1], s[0:1], s[2:3]
	global_store_b32 v1, v0, s[0:1]
.LBB210_11:
	s_endpgm
	.section	.rodata,"a",@progbits
	.p2align	6, 0x0
	.amdhsa_kernel _ZL13mul_mat_vec_qIL9ggml_type19ELi3ELb0ELb0EEvPKvS2_PKi31ggml_cuda_mm_fusion_args_devicePfj15HIP_vector_typeIjLj3EEjjjS8_jjjS8_jjjj
		.amdhsa_group_segment_fixed_size 0
		.amdhsa_private_segment_fixed_size 0
		.amdhsa_kernarg_size 144
		.amdhsa_user_sgpr_count 2
		.amdhsa_user_sgpr_dispatch_ptr 0
		.amdhsa_user_sgpr_queue_ptr 0
		.amdhsa_user_sgpr_kernarg_segment_ptr 1
		.amdhsa_user_sgpr_dispatch_id 0
		.amdhsa_user_sgpr_private_segment_size 0
		.amdhsa_wavefront_size32 1
		.amdhsa_uses_dynamic_stack 0
		.amdhsa_enable_private_segment 0
		.amdhsa_system_sgpr_workgroup_id_x 1
		.amdhsa_system_sgpr_workgroup_id_y 1
		.amdhsa_system_sgpr_workgroup_id_z 1
		.amdhsa_system_sgpr_workgroup_info 0
		.amdhsa_system_vgpr_workitem_id 1
		.amdhsa_next_free_vgpr 54
		.amdhsa_next_free_sgpr 26
		.amdhsa_reserve_vcc 1
		.amdhsa_float_round_mode_32 0
		.amdhsa_float_round_mode_16_64 0
		.amdhsa_float_denorm_mode_32 3
		.amdhsa_float_denorm_mode_16_64 3
		.amdhsa_fp16_overflow 0
		.amdhsa_workgroup_processor_mode 1
		.amdhsa_memory_ordered 1
		.amdhsa_forward_progress 1
		.amdhsa_inst_pref_size 16
		.amdhsa_round_robin_scheduling 0
		.amdhsa_exception_fp_ieee_invalid_op 0
		.amdhsa_exception_fp_denorm_src 0
		.amdhsa_exception_fp_ieee_div_zero 0
		.amdhsa_exception_fp_ieee_overflow 0
		.amdhsa_exception_fp_ieee_underflow 0
		.amdhsa_exception_fp_ieee_inexact 0
		.amdhsa_exception_int_div_zero 0
	.end_amdhsa_kernel
	.section	.text._ZL13mul_mat_vec_qIL9ggml_type19ELi3ELb0ELb0EEvPKvS2_PKi31ggml_cuda_mm_fusion_args_devicePfj15HIP_vector_typeIjLj3EEjjjS8_jjjS8_jjjj,"axG",@progbits,_ZL13mul_mat_vec_qIL9ggml_type19ELi3ELb0ELb0EEvPKvS2_PKi31ggml_cuda_mm_fusion_args_devicePfj15HIP_vector_typeIjLj3EEjjjS8_jjjS8_jjjj,comdat
.Lfunc_end210:
	.size	_ZL13mul_mat_vec_qIL9ggml_type19ELi3ELb0ELb0EEvPKvS2_PKi31ggml_cuda_mm_fusion_args_devicePfj15HIP_vector_typeIjLj3EEjjjS8_jjjS8_jjjj, .Lfunc_end210-_ZL13mul_mat_vec_qIL9ggml_type19ELi3ELb0ELb0EEvPKvS2_PKi31ggml_cuda_mm_fusion_args_devicePfj15HIP_vector_typeIjLj3EEjjjS8_jjjS8_jjjj
                                        ; -- End function
	.set _ZL13mul_mat_vec_qIL9ggml_type19ELi3ELb0ELb0EEvPKvS2_PKi31ggml_cuda_mm_fusion_args_devicePfj15HIP_vector_typeIjLj3EEjjjS8_jjjS8_jjjj.num_vgpr, 54
	.set _ZL13mul_mat_vec_qIL9ggml_type19ELi3ELb0ELb0EEvPKvS2_PKi31ggml_cuda_mm_fusion_args_devicePfj15HIP_vector_typeIjLj3EEjjjS8_jjjS8_jjjj.num_agpr, 0
	.set _ZL13mul_mat_vec_qIL9ggml_type19ELi3ELb0ELb0EEvPKvS2_PKi31ggml_cuda_mm_fusion_args_devicePfj15HIP_vector_typeIjLj3EEjjjS8_jjjS8_jjjj.numbered_sgpr, 26
	.set _ZL13mul_mat_vec_qIL9ggml_type19ELi3ELb0ELb0EEvPKvS2_PKi31ggml_cuda_mm_fusion_args_devicePfj15HIP_vector_typeIjLj3EEjjjS8_jjjS8_jjjj.num_named_barrier, 0
	.set _ZL13mul_mat_vec_qIL9ggml_type19ELi3ELb0ELb0EEvPKvS2_PKi31ggml_cuda_mm_fusion_args_devicePfj15HIP_vector_typeIjLj3EEjjjS8_jjjS8_jjjj.private_seg_size, 0
	.set _ZL13mul_mat_vec_qIL9ggml_type19ELi3ELb0ELb0EEvPKvS2_PKi31ggml_cuda_mm_fusion_args_devicePfj15HIP_vector_typeIjLj3EEjjjS8_jjjS8_jjjj.uses_vcc, 1
	.set _ZL13mul_mat_vec_qIL9ggml_type19ELi3ELb0ELb0EEvPKvS2_PKi31ggml_cuda_mm_fusion_args_devicePfj15HIP_vector_typeIjLj3EEjjjS8_jjjS8_jjjj.uses_flat_scratch, 0
	.set _ZL13mul_mat_vec_qIL9ggml_type19ELi3ELb0ELb0EEvPKvS2_PKi31ggml_cuda_mm_fusion_args_devicePfj15HIP_vector_typeIjLj3EEjjjS8_jjjS8_jjjj.has_dyn_sized_stack, 0
	.set _ZL13mul_mat_vec_qIL9ggml_type19ELi3ELb0ELb0EEvPKvS2_PKi31ggml_cuda_mm_fusion_args_devicePfj15HIP_vector_typeIjLj3EEjjjS8_jjjS8_jjjj.has_recursion, 0
	.set _ZL13mul_mat_vec_qIL9ggml_type19ELi3ELb0ELb0EEvPKvS2_PKi31ggml_cuda_mm_fusion_args_devicePfj15HIP_vector_typeIjLj3EEjjjS8_jjjS8_jjjj.has_indirect_call, 0
	.section	.AMDGPU.csdata,"",@progbits
; Kernel info:
; codeLenInByte = 1936
; TotalNumSgprs: 28
; NumVgprs: 54
; ScratchSize: 0
; MemoryBound: 0
; FloatMode: 240
; IeeeMode: 1
; LDSByteSize: 0 bytes/workgroup (compile time only)
; SGPRBlocks: 0
; VGPRBlocks: 6
; NumSGPRsForWavesPerEU: 28
; NumVGPRsForWavesPerEU: 54
; Occupancy: 16
; WaveLimiterHint : 0
; COMPUTE_PGM_RSRC2:SCRATCH_EN: 0
; COMPUTE_PGM_RSRC2:USER_SGPR: 2
; COMPUTE_PGM_RSRC2:TRAP_HANDLER: 0
; COMPUTE_PGM_RSRC2:TGID_X_EN: 1
; COMPUTE_PGM_RSRC2:TGID_Y_EN: 1
; COMPUTE_PGM_RSRC2:TGID_Z_EN: 1
; COMPUTE_PGM_RSRC2:TIDIG_COMP_CNT: 1
	.section	.text._ZL13mul_mat_vec_qIL9ggml_type19ELi4ELb0ELb0EEvPKvS2_PKi31ggml_cuda_mm_fusion_args_devicePfj15HIP_vector_typeIjLj3EEjjjS8_jjjS8_jjjj,"axG",@progbits,_ZL13mul_mat_vec_qIL9ggml_type19ELi4ELb0ELb0EEvPKvS2_PKi31ggml_cuda_mm_fusion_args_devicePfj15HIP_vector_typeIjLj3EEjjjS8_jjjS8_jjjj,comdat
	.globl	_ZL13mul_mat_vec_qIL9ggml_type19ELi4ELb0ELb0EEvPKvS2_PKi31ggml_cuda_mm_fusion_args_devicePfj15HIP_vector_typeIjLj3EEjjjS8_jjjS8_jjjj ; -- Begin function _ZL13mul_mat_vec_qIL9ggml_type19ELi4ELb0ELb0EEvPKvS2_PKi31ggml_cuda_mm_fusion_args_devicePfj15HIP_vector_typeIjLj3EEjjjS8_jjjS8_jjjj
	.p2align	8
	.type	_ZL13mul_mat_vec_qIL9ggml_type19ELi4ELb0ELb0EEvPKvS2_PKi31ggml_cuda_mm_fusion_args_devicePfj15HIP_vector_typeIjLj3EEjjjS8_jjjS8_jjjj,@function
_ZL13mul_mat_vec_qIL9ggml_type19ELi4ELb0ELb0EEvPKvS2_PKi31ggml_cuda_mm_fusion_args_devicePfj15HIP_vector_typeIjLj3EEjjjS8_jjjS8_jjjj: ; @_ZL13mul_mat_vec_qIL9ggml_type19ELi4ELb0ELb0EEvPKvS2_PKi31ggml_cuda_mm_fusion_args_devicePfj15HIP_vector_typeIjLj3EEjjjS8_jjjS8_jjjj
; %bb.0:
	s_clause 0x5
	s_load_b96 s[16:18], s[0:1], 0x80
	s_load_b32 s3, s[0:1], 0x40
	s_load_b128 s[4:7], s[0:1], 0x50
	s_load_b32 s2, s[0:1], 0x60
	s_load_b128 s[8:11], s[0:1], 0x68
	s_load_b32 s23, s[0:1], 0x78
	v_bfe_u32 v8, v0, 10, 10
	v_dual_mov_b32 v6, 0 :: v_dual_and_b32 v5, 0x3ff, v0
	v_mov_b32_e32 v7, 0
	v_mov_b32_e32 v9, 0
	;; [unrolled: 1-line block ×3, first 2 shown]
	s_delay_alu instid0(VALU_DEP_4) | instskip(SKIP_3) | instid1(VALU_DEP_1)
	v_lshl_or_b32 v0, v8, 5, v5
	s_and_b32 s19, ttmp7, 0xffff
	s_lshr_b32 s20, ttmp7, 16
	s_mov_b32 s21, exec_lo
	v_lshrrev_b32_e32 v10, 3, v0
	s_wait_kmcnt 0x0
	s_lshr_b32 s22, s3, 8
	s_delay_alu instid0(VALU_DEP_1) | instid1(SALU_CYCLE_1)
	v_cmpx_gt_u32_e64 s22, v10
	s_cbranch_execz .LBB211_4
; %bb.1:
	v_lshl_add_u32 v0, v8, 5, v5
	s_mov_b32 s3, 0
	s_mul_i32 s24, s9, s19
	s_mov_b32 s25, s3
	s_load_b128 s[12:15], s[0:1], 0x0
	v_lshrrev_b32_e32 v0, 3, v0
	s_mul_u64 s[24:25], s[24:25], 36
	s_mul_hi_u32 s7, s7, s19
	v_dual_mov_b32 v6, 0 :: v_dual_and_b32 v7, 7, v5
	s_delay_alu instid0(VALU_DEP_2)
	v_mad_co_u64_u32 v[0:1], null, 0x120, v0, s[24:25]
	s_add_co_i32 s7, s19, s7
	v_lshlrev_b32_e32 v4, 3, v10
	s_lshr_b32 s2, s7, s2
	v_lshlrev_b32_e32 v9, 1, v7
	s_mul_i32 s7, s2, s8
	s_mul_i32 s2, s17, s20
	s_mul_hi_u32 s8, s11, s20
	v_mad_co_u64_u32 v[0:1], null, s2, 36, v[0:1]
	s_add_co_i32 s11, s20, s8
	s_mul_u64 s[8:9], s[2:3], 36
	v_lshlrev_b32_e32 v15, 1, v7
	s_wait_kmcnt 0x0
	s_add_nc_u64 s[8:9], s[14:15], s[8:9]
	s_mul_i32 s4, s4, ttmp9
	s_add_nc_u64 s[8:9], s[8:9], s[24:25]
	v_mad_co_u64_u32 v[13:14], null, v7, 36, v[0:1]
	v_mad_co_u64_u32 v[0:1], null, v7, 36, s[8:9]
	v_mov_b32_e32 v7, 0
	v_mad_co_u64_u32 v[2:3], null, s5, 3, v[4:5]
	s_lshr_b32 s11, s11, s23
	v_add_co_u32 v3, vcc_lo, s14, v13
	s_delay_alu instid0(VALU_DEP_1) | instskip(SKIP_1) | instid1(VALU_DEP_3)
	v_add_co_ci_u32_e64 v11, null, s15, v14, vcc_lo
	v_add_nc_u32_e32 v12, s5, v4
	v_add_co_u32 v3, vcc_lo, v3, 16
	v_lshl_add_u32 v13, s5, 1, v4
	s_wait_alu 0xfffd
	v_add_co_ci_u32_e64 v4, null, 0, v11, vcc_lo
	v_dual_mov_b32 v11, 0 :: v_dual_lshlrev_b32 v14, 1, v9
	v_mov_b32_e32 v9, 0
	s_mul_i32 s2, s11, s16
	s_add_co_i32 s7, s7, s4
	s_mov_b32 s4, 0xb7000000
	s_wait_alu 0xfffe
	s_add_co_i32 s2, s2, s7
.LBB211_2:                              ; =>This Inner Loop Header: Depth=1
	s_wait_alu 0xfffe
	v_add_nc_u32_e32 v16, s2, v10
	v_mad_co_u64_u32 v[32:33], null, v12, 36, v[0:1]
	v_mad_co_u64_u32 v[40:41], null, v13, 36, v[0:1]
	s_delay_alu instid0(VALU_DEP_3)
	v_mad_co_i64_i32 v[48:49], null, v16, 50, s[12:13]
	v_mad_co_u64_u32 v[50:51], null, v2, 36, v[0:1]
	s_getpc_b64 s[8:9]
	s_wait_alu 0xfffe
	s_sext_i32_i16 s9, s9
	s_add_co_u32 s8, s8, _ZL13iq1s_grid_gpu@rel32@lo+12
	s_wait_alu 0xfffe
	s_add_co_ci_u32 s9, s9, _ZL13iq1s_grid_gpu@rel32@hi+24
	v_add_nc_u32_e32 v2, 32, v2
	v_add_nc_u32_e32 v13, 32, v13
	v_add_co_u32 v16, vcc_lo, v48, v14
	s_wait_alu 0xfffd
	v_add_co_ci_u32_e64 v17, null, 0, v49, vcc_lo
	v_add_co_u32 v18, vcc_lo, v48, v15
	s_wait_alu 0xfffd
	v_add_co_ci_u32_e64 v19, null, 0, v49, vcc_lo
	s_clause 0x1
	global_load_b32 v52, v[16:17], off offset:2
	global_load_u16 v53, v[18:19], off offset:34
	s_clause 0x1
	global_load_b128 v[16:19], v[3:4], off offset:-16
	global_load_b128 v[20:23], v[3:4], off
	s_clause 0x7
	global_load_b128 v[24:27], v[32:33], off
	global_load_b128 v[28:31], v[32:33], off offset:16
	global_load_b32 v54, v[32:33], off offset:32
	global_load_b128 v[32:35], v[40:41], off
	global_load_b128 v[36:39], v[50:51], off
	global_load_b32 v55, v[40:41], off offset:32
	global_load_b128 v[40:43], v[40:41], off offset:16
	global_load_b128 v[44:47], v[50:51], off offset:16
	global_load_u16 v48, v[48:49], off
	s_wait_loadcnt 0xc
	v_lshrrev_b32_e32 v49, 24, v52
	s_wait_loadcnt 0xb
	v_and_b32_e32 v62, 0x8000, v53
	v_bfe_u32 v58, v52, 8, 8
	s_wait_loadcnt 0x0
	v_cvt_f32_f16_e32 v48, v48
	v_lshlrev_b32_e32 v60, 2, v53
	v_lshrrev_b32_e32 v61, 1, v53
	v_cvt_f32_u32_e32 v62, v62
	v_lshlrev_b32_e32 v57, 8, v53
	s_delay_alu instid0(VALU_DEP_3) | instskip(NEXT) | instid1(VALU_DEP_3)
	v_and_or_b32 v49, 0x700, v61, v49
	v_fmaak_f32 v62, s4, v62, 0xbf600000
	v_and_b32_e32 v56, 0xff, v52
	v_bfe_u32 v52, v52, 16, 8
	v_lshrrev_b32_e32 v61, 16, v36
	v_lshlrev_b32_e32 v49, 2, v49
	s_delay_alu instid0(VALU_DEP_4) | instskip(NEXT) | instid1(VALU_DEP_4)
	v_and_or_b32 v56, 0x700, v57, v56
	v_and_or_b32 v52, 0x700, v60, v52
	v_lshrrev_b32_e32 v60, 16, v32
	v_cvt_f32_f16_e32 v61, v61
	s_delay_alu instid0(VALU_DEP_4) | instskip(NEXT) | instid1(VALU_DEP_4)
	v_lshlrev_b32_e32 v56, 2, v56
	v_lshlrev_b32_e32 v52, 2, v52
	s_delay_alu instid0(VALU_DEP_4) | instskip(SKIP_2) | instid1(VALU_DEP_2)
	v_cvt_f32_f16_e32 v60, v60
	v_lshlrev_b32_e32 v59, 5, v53
	v_lshrrev_b32_e32 v53, 11, v53
	v_and_or_b32 v57, 0x700, v59, v58
	v_lshrrev_b32_e32 v59, 16, v24
	s_delay_alu instid0(VALU_DEP_3) | instskip(NEXT) | instid1(VALU_DEP_3)
	v_and_or_b32 v53, v53, 14, 1
	v_lshlrev_b32_e32 v57, 2, v57
	s_clause 0x3
	global_load_b32 v56, v56, s[8:9]
	global_load_b32 v57, v57, s[8:9]
	;; [unrolled: 1-line block ×4, first 2 shown]
	global_load_b32 v58, v[3:4], off offset:16
	global_load_b32 v50, v[50:51], off offset:32
	v_lshrrev_b32_e32 v51, 16, v16
	v_cvt_f32_f16_e32 v59, v59
	v_cvt_f32_ubyte0_e32 v53, v53
	v_add_co_u32 v3, vcc_lo, 0x480, v3
	s_delay_alu instid0(VALU_DEP_4) | instskip(NEXT) | instid1(VALU_DEP_4)
	v_cvt_f32_f16_e32 v51, v51
	v_mul_f32_e32 v59, v62, v59
	s_wait_alu 0xfffd
	v_add_co_ci_u32_e64 v4, null, 0, v4, vcc_lo
	s_delay_alu instid0(VALU_DEP_3)
	v_mul_f32_e32 v51, v62, v51
	s_wait_loadcnt 0x5
	v_lshrrev_b32_e32 v63, 4, v56
	v_and_b32_e32 v56, 0xf0f0f0f, v56
	s_wait_loadcnt 0x4
	v_and_b32_e32 v64, 0xf0f0f0f, v57
	v_lshrrev_b32_e32 v57, 4, v57
	s_wait_loadcnt 0x3
	v_and_b32_e32 v65, 0xf0f0f0f, v52
	v_and_b32_e32 v63, 0xf0f0f0f, v63
	v_dot4_i32_iu8 v17, v56, v17, 0 neg_lo:[1,1,0]
	v_dot4_i32_iu8 v25, v56, v25, 0 neg_lo:[1,1,0]
	;; [unrolled: 1-line block ×4, first 2 shown]
	v_lshrrev_b32_e32 v52, 4, v52
	v_dot4_i32_iu8 v17, v63, v18, v17 neg_lo:[1,1,0]
	v_dot4_i32_iu8 v18, v63, v26, v25 neg_lo:[1,1,0]
	;; [unrolled: 1-line block ×4, first 2 shown]
	v_and_b32_e32 v33, 0xf0f0f0f, v57
	v_dot4_i32_iu8 v17, v64, v19, v17 neg_lo:[1,1,0]
	v_dot4_i32_iu8 v18, v64, v27, v18 neg_lo:[1,1,0]
	;; [unrolled: 1-line block ×4, first 2 shown]
	s_wait_loadcnt 0x2
	v_and_b32_e32 v26, 0xf0f0f0f, v49
	v_dot4_i32_iu8 v17, v33, v20, v17 neg_lo:[1,1,0]
	v_dot4_i32_iu8 v18, v33, v28, v18 neg_lo:[1,1,0]
	;; [unrolled: 1-line block ×4, first 2 shown]
	v_and_b32_e32 v25, 0xf0f0f0f, v52
	v_dot4_i32_iu8 v17, v65, v21, v17 neg_lo:[1,1,0]
	v_dot4_i32_iu8 v18, v65, v29, v18 neg_lo:[1,1,0]
	;; [unrolled: 1-line block ×4, first 2 shown]
	v_lshrrev_b32_e32 v21, 4, v49
	v_dot4_i32_iu8 v17, v25, v22, v17 neg_lo:[1,1,0]
	v_dot4_i32_iu8 v18, v25, v30, v18 neg_lo:[1,1,0]
	;; [unrolled: 1-line block ×4, first 2 shown]
	v_and_b32_e32 v21, 0xf0f0f0f, v21
	v_dot4_i32_iu8 v17, v26, v23, v17 neg_lo:[1,1,0]
	v_dot4_i32_iu8 v18, v26, v31, v18 neg_lo:[1,1,0]
	v_dot4_i32_iu8 v19, v26, v43, v19 neg_lo:[1,1,0]
	v_dot4_i32_iu8 v20, v26, v47, v20 neg_lo:[1,1,0]
	v_mul_f32_e32 v22, v62, v60
	s_wait_loadcnt 0x1
	v_dot4_i32_iu8 v17, v21, v58, v17 neg_lo:[1,1,0]
	v_dot4_i32_iu8 v18, v21, v54, v18 neg_lo:[1,1,0]
	;; [unrolled: 1-line block ×3, first 2 shown]
	s_wait_loadcnt 0x0
	v_dot4_i32_iu8 v20, v21, v50, v20 neg_lo:[1,1,0]
	v_mul_f32_e32 v21, v62, v61
	v_cvt_f32_i32_e32 v17, v17
	v_cvt_f32_i32_e32 v18, v18
	;; [unrolled: 1-line block ×4, first 2 shown]
	v_mul_f32_e32 v23, v53, v48
	v_fma_mix_f32 v16, v17, v16, v51 op_sel_hi:[0,1,0]
	v_add_nc_u32_e32 v10, 4, v10
	v_fma_mix_f32 v17, v18, v24, v59 op_sel_hi:[0,1,0]
	v_fma_mix_f32 v18, v19, v32, v22 op_sel_hi:[0,1,0]
	;; [unrolled: 1-line block ×3, first 2 shown]
	v_fmac_f32_e32 v11, v23, v16
	v_cmp_le_u32_e32 vcc_lo, s22, v10
	s_delay_alu instid0(VALU_DEP_4)
	v_dual_fmac_f32 v7, v23, v18 :: v_dual_add_nc_u32 v12, 32, v12
	v_fmac_f32_e32 v9, v23, v17
	v_fmac_f32_e32 v6, v23, v19
	s_or_b32 s3, vcc_lo, s3
	s_wait_alu 0xfffe
	s_and_not1_b32 exec_lo, exec_lo, s3
	s_cbranch_execnz .LBB211_2
; %bb.3:
	s_or_b32 exec_lo, exec_lo, s3
.LBB211_4:
	s_delay_alu instid0(SALU_CYCLE_1)
	s_or_b32 exec_lo, exec_lo, s21
	s_mov_b32 s3, 0
	; wave barrier
	global_inv scope:SCOPE_SE
	s_mov_b32 s2, exec_lo
	v_cmpx_eq_u32_e32 0, v8
	s_cbranch_execz .LBB211_13
; %bb.5:
	v_mbcnt_lo_u32_b32 v4, -1, 0
	s_load_b64 s[0:1], s[0:1], 0x38
	s_mul_i32 s2, s10, s19
	s_mul_i32 s4, s18, s20
	s_wait_alu 0xfffe
	s_add_co_i32 s2, s2, ttmp9
	v_xor_b32_e32 v0, 16, v4
	v_xor_b32_e32 v1, 8, v4
	s_wait_alu 0xfffe
	s_add_co_i32 s2, s2, s4
	s_wait_alu 0xfffe
	s_lshl_b64 s[2:3], s[2:3], 2
	v_cmp_gt_i32_e32 vcc_lo, 32, v0
	s_wait_alu 0xfffd
	v_cndmask_b32_e32 v0, v4, v0, vcc_lo
	v_cmp_gt_i32_e32 vcc_lo, 32, v1
	s_wait_alu 0xfffd
	v_cndmask_b32_e32 v1, v4, v1, vcc_lo
	s_wait_kmcnt 0x0
	s_wait_alu 0xfffe
	s_add_nc_u64 s[0:1], s[0:1], s[2:3]
	s_delay_alu instid0(VALU_DEP_1)
	v_lshlrev_b32_e32 v1, 2, v1
	v_lshlrev_b32_e32 v0, 2, v0
	ds_bpermute_b32 v2, v0, v11
	s_wait_dscnt 0x0
	v_add_f32_e32 v3, v11, v2
	v_xor_b32_e32 v2, 4, v4
	v_xor_b32_e32 v11, 1, v4
	ds_bpermute_b32 v8, v1, v3
	v_cmp_gt_i32_e32 vcc_lo, 32, v2
	s_wait_alu 0xfffd
	v_cndmask_b32_e32 v2, v4, v2, vcc_lo
	s_wait_dscnt 0x0
	v_add_f32_e32 v8, v3, v8
	v_xor_b32_e32 v3, 2, v4
	s_delay_alu instid0(VALU_DEP_1) | instskip(SKIP_3) | instid1(VALU_DEP_2)
	v_cmp_gt_i32_e32 vcc_lo, 32, v3
	s_wait_alu 0xfffd
	v_cndmask_b32_e32 v3, v4, v3, vcc_lo
	v_cmp_gt_i32_e32 vcc_lo, 32, v11
	v_lshlrev_b32_e32 v3, 2, v3
	v_lshlrev_b32_e32 v2, 2, v2
	s_wait_alu 0xfffd
	v_cndmask_b32_e32 v4, v4, v11, vcc_lo
	v_cmp_eq_u32_e32 vcc_lo, 0, v5
	ds_bpermute_b32 v10, v2, v8
	v_lshlrev_b32_e32 v4, 2, v4
	s_wait_dscnt 0x0
	v_add_f32_e32 v8, v8, v10
	ds_bpermute_b32 v10, v3, v8
	s_wait_dscnt 0x0
	v_add_f32_e32 v8, v8, v10
	ds_bpermute_b32 v10, v4, v8
	s_and_saveexec_b32 s2, vcc_lo
	s_cbranch_execz .LBB211_7
; %bb.6:
	s_wait_dscnt 0x0
	v_dual_add_f32 v5, v8, v10 :: v_dual_mov_b32 v8, 0
	global_store_b32 v8, v5, s[0:1]
.LBB211_7:
	s_wait_alu 0xfffe
	s_or_b32 exec_lo, exec_lo, s2
	ds_bpermute_b32 v5, v0, v9
	s_wait_dscnt 0x0
	v_add_f32_e32 v5, v9, v5
	ds_bpermute_b32 v8, v1, v5
	s_wait_dscnt 0x0
	v_add_f32_e32 v5, v5, v8
	;; [unrolled: 3-line block ×4, first 2 shown]
	ds_bpermute_b32 v8, v4, v5
	s_and_saveexec_b32 s2, vcc_lo
	s_cbranch_execz .LBB211_9
; %bb.8:
	s_mov_b32 s7, 0
	s_wait_dscnt 0x0
	v_dual_add_f32 v5, v5, v8 :: v_dual_mov_b32 v8, 0
	s_lshl_b64 s[4:5], s[6:7], 2
	s_wait_alu 0xfffe
	s_add_nc_u64 s[4:5], s[0:1], s[4:5]
	global_store_b32 v8, v5, s[4:5]
.LBB211_9:
	s_wait_alu 0xfffe
	s_or_b32 exec_lo, exec_lo, s2
	ds_bpermute_b32 v5, v0, v7
	s_wait_dscnt 0x0
	v_add_f32_e32 v5, v7, v5
	ds_bpermute_b32 v7, v1, v5
	s_wait_dscnt 0x0
	v_add_f32_e32 v5, v5, v7
	;; [unrolled: 3-line block ×4, first 2 shown]
	ds_bpermute_b32 v7, v4, v5
	s_and_saveexec_b32 s2, vcc_lo
	s_cbranch_execz .LBB211_11
; %bb.10:
	s_lshl_b32 s4, s6, 1
	s_mov_b32 s5, 0
	s_wait_dscnt 0x0
	v_add_f32_e32 v5, v5, v7
	v_mov_b32_e32 v7, 0
	s_wait_alu 0xfffe
	s_lshl_b64 s[4:5], s[4:5], 2
	s_wait_alu 0xfffe
	s_add_nc_u64 s[4:5], s[0:1], s[4:5]
	global_store_b32 v7, v5, s[4:5]
.LBB211_11:
	s_wait_alu 0xfffe
	s_or_b32 exec_lo, exec_lo, s2
	ds_bpermute_b32 v0, v0, v6
	s_wait_dscnt 0x0
	v_add_f32_e32 v0, v6, v0
	ds_bpermute_b32 v1, v1, v0
	s_wait_dscnt 0x0
	v_add_f32_e32 v0, v0, v1
	;; [unrolled: 3-line block ×4, first 2 shown]
	ds_bpermute_b32 v1, v4, v0
	s_and_b32 exec_lo, exec_lo, vcc_lo
	s_cbranch_execz .LBB211_13
; %bb.12:
	s_mul_i32 s2, s6, 3
	s_mov_b32 s3, 0
	s_wait_dscnt 0x0
	v_dual_add_f32 v0, v0, v1 :: v_dual_mov_b32 v1, 0
	s_wait_alu 0xfffe
	s_lshl_b64 s[2:3], s[2:3], 2
	s_wait_alu 0xfffe
	s_add_nc_u64 s[0:1], s[0:1], s[2:3]
	global_store_b32 v1, v0, s[0:1]
.LBB211_13:
	s_endpgm
	.section	.rodata,"a",@progbits
	.p2align	6, 0x0
	.amdhsa_kernel _ZL13mul_mat_vec_qIL9ggml_type19ELi4ELb0ELb0EEvPKvS2_PKi31ggml_cuda_mm_fusion_args_devicePfj15HIP_vector_typeIjLj3EEjjjS8_jjjS8_jjjj
		.amdhsa_group_segment_fixed_size 0
		.amdhsa_private_segment_fixed_size 0
		.amdhsa_kernarg_size 144
		.amdhsa_user_sgpr_count 2
		.amdhsa_user_sgpr_dispatch_ptr 0
		.amdhsa_user_sgpr_queue_ptr 0
		.amdhsa_user_sgpr_kernarg_segment_ptr 1
		.amdhsa_user_sgpr_dispatch_id 0
		.amdhsa_user_sgpr_private_segment_size 0
		.amdhsa_wavefront_size32 1
		.amdhsa_uses_dynamic_stack 0
		.amdhsa_enable_private_segment 0
		.amdhsa_system_sgpr_workgroup_id_x 1
		.amdhsa_system_sgpr_workgroup_id_y 1
		.amdhsa_system_sgpr_workgroup_id_z 1
		.amdhsa_system_sgpr_workgroup_info 0
		.amdhsa_system_vgpr_workitem_id 1
		.amdhsa_next_free_vgpr 66
		.amdhsa_next_free_sgpr 26
		.amdhsa_reserve_vcc 1
		.amdhsa_float_round_mode_32 0
		.amdhsa_float_round_mode_16_64 0
		.amdhsa_float_denorm_mode_32 3
		.amdhsa_float_denorm_mode_16_64 3
		.amdhsa_fp16_overflow 0
		.amdhsa_workgroup_processor_mode 1
		.amdhsa_memory_ordered 1
		.amdhsa_forward_progress 1
		.amdhsa_inst_pref_size 18
		.amdhsa_round_robin_scheduling 0
		.amdhsa_exception_fp_ieee_invalid_op 0
		.amdhsa_exception_fp_denorm_src 0
		.amdhsa_exception_fp_ieee_div_zero 0
		.amdhsa_exception_fp_ieee_overflow 0
		.amdhsa_exception_fp_ieee_underflow 0
		.amdhsa_exception_fp_ieee_inexact 0
		.amdhsa_exception_int_div_zero 0
	.end_amdhsa_kernel
	.section	.text._ZL13mul_mat_vec_qIL9ggml_type19ELi4ELb0ELb0EEvPKvS2_PKi31ggml_cuda_mm_fusion_args_devicePfj15HIP_vector_typeIjLj3EEjjjS8_jjjS8_jjjj,"axG",@progbits,_ZL13mul_mat_vec_qIL9ggml_type19ELi4ELb0ELb0EEvPKvS2_PKi31ggml_cuda_mm_fusion_args_devicePfj15HIP_vector_typeIjLj3EEjjjS8_jjjS8_jjjj,comdat
.Lfunc_end211:
	.size	_ZL13mul_mat_vec_qIL9ggml_type19ELi4ELb0ELb0EEvPKvS2_PKi31ggml_cuda_mm_fusion_args_devicePfj15HIP_vector_typeIjLj3EEjjjS8_jjjS8_jjjj, .Lfunc_end211-_ZL13mul_mat_vec_qIL9ggml_type19ELi4ELb0ELb0EEvPKvS2_PKi31ggml_cuda_mm_fusion_args_devicePfj15HIP_vector_typeIjLj3EEjjjS8_jjjS8_jjjj
                                        ; -- End function
	.set _ZL13mul_mat_vec_qIL9ggml_type19ELi4ELb0ELb0EEvPKvS2_PKi31ggml_cuda_mm_fusion_args_devicePfj15HIP_vector_typeIjLj3EEjjjS8_jjjS8_jjjj.num_vgpr, 66
	.set _ZL13mul_mat_vec_qIL9ggml_type19ELi4ELb0ELb0EEvPKvS2_PKi31ggml_cuda_mm_fusion_args_devicePfj15HIP_vector_typeIjLj3EEjjjS8_jjjS8_jjjj.num_agpr, 0
	.set _ZL13mul_mat_vec_qIL9ggml_type19ELi4ELb0ELb0EEvPKvS2_PKi31ggml_cuda_mm_fusion_args_devicePfj15HIP_vector_typeIjLj3EEjjjS8_jjjS8_jjjj.numbered_sgpr, 26
	.set _ZL13mul_mat_vec_qIL9ggml_type19ELi4ELb0ELb0EEvPKvS2_PKi31ggml_cuda_mm_fusion_args_devicePfj15HIP_vector_typeIjLj3EEjjjS8_jjjS8_jjjj.num_named_barrier, 0
	.set _ZL13mul_mat_vec_qIL9ggml_type19ELi4ELb0ELb0EEvPKvS2_PKi31ggml_cuda_mm_fusion_args_devicePfj15HIP_vector_typeIjLj3EEjjjS8_jjjS8_jjjj.private_seg_size, 0
	.set _ZL13mul_mat_vec_qIL9ggml_type19ELi4ELb0ELb0EEvPKvS2_PKi31ggml_cuda_mm_fusion_args_devicePfj15HIP_vector_typeIjLj3EEjjjS8_jjjS8_jjjj.uses_vcc, 1
	.set _ZL13mul_mat_vec_qIL9ggml_type19ELi4ELb0ELb0EEvPKvS2_PKi31ggml_cuda_mm_fusion_args_devicePfj15HIP_vector_typeIjLj3EEjjjS8_jjjS8_jjjj.uses_flat_scratch, 0
	.set _ZL13mul_mat_vec_qIL9ggml_type19ELi4ELb0ELb0EEvPKvS2_PKi31ggml_cuda_mm_fusion_args_devicePfj15HIP_vector_typeIjLj3EEjjjS8_jjjS8_jjjj.has_dyn_sized_stack, 0
	.set _ZL13mul_mat_vec_qIL9ggml_type19ELi4ELb0ELb0EEvPKvS2_PKi31ggml_cuda_mm_fusion_args_devicePfj15HIP_vector_typeIjLj3EEjjjS8_jjjS8_jjjj.has_recursion, 0
	.set _ZL13mul_mat_vec_qIL9ggml_type19ELi4ELb0ELb0EEvPKvS2_PKi31ggml_cuda_mm_fusion_args_devicePfj15HIP_vector_typeIjLj3EEjjjS8_jjjS8_jjjj.has_indirect_call, 0
	.section	.AMDGPU.csdata,"",@progbits
; Kernel info:
; codeLenInByte = 2196
; TotalNumSgprs: 28
; NumVgprs: 66
; ScratchSize: 0
; MemoryBound: 0
; FloatMode: 240
; IeeeMode: 1
; LDSByteSize: 0 bytes/workgroup (compile time only)
; SGPRBlocks: 0
; VGPRBlocks: 8
; NumSGPRsForWavesPerEU: 28
; NumVGPRsForWavesPerEU: 66
; Occupancy: 16
; WaveLimiterHint : 0
; COMPUTE_PGM_RSRC2:SCRATCH_EN: 0
; COMPUTE_PGM_RSRC2:USER_SGPR: 2
; COMPUTE_PGM_RSRC2:TRAP_HANDLER: 0
; COMPUTE_PGM_RSRC2:TGID_X_EN: 1
; COMPUTE_PGM_RSRC2:TGID_Y_EN: 1
; COMPUTE_PGM_RSRC2:TGID_Z_EN: 1
; COMPUTE_PGM_RSRC2:TIDIG_COMP_CNT: 1
	.section	.text._ZL13mul_mat_vec_qIL9ggml_type19ELi5ELb0ELb0EEvPKvS2_PKi31ggml_cuda_mm_fusion_args_devicePfj15HIP_vector_typeIjLj3EEjjjS8_jjjS8_jjjj,"axG",@progbits,_ZL13mul_mat_vec_qIL9ggml_type19ELi5ELb0ELb0EEvPKvS2_PKi31ggml_cuda_mm_fusion_args_devicePfj15HIP_vector_typeIjLj3EEjjjS8_jjjS8_jjjj,comdat
	.globl	_ZL13mul_mat_vec_qIL9ggml_type19ELi5ELb0ELb0EEvPKvS2_PKi31ggml_cuda_mm_fusion_args_devicePfj15HIP_vector_typeIjLj3EEjjjS8_jjjS8_jjjj ; -- Begin function _ZL13mul_mat_vec_qIL9ggml_type19ELi5ELb0ELb0EEvPKvS2_PKi31ggml_cuda_mm_fusion_args_devicePfj15HIP_vector_typeIjLj3EEjjjS8_jjjS8_jjjj
	.p2align	8
	.type	_ZL13mul_mat_vec_qIL9ggml_type19ELi5ELb0ELb0EEvPKvS2_PKi31ggml_cuda_mm_fusion_args_devicePfj15HIP_vector_typeIjLj3EEjjjS8_jjjS8_jjjj,@function
_ZL13mul_mat_vec_qIL9ggml_type19ELi5ELb0ELb0EEvPKvS2_PKi31ggml_cuda_mm_fusion_args_devicePfj15HIP_vector_typeIjLj3EEjjjS8_jjjS8_jjjj: ; @_ZL13mul_mat_vec_qIL9ggml_type19ELi5ELb0ELb0EEvPKvS2_PKi31ggml_cuda_mm_fusion_args_devicePfj15HIP_vector_typeIjLj3EEjjjS8_jjjS8_jjjj
; %bb.0:
	s_clause 0x5
	s_load_b96 s[16:18], s[0:1], 0x80
	s_load_b32 s2, s[0:1], 0x40
	s_load_b128 s[4:7], s[0:1], 0x50
	s_load_b32 s23, s[0:1], 0x60
	s_load_b128 s[8:11], s[0:1], 0x68
	s_load_b32 s24, s[0:1], 0x78
	v_bfe_u32 v9, v0, 10, 10
	v_dual_mov_b32 v5, 0 :: v_dual_and_b32 v6, 0x3ff, v0
	v_dual_mov_b32 v7, 0 :: v_dual_mov_b32 v8, 0
	v_mov_b32_e32 v10, 0
	s_delay_alu instid0(VALU_DEP_3)
	v_lshl_or_b32 v0, v9, 5, v6
	v_mov_b32_e32 v12, 0
	s_and_b32 s19, ttmp7, 0xffff
	s_lshr_b32 s20, ttmp7, 16
	s_mov_b32 s21, exec_lo
	v_lshrrev_b32_e32 v11, 3, v0
	s_wait_kmcnt 0x0
	s_lshr_b32 s22, s2, 8
	s_delay_alu instid0(VALU_DEP_1) | instid1(SALU_CYCLE_1)
	v_cmpx_gt_u32_e64 s22, v11
	s_cbranch_execz .LBB212_4
; %bb.1:
	v_lshl_add_u32 v0, v9, 5, v6
	s_mov_b32 s3, 0
	s_mul_i32 s26, s9, s19
	s_mov_b32 s27, s3
	s_load_b128 s[12:15], s[0:1], 0x0
	v_lshrrev_b32_e32 v0, 3, v0
	s_mul_u64 s[26:27], s[26:27], 36
	s_mul_i32 s2, s17, s20
	v_dual_mov_b32 v5, 0 :: v_dual_and_b32 v10, 7, v6
	s_delay_alu instid0(VALU_DEP_2)
	v_mad_co_u64_u32 v[0:1], null, 0x120, v0, s[26:27]
	s_mul_hi_u32 s7, s7, s19
	v_lshlrev_b32_e32 v4, 3, v11
	s_mul_hi_u32 s9, s11, s20
	s_add_co_i32 s7, s19, s7
	s_mul_u64 s[28:29], s[2:3], 36
	s_add_co_i32 s9, s20, s9
	v_mad_co_u64_u32 v[0:1], null, s2, 36, v[0:1]
	s_lshr_b32 s7, s7, s23
	v_mad_co_u64_u32 v[2:3], null, s5, 3, v[4:5]
	s_lshr_b32 s11, s9, s24
	s_mul_i32 s7, s7, s8
	s_wait_kmcnt 0x0
	s_add_nc_u64 s[8:9], s[14:15], s[28:29]
	v_mad_co_u64_u32 v[7:8], null, v10, 36, v[0:1]
	s_add_nc_u64 s[8:9], s[8:9], s[26:27]
	v_lshlrev_b32_e32 v12, 1, v10
	v_mad_co_u64_u32 v[0:1], null, v10, 36, s[8:9]
	s_mul_i32 s4, s4, ttmp9
	v_add_nc_u32_e32 v13, s5, v4
	v_add_co_u32 v3, vcc_lo, s14, v7
	s_delay_alu instid0(VALU_DEP_1) | instskip(SKIP_1) | instid1(VALU_DEP_3)
	v_add_co_ci_u32_e64 v7, null, s15, v8, vcc_lo
	v_lshl_add_u32 v14, s5, 2, v4
	v_add_co_u32 v3, vcc_lo, v3, 16
	v_lshl_add_u32 v15, s5, 1, v4
	s_wait_alu 0xfffd
	v_add_co_ci_u32_e64 v4, null, 0, v7, vcc_lo
	v_dual_mov_b32 v10, 0 :: v_dual_lshlrev_b32 v17, 1, v10
	v_dual_mov_b32 v7, 0 :: v_dual_lshlrev_b32 v16, 1, v12
	v_mov_b32_e32 v8, 0
	v_mov_b32_e32 v12, 0
	s_mul_i32 s2, s11, s16
	s_wait_alu 0xfffe
	s_add_co_i32 s7, s7, s4
	s_mov_b32 s4, 0xb7000000
	s_add_co_i32 s2, s2, s7
.LBB212_2:                              ; =>This Inner Loop Header: Depth=1
	s_wait_alu 0xfffe
	v_add_nc_u32_e32 v18, s2, v11
	v_mad_co_u64_u32 v[42:43], null, v13, 36, v[0:1]
	v_mad_co_u64_u32 v[46:47], null, v15, 36, v[0:1]
	s_delay_alu instid0(VALU_DEP_3)
	v_mad_co_i64_i32 v[58:59], null, v18, 50, s[12:13]
	v_mad_co_u64_u32 v[50:51], null, v2, 36, v[0:1]
	v_mad_co_u64_u32 v[54:55], null, v14, 36, v[0:1]
	s_getpc_b64 s[8:9]
	s_wait_alu 0xfffe
	s_sext_i32_i16 s9, s9
	s_add_co_u32 s8, s8, _ZL13iq1s_grid_gpu@rel32@lo+12
	s_wait_alu 0xfffe
	s_add_co_ci_u32 s9, s9, _ZL13iq1s_grid_gpu@rel32@hi+24
	v_add_nc_u32_e32 v2, 32, v2
	v_add_co_u32 v18, vcc_lo, v58, v16
	s_wait_alu 0xfffd
	v_add_co_ci_u32_e64 v19, null, 0, v59, vcc_lo
	v_add_co_u32 v20, vcc_lo, v58, v17
	s_wait_alu 0xfffd
	v_add_co_ci_u32_e64 v21, null, 0, v59, vcc_lo
	s_clause 0x1
	global_load_b32 v60, v[18:19], off offset:2
	global_load_u16 v61, v[20:21], off offset:34
	s_clause 0x1
	global_load_b128 v[18:21], v[3:4], off offset:-16
	global_load_b128 v[22:25], v[3:4], off
	s_clause 0xb
	global_load_b128 v[26:29], v[42:43], off
	global_load_b32 v62, v[42:43], off offset:32
	global_load_b128 v[30:33], v[46:47], off
	global_load_b128 v[34:37], v[50:51], off
	;; [unrolled: 1-line block ×3, first 2 shown]
	global_load_b32 v63, v[50:51], off offset:32
	global_load_b128 v[42:45], v[42:43], off offset:16
	global_load_b32 v64, v[46:47], off offset:32
	global_load_b128 v[46:49], v[46:47], off offset:16
	global_load_b128 v[50:53], v[50:51], off offset:16
	global_load_b32 v65, v[54:55], off offset:32
	global_load_b128 v[54:57], v[54:55], off offset:16
	global_load_u16 v58, v[58:59], off
	v_add_nc_u32_e32 v15, 32, v15
	s_wait_loadcnt 0x9
	v_lshrrev_b32_e32 v72, 16, v34
	s_wait_loadcnt 0x8
	v_lshrrev_b32_e32 v73, 16, v38
	s_delay_alu instid0(VALU_DEP_2)
	v_cvt_f32_f16_e32 v72, v72
	v_lshrrev_b32_e32 v59, 24, v60
	v_lshrrev_b32_e32 v74, 11, v61
	v_lshlrev_b32_e32 v69, 5, v61
	s_wait_loadcnt 0x0
	v_cvt_f32_f16_e32 v58, v58
	v_lshrrev_b32_e32 v71, 1, v61
	v_bfe_u32 v68, v60, 8, 8
	v_and_or_b32 v74, v74, 14, 1
	v_cvt_f32_f16_e32 v73, v73
	s_delay_alu instid0(VALU_DEP_4) | instskip(SKIP_1) | instid1(VALU_DEP_4)
	v_and_or_b32 v59, 0x700, v71, v59
	v_lshrrev_b32_e32 v71, 16, v30
	v_cvt_f32_ubyte0_e32 v74, v74
	v_lshlrev_b32_e32 v67, 8, v61
	s_delay_alu instid0(VALU_DEP_3) | instskip(NEXT) | instid1(VALU_DEP_3)
	v_cvt_f32_f16_e32 v71, v71
	v_mul_f32_e32 v58, v74, v58
	v_lshlrev_b32_e32 v70, 2, v61
	v_and_b32_e32 v61, 0x8000, v61
	v_lshlrev_b32_e32 v59, 2, v59
	s_delay_alu instid0(VALU_DEP_2) | instskip(NEXT) | instid1(VALU_DEP_1)
	v_cvt_f32_u32_e32 v61, v61
	v_dual_fmaak_f32 v61, s4, v61, 0xbf600000 :: v_dual_add_nc_u32 v14, 32, v14
	v_and_b32_e32 v66, 0xff, v60
	v_bfe_u32 v60, v60, 16, 8
	s_delay_alu instid0(VALU_DEP_3) | instskip(NEXT) | instid1(VALU_DEP_3)
	v_mul_f32_e32 v71, v61, v71
	v_and_or_b32 v66, 0x700, v67, v66
	s_delay_alu instid0(VALU_DEP_3) | instskip(SKIP_2) | instid1(VALU_DEP_4)
	v_and_or_b32 v60, 0x700, v70, v60
	v_lshrrev_b32_e32 v70, 16, v26
	v_mul_f32_e32 v72, v61, v72
	v_lshlrev_b32_e32 v66, 2, v66
	s_delay_alu instid0(VALU_DEP_4) | instskip(NEXT) | instid1(VALU_DEP_4)
	v_lshlrev_b32_e32 v60, 2, v60
	v_cvt_f32_f16_e32 v70, v70
	s_delay_alu instid0(VALU_DEP_1) | instskip(SKIP_2) | instid1(VALU_DEP_2)
	v_mul_f32_e32 v70, v61, v70
	v_and_or_b32 v67, 0x700, v69, v68
	v_lshrrev_b32_e32 v69, 16, v18
	v_lshlrev_b32_e32 v67, 2, v67
	s_delay_alu instid0(VALU_DEP_2) | instskip(NEXT) | instid1(VALU_DEP_1)
	v_cvt_f32_f16_e32 v69, v69
	v_mul_f32_e32 v69, v61, v69
	v_mul_f32_e32 v61, v61, v73
	s_clause 0x3
	global_load_b32 v66, v66, s[8:9]
	global_load_b32 v67, v67, s[8:9]
	;; [unrolled: 1-line block ×4, first 2 shown]
	global_load_b32 v68, v[3:4], off offset:16
	v_add_co_u32 v3, vcc_lo, 0x480, v3
	s_wait_alu 0xfffd
	v_add_co_ci_u32_e64 v4, null, 0, v4, vcc_lo
	s_wait_loadcnt 0x4
	v_and_b32_e32 v73, 0xf0f0f0f, v66
	v_lshrrev_b32_e32 v66, 4, v66
	s_wait_loadcnt 0x3
	v_and_b32_e32 v74, 0xf0f0f0f, v67
	v_lshrrev_b32_e32 v67, 4, v67
	s_wait_loadcnt 0x2
	v_and_b32_e32 v75, 0xf0f0f0f, v60
	v_dot4_i32_iu8 v19, v73, v19, 0 neg_lo:[1,1,0]
	v_and_b32_e32 v66, 0xf0f0f0f, v66
	v_dot4_i32_iu8 v27, v73, v27, 0 neg_lo:[1,1,0]
	v_dot4_i32_iu8 v31, v73, v31, 0 neg_lo:[1,1,0]
	;; [unrolled: 1-line block ×9, first 2 shown]
	v_and_b32_e32 v67, 0xf0f0f0f, v67
	v_dot4_i32_iu8 v19, v74, v21, v19 neg_lo:[1,1,0]
	v_dot4_i32_iu8 v20, v74, v29, v20 neg_lo:[1,1,0]
	;; [unrolled: 1-line block ×5, first 2 shown]
	v_lshrrev_b32_e32 v60, 4, v60
	v_dot4_i32_iu8 v19, v67, v22, v19 neg_lo:[1,1,0]
	v_dot4_i32_iu8 v20, v67, v42, v20 neg_lo:[1,1,0]
	;; [unrolled: 1-line block ×5, first 2 shown]
	v_and_b32_e32 v60, 0xf0f0f0f, v60
	v_dot4_i32_iu8 v19, v75, v23, v19 neg_lo:[1,1,0]
	v_dot4_i32_iu8 v20, v75, v43, v20 neg_lo:[1,1,0]
	;; [unrolled: 1-line block ×5, first 2 shown]
	s_wait_loadcnt 0x1
	v_lshrrev_b32_e32 v76, 4, v59
	v_and_b32_e32 v59, 0xf0f0f0f, v59
	v_dot4_i32_iu8 v19, v60, v24, v19 neg_lo:[1,1,0]
	v_dot4_i32_iu8 v20, v60, v44, v20 neg_lo:[1,1,0]
	;; [unrolled: 1-line block ×5, first 2 shown]
	v_and_b32_e32 v76, 0xf0f0f0f, v76
	v_dot4_i32_iu8 v19, v59, v25, v19 neg_lo:[1,1,0]
	v_dot4_i32_iu8 v20, v59, v45, v20 neg_lo:[1,1,0]
	;; [unrolled: 1-line block ×5, first 2 shown]
	s_wait_loadcnt 0x0
	v_dot4_i32_iu8 v19, v76, v68, v19 neg_lo:[1,1,0]
	v_dot4_i32_iu8 v20, v76, v62, v20 neg_lo:[1,1,0]
	;; [unrolled: 1-line block ×5, first 2 shown]
	v_cvt_f32_i32_e32 v19, v19
	v_cvt_f32_i32_e32 v20, v20
	v_cvt_f32_i32_e32 v21, v21
	v_cvt_f32_i32_e32 v22, v22
	v_cvt_f32_i32_e32 v23, v23
	v_fma_mix_f32 v18, v19, v18, v69 op_sel_hi:[0,1,0]
	v_fma_mix_f32 v19, v20, v26, v70 op_sel_hi:[0,1,0]
	;; [unrolled: 1-line block ×3, first 2 shown]
	v_add_nc_u32_e32 v11, 4, v11
	v_fma_mix_f32 v21, v22, v34, v72 op_sel_hi:[0,1,0]
	v_fma_mix_f32 v22, v23, v38, v61 op_sel_hi:[0,1,0]
	v_dual_fmac_f32 v10, v58, v19 :: v_dual_add_nc_u32 v13, 32, v13
	v_fmac_f32_e32 v8, v58, v20
	v_cmp_le_u32_e32 vcc_lo, s22, v11
	v_fmac_f32_e32 v12, v58, v18
	v_fmac_f32_e32 v7, v58, v21
	;; [unrolled: 1-line block ×3, first 2 shown]
	s_or_b32 s3, vcc_lo, s3
	s_wait_alu 0xfffe
	s_and_not1_b32 exec_lo, exec_lo, s3
	s_cbranch_execnz .LBB212_2
; %bb.3:
	s_or_b32 exec_lo, exec_lo, s3
.LBB212_4:
	s_delay_alu instid0(SALU_CYCLE_1)
	s_or_b32 exec_lo, exec_lo, s21
	s_mov_b32 s3, 0
	; wave barrier
	global_inv scope:SCOPE_SE
	s_mov_b32 s2, exec_lo
	v_cmpx_eq_u32_e32 0, v9
	s_cbranch_execz .LBB212_15
; %bb.5:
	v_mbcnt_lo_u32_b32 v4, -1, 0
	s_load_b64 s[0:1], s[0:1], 0x38
	s_mul_i32 s2, s10, s19
	s_mul_i32 s4, s18, s20
	s_wait_alu 0xfffe
	s_add_co_i32 s2, s2, ttmp9
	v_xor_b32_e32 v0, 16, v4
	v_xor_b32_e32 v1, 8, v4
	s_wait_alu 0xfffe
	s_add_co_i32 s2, s2, s4
	s_wait_alu 0xfffe
	s_lshl_b64 s[2:3], s[2:3], 2
	v_cmp_gt_i32_e32 vcc_lo, 32, v0
	s_wait_alu 0xfffd
	v_cndmask_b32_e32 v0, v4, v0, vcc_lo
	v_cmp_gt_i32_e32 vcc_lo, 32, v1
	s_wait_alu 0xfffd
	v_cndmask_b32_e32 v1, v4, v1, vcc_lo
	s_wait_kmcnt 0x0
	s_wait_alu 0xfffe
	s_add_nc_u64 s[0:1], s[0:1], s[2:3]
	s_delay_alu instid0(VALU_DEP_1)
	v_lshlrev_b32_e32 v1, 2, v1
	v_lshlrev_b32_e32 v0, 2, v0
	ds_bpermute_b32 v2, v0, v12
	s_wait_dscnt 0x0
	v_add_f32_e32 v3, v12, v2
	v_xor_b32_e32 v2, 4, v4
	v_xor_b32_e32 v12, 1, v4
	ds_bpermute_b32 v9, v1, v3
	v_cmp_gt_i32_e32 vcc_lo, 32, v2
	s_wait_dscnt 0x0
	s_wait_alu 0xfffd
	v_dual_cndmask_b32 v2, v4, v2 :: v_dual_add_f32 v9, v3, v9
	s_delay_alu instid0(VALU_DEP_1)
	v_lshlrev_b32_e32 v2, 2, v2
	v_xor_b32_e32 v3, 2, v4
	ds_bpermute_b32 v11, v2, v9
	v_cmp_gt_i32_e32 vcc_lo, 32, v3
	s_wait_alu 0xfffd
	v_cndmask_b32_e32 v3, v4, v3, vcc_lo
	v_cmp_gt_i32_e32 vcc_lo, 32, v12
	s_wait_alu 0xfffd
	v_cndmask_b32_e32 v4, v4, v12, vcc_lo
	v_cmp_eq_u32_e32 vcc_lo, 0, v6
	s_delay_alu instid0(VALU_DEP_2)
	v_lshlrev_b32_e32 v4, 2, v4
	v_lshlrev_b32_e32 v3, 2, v3
	s_wait_dscnt 0x0
	v_add_f32_e32 v9, v9, v11
	ds_bpermute_b32 v11, v3, v9
	s_wait_dscnt 0x0
	v_add_f32_e32 v9, v9, v11
	ds_bpermute_b32 v11, v4, v9
	s_and_saveexec_b32 s2, vcc_lo
	s_cbranch_execz .LBB212_7
; %bb.6:
	s_wait_dscnt 0x0
	v_dual_add_f32 v6, v9, v11 :: v_dual_mov_b32 v9, 0
	global_store_b32 v9, v6, s[0:1]
.LBB212_7:
	s_wait_alu 0xfffe
	s_or_b32 exec_lo, exec_lo, s2
	ds_bpermute_b32 v6, v0, v10
	s_wait_dscnt 0x0
	v_add_f32_e32 v6, v10, v6
	ds_bpermute_b32 v9, v1, v6
	s_wait_dscnt 0x0
	v_add_f32_e32 v6, v6, v9
	;; [unrolled: 3-line block ×4, first 2 shown]
	ds_bpermute_b32 v9, v4, v6
	s_and_saveexec_b32 s2, vcc_lo
	s_cbranch_execz .LBB212_9
; %bb.8:
	s_mov_b32 s7, 0
	s_wait_dscnt 0x0
	v_dual_add_f32 v6, v6, v9 :: v_dual_mov_b32 v9, 0
	s_lshl_b64 s[4:5], s[6:7], 2
	s_wait_alu 0xfffe
	s_add_nc_u64 s[4:5], s[0:1], s[4:5]
	global_store_b32 v9, v6, s[4:5]
.LBB212_9:
	s_wait_alu 0xfffe
	s_or_b32 exec_lo, exec_lo, s2
	ds_bpermute_b32 v6, v0, v8
	s_wait_dscnt 0x0
	v_add_f32_e32 v6, v8, v6
	ds_bpermute_b32 v8, v1, v6
	s_wait_dscnt 0x0
	v_add_f32_e32 v6, v6, v8
	;; [unrolled: 3-line block ×4, first 2 shown]
	ds_bpermute_b32 v8, v4, v6
	s_and_saveexec_b32 s2, vcc_lo
	s_cbranch_execz .LBB212_11
; %bb.10:
	s_lshl_b32 s4, s6, 1
	s_mov_b32 s5, 0
	s_wait_dscnt 0x0
	v_add_f32_e32 v6, v6, v8
	v_mov_b32_e32 v8, 0
	s_wait_alu 0xfffe
	s_lshl_b64 s[4:5], s[4:5], 2
	s_wait_alu 0xfffe
	s_add_nc_u64 s[4:5], s[0:1], s[4:5]
	global_store_b32 v8, v6, s[4:5]
.LBB212_11:
	s_wait_alu 0xfffe
	s_or_b32 exec_lo, exec_lo, s2
	ds_bpermute_b32 v6, v0, v7
	s_wait_dscnt 0x0
	v_add_f32_e32 v6, v7, v6
	ds_bpermute_b32 v7, v1, v6
	s_wait_dscnt 0x0
	v_add_f32_e32 v6, v6, v7
	ds_bpermute_b32 v7, v2, v6
	s_wait_dscnt 0x0
	v_add_f32_e32 v6, v6, v7
	ds_bpermute_b32 v7, v3, v6
	s_wait_dscnt 0x0
	v_add_f32_e32 v6, v6, v7
	ds_bpermute_b32 v7, v4, v6
	s_and_saveexec_b32 s2, vcc_lo
	s_cbranch_execz .LBB212_13
; %bb.12:
	s_mul_i32 s4, s6, 3
	s_mov_b32 s5, 0
	s_wait_dscnt 0x0
	v_dual_add_f32 v6, v6, v7 :: v_dual_mov_b32 v7, 0
	s_wait_alu 0xfffe
	s_lshl_b64 s[4:5], s[4:5], 2
	s_wait_alu 0xfffe
	s_add_nc_u64 s[4:5], s[0:1], s[4:5]
	global_store_b32 v7, v6, s[4:5]
.LBB212_13:
	s_wait_alu 0xfffe
	s_or_b32 exec_lo, exec_lo, s2
	ds_bpermute_b32 v0, v0, v5
	s_wait_dscnt 0x0
	v_add_f32_e32 v0, v5, v0
	ds_bpermute_b32 v1, v1, v0
	s_wait_dscnt 0x0
	v_add_f32_e32 v0, v0, v1
	;; [unrolled: 3-line block ×4, first 2 shown]
	ds_bpermute_b32 v1, v4, v0
	s_and_b32 exec_lo, exec_lo, vcc_lo
	s_cbranch_execz .LBB212_15
; %bb.14:
	s_lshl_b32 s2, s6, 2
	s_mov_b32 s3, 0
	s_wait_dscnt 0x0
	v_dual_add_f32 v0, v0, v1 :: v_dual_mov_b32 v1, 0
	s_wait_alu 0xfffe
	s_lshl_b64 s[2:3], s[2:3], 2
	s_wait_alu 0xfffe
	s_add_nc_u64 s[0:1], s[0:1], s[2:3]
	global_store_b32 v1, v0, s[0:1]
.LBB212_15:
	s_endpgm
	.section	.rodata,"a",@progbits
	.p2align	6, 0x0
	.amdhsa_kernel _ZL13mul_mat_vec_qIL9ggml_type19ELi5ELb0ELb0EEvPKvS2_PKi31ggml_cuda_mm_fusion_args_devicePfj15HIP_vector_typeIjLj3EEjjjS8_jjjS8_jjjj
		.amdhsa_group_segment_fixed_size 0
		.amdhsa_private_segment_fixed_size 0
		.amdhsa_kernarg_size 144
		.amdhsa_user_sgpr_count 2
		.amdhsa_user_sgpr_dispatch_ptr 0
		.amdhsa_user_sgpr_queue_ptr 0
		.amdhsa_user_sgpr_kernarg_segment_ptr 1
		.amdhsa_user_sgpr_dispatch_id 0
		.amdhsa_user_sgpr_private_segment_size 0
		.amdhsa_wavefront_size32 1
		.amdhsa_uses_dynamic_stack 0
		.amdhsa_enable_private_segment 0
		.amdhsa_system_sgpr_workgroup_id_x 1
		.amdhsa_system_sgpr_workgroup_id_y 1
		.amdhsa_system_sgpr_workgroup_id_z 1
		.amdhsa_system_sgpr_workgroup_info 0
		.amdhsa_system_vgpr_workitem_id 1
		.amdhsa_next_free_vgpr 77
		.amdhsa_next_free_sgpr 30
		.amdhsa_reserve_vcc 1
		.amdhsa_float_round_mode_32 0
		.amdhsa_float_round_mode_16_64 0
		.amdhsa_float_denorm_mode_32 3
		.amdhsa_float_denorm_mode_16_64 3
		.amdhsa_fp16_overflow 0
		.amdhsa_workgroup_processor_mode 1
		.amdhsa_memory_ordered 1
		.amdhsa_forward_progress 1
		.amdhsa_inst_pref_size 20
		.amdhsa_round_robin_scheduling 0
		.amdhsa_exception_fp_ieee_invalid_op 0
		.amdhsa_exception_fp_denorm_src 0
		.amdhsa_exception_fp_ieee_div_zero 0
		.amdhsa_exception_fp_ieee_overflow 0
		.amdhsa_exception_fp_ieee_underflow 0
		.amdhsa_exception_fp_ieee_inexact 0
		.amdhsa_exception_int_div_zero 0
	.end_amdhsa_kernel
	.section	.text._ZL13mul_mat_vec_qIL9ggml_type19ELi5ELb0ELb0EEvPKvS2_PKi31ggml_cuda_mm_fusion_args_devicePfj15HIP_vector_typeIjLj3EEjjjS8_jjjS8_jjjj,"axG",@progbits,_ZL13mul_mat_vec_qIL9ggml_type19ELi5ELb0ELb0EEvPKvS2_PKi31ggml_cuda_mm_fusion_args_devicePfj15HIP_vector_typeIjLj3EEjjjS8_jjjS8_jjjj,comdat
.Lfunc_end212:
	.size	_ZL13mul_mat_vec_qIL9ggml_type19ELi5ELb0ELb0EEvPKvS2_PKi31ggml_cuda_mm_fusion_args_devicePfj15HIP_vector_typeIjLj3EEjjjS8_jjjS8_jjjj, .Lfunc_end212-_ZL13mul_mat_vec_qIL9ggml_type19ELi5ELb0ELb0EEvPKvS2_PKi31ggml_cuda_mm_fusion_args_devicePfj15HIP_vector_typeIjLj3EEjjjS8_jjjS8_jjjj
                                        ; -- End function
	.set _ZL13mul_mat_vec_qIL9ggml_type19ELi5ELb0ELb0EEvPKvS2_PKi31ggml_cuda_mm_fusion_args_devicePfj15HIP_vector_typeIjLj3EEjjjS8_jjjS8_jjjj.num_vgpr, 77
	.set _ZL13mul_mat_vec_qIL9ggml_type19ELi5ELb0ELb0EEvPKvS2_PKi31ggml_cuda_mm_fusion_args_devicePfj15HIP_vector_typeIjLj3EEjjjS8_jjjS8_jjjj.num_agpr, 0
	.set _ZL13mul_mat_vec_qIL9ggml_type19ELi5ELb0ELb0EEvPKvS2_PKi31ggml_cuda_mm_fusion_args_devicePfj15HIP_vector_typeIjLj3EEjjjS8_jjjS8_jjjj.numbered_sgpr, 30
	.set _ZL13mul_mat_vec_qIL9ggml_type19ELi5ELb0ELb0EEvPKvS2_PKi31ggml_cuda_mm_fusion_args_devicePfj15HIP_vector_typeIjLj3EEjjjS8_jjjS8_jjjj.num_named_barrier, 0
	.set _ZL13mul_mat_vec_qIL9ggml_type19ELi5ELb0ELb0EEvPKvS2_PKi31ggml_cuda_mm_fusion_args_devicePfj15HIP_vector_typeIjLj3EEjjjS8_jjjS8_jjjj.private_seg_size, 0
	.set _ZL13mul_mat_vec_qIL9ggml_type19ELi5ELb0ELb0EEvPKvS2_PKi31ggml_cuda_mm_fusion_args_devicePfj15HIP_vector_typeIjLj3EEjjjS8_jjjS8_jjjj.uses_vcc, 1
	.set _ZL13mul_mat_vec_qIL9ggml_type19ELi5ELb0ELb0EEvPKvS2_PKi31ggml_cuda_mm_fusion_args_devicePfj15HIP_vector_typeIjLj3EEjjjS8_jjjS8_jjjj.uses_flat_scratch, 0
	.set _ZL13mul_mat_vec_qIL9ggml_type19ELi5ELb0ELb0EEvPKvS2_PKi31ggml_cuda_mm_fusion_args_devicePfj15HIP_vector_typeIjLj3EEjjjS8_jjjS8_jjjj.has_dyn_sized_stack, 0
	.set _ZL13mul_mat_vec_qIL9ggml_type19ELi5ELb0ELb0EEvPKvS2_PKi31ggml_cuda_mm_fusion_args_devicePfj15HIP_vector_typeIjLj3EEjjjS8_jjjS8_jjjj.has_recursion, 0
	.set _ZL13mul_mat_vec_qIL9ggml_type19ELi5ELb0ELb0EEvPKvS2_PKi31ggml_cuda_mm_fusion_args_devicePfj15HIP_vector_typeIjLj3EEjjjS8_jjjS8_jjjj.has_indirect_call, 0
	.section	.AMDGPU.csdata,"",@progbits
; Kernel info:
; codeLenInByte = 2492
; TotalNumSgprs: 32
; NumVgprs: 77
; ScratchSize: 0
; MemoryBound: 0
; FloatMode: 240
; IeeeMode: 1
; LDSByteSize: 0 bytes/workgroup (compile time only)
; SGPRBlocks: 0
; VGPRBlocks: 9
; NumSGPRsForWavesPerEU: 32
; NumVGPRsForWavesPerEU: 77
; Occupancy: 16
; WaveLimiterHint : 0
; COMPUTE_PGM_RSRC2:SCRATCH_EN: 0
; COMPUTE_PGM_RSRC2:USER_SGPR: 2
; COMPUTE_PGM_RSRC2:TRAP_HANDLER: 0
; COMPUTE_PGM_RSRC2:TGID_X_EN: 1
; COMPUTE_PGM_RSRC2:TGID_Y_EN: 1
; COMPUTE_PGM_RSRC2:TGID_Z_EN: 1
; COMPUTE_PGM_RSRC2:TIDIG_COMP_CNT: 1
	.section	.text._ZL13mul_mat_vec_qIL9ggml_type19ELi6ELb0ELb0EEvPKvS2_PKi31ggml_cuda_mm_fusion_args_devicePfj15HIP_vector_typeIjLj3EEjjjS8_jjjS8_jjjj,"axG",@progbits,_ZL13mul_mat_vec_qIL9ggml_type19ELi6ELb0ELb0EEvPKvS2_PKi31ggml_cuda_mm_fusion_args_devicePfj15HIP_vector_typeIjLj3EEjjjS8_jjjS8_jjjj,comdat
	.globl	_ZL13mul_mat_vec_qIL9ggml_type19ELi6ELb0ELb0EEvPKvS2_PKi31ggml_cuda_mm_fusion_args_devicePfj15HIP_vector_typeIjLj3EEjjjS8_jjjS8_jjjj ; -- Begin function _ZL13mul_mat_vec_qIL9ggml_type19ELi6ELb0ELb0EEvPKvS2_PKi31ggml_cuda_mm_fusion_args_devicePfj15HIP_vector_typeIjLj3EEjjjS8_jjjS8_jjjj
	.p2align	8
	.type	_ZL13mul_mat_vec_qIL9ggml_type19ELi6ELb0ELb0EEvPKvS2_PKi31ggml_cuda_mm_fusion_args_devicePfj15HIP_vector_typeIjLj3EEjjjS8_jjjS8_jjjj,@function
_ZL13mul_mat_vec_qIL9ggml_type19ELi6ELb0ELb0EEvPKvS2_PKi31ggml_cuda_mm_fusion_args_devicePfj15HIP_vector_typeIjLj3EEjjjS8_jjjS8_jjjj: ; @_ZL13mul_mat_vec_qIL9ggml_type19ELi6ELb0ELb0EEvPKvS2_PKi31ggml_cuda_mm_fusion_args_devicePfj15HIP_vector_typeIjLj3EEjjjS8_jjjS8_jjjj
; %bb.0:
	s_clause 0x5
	s_load_b96 s[16:18], s[0:1], 0x80
	s_load_b32 s2, s[0:1], 0x40
	s_load_b128 s[4:7], s[0:1], 0x50
	s_load_b32 s23, s[0:1], 0x60
	s_load_b128 s[8:11], s[0:1], 0x68
	s_load_b32 s24, s[0:1], 0x78
	v_bfe_u32 v11, v0, 10, 10
	v_dual_mov_b32 v7, 0 :: v_dual_and_b32 v8, 0x3ff, v0
	v_dual_mov_b32 v6, 0 :: v_dual_mov_b32 v9, 0
	v_mov_b32_e32 v10, 0
	s_delay_alu instid0(VALU_DEP_3)
	v_lshl_or_b32 v0, v11, 5, v8
	v_mov_b32_e32 v12, 0
	v_mov_b32_e32 v14, 0
	s_and_b32 s19, ttmp7, 0xffff
	s_lshr_b32 s20, ttmp7, 16
	v_lshrrev_b32_e32 v13, 3, v0
	s_mov_b32 s21, exec_lo
	s_wait_kmcnt 0x0
	s_lshr_b32 s22, s2, 8
	s_delay_alu instid0(VALU_DEP_1) | instid1(SALU_CYCLE_1)
	v_cmpx_gt_u32_e64 s22, v13
	s_cbranch_execz .LBB213_4
; %bb.1:
	v_lshl_add_u32 v0, v11, 5, v8
	s_mov_b32 s3, 0
	s_mul_i32 s26, s9, s19
	s_mov_b32 s27, s3
	s_load_b128 s[12:15], s[0:1], 0x0
	v_lshrrev_b32_e32 v0, 3, v0
	s_mul_u64 s[26:27], s[26:27], 36
	s_mul_i32 s2, s17, s20
	v_dual_mov_b32 v6, 0 :: v_dual_and_b32 v7, 7, v8
	s_delay_alu instid0(VALU_DEP_2)
	v_mad_co_u64_u32 v[0:1], null, 0x120, v0, s[26:27]
	v_lshlrev_b32_e32 v5, 3, v13
	s_mul_hi_u32 s7, s7, s19
	s_mul_hi_u32 s11, s11, s20
	s_add_co_i32 s7, s19, s7
	s_add_co_i32 s9, s20, s11
	s_mul_u64 s[28:29], s[2:3], 36
	s_delay_alu instid0(VALU_DEP_2)
	v_mad_co_u64_u32 v[2:3], null, s2, 36, v[0:1]
	s_lshr_b32 s7, s7, s23
	s_lshr_b32 s11, s9, s24
	s_mul_i32 s7, s7, s8
	v_lshlrev_b32_e32 v12, 1, v7
	s_wait_kmcnt 0x0
	s_add_nc_u64 s[8:9], s[14:15], s[28:29]
	s_mul_i32 s4, s4, ttmp9
	v_mad_co_u64_u32 v[9:10], null, v7, 36, v[2:3]
	v_mad_co_u64_u32 v[2:3], null, s5, 5, v[5:6]
	;; [unrolled: 1-line block ×3, first 2 shown]
	s_add_nc_u64 s[8:9], s[8:9], s[26:27]
	v_dual_mov_b32 v14, 0 :: v_dual_lshlrev_b32 v19, 1, v7
	v_add_co_u32 v4, vcc_lo, s14, v9
	s_delay_alu instid0(VALU_DEP_1) | instskip(SKIP_1) | instid1(VALU_DEP_3)
	v_add_co_ci_u32_e64 v9, null, s15, v10, vcc_lo
	v_mad_co_u64_u32 v[0:1], null, v7, 36, s[8:9]
	v_add_co_u32 v4, vcc_lo, v4, 16
	v_dual_mov_b32 v7, 0 :: v_dual_lshlrev_b32 v18, 1, v12
	v_dual_mov_b32 v10, 0 :: v_dual_add_nc_u32 v15, s5, v5
	v_mov_b32_e32 v12, 0
	v_lshl_add_u32 v16, s5, 2, v5
	v_lshl_add_u32 v17, s5, 1, v5
	s_wait_alu 0xfffd
	v_add_co_ci_u32_e64 v5, null, 0, v9, vcc_lo
	v_mov_b32_e32 v9, 0
	s_mul_i32 s11, s11, s16
	s_add_co_i32 s7, s7, s4
	s_mov_b32 s4, 0xb7000000
	s_add_co_i32 s2, s11, s7
.LBB213_2:                              ; =>This Inner Loop Header: Depth=1
	s_wait_alu 0xfffe
	v_add_nc_u32_e32 v20, s2, v13
	v_mad_co_u64_u32 v[48:49], null, v15, 36, v[0:1]
	v_mad_co_u64_u32 v[52:53], null, v17, 36, v[0:1]
	s_delay_alu instid0(VALU_DEP_3) | instskip(SKIP_3) | instid1(VALU_DEP_4)
	v_mad_co_i64_i32 v[68:69], null, v20, 50, s[12:13]
	v_mad_co_u64_u32 v[56:57], null, v3, 36, v[0:1]
	v_mad_co_u64_u32 v[60:61], null, v16, 36, v[0:1]
	v_mad_co_u64_u32 v[70:71], null, v2, 36, v[0:1]
	v_add_co_u32 v20, vcc_lo, v68, v18
	s_wait_alu 0xfffd
	v_add_co_ci_u32_e64 v21, null, 0, v69, vcc_lo
	v_add_co_u32 v22, vcc_lo, v68, v19
	s_wait_alu 0xfffd
	v_add_co_ci_u32_e64 v23, null, 0, v69, vcc_lo
	s_clause 0x1
	global_load_b32 v72, v[20:21], off offset:2
	global_load_u16 v73, v[22:23], off offset:34
	s_clause 0x1
	global_load_b128 v[20:23], v[4:5], off offset:-16
	global_load_b128 v[24:27], v[4:5], off
	s_clause 0xd
	global_load_b128 v[28:31], v[48:49], off
	global_load_b32 v74, v[48:49], off offset:32
	global_load_b128 v[32:35], v[52:53], off
	global_load_b128 v[36:39], v[56:57], off
	;; [unrolled: 1-line block ×4, first 2 shown]
	global_load_b32 v75, v[56:57], off offset:32
	global_load_b128 v[48:51], v[48:49], off offset:16
	global_load_b32 v76, v[52:53], off offset:32
	global_load_b128 v[52:55], v[52:53], off offset:16
	global_load_b128 v[56:59], v[56:57], off offset:16
	global_load_b32 v77, v[60:61], off offset:32
	global_load_b128 v[60:63], v[60:61], off offset:16
	global_load_b128 v[64:67], v[70:71], off offset:16
	global_load_u16 v68, v[68:69], off
	s_getpc_b64 s[8:9]
	s_wait_alu 0xfffe
	s_sext_i32_i16 s9, s9
	s_add_co_u32 s8, s8, _ZL13iq1s_grid_gpu@rel32@lo+12
	s_wait_alu 0xfffe
	s_add_co_ci_u32 s9, s9, _ZL13iq1s_grid_gpu@rel32@hi+24
	v_add_nc_u32_e32 v16, 32, v16
	v_add_nc_u32_e32 v17, 32, v17
	s_wait_loadcnt 0xa
	v_lshrrev_b32_e32 v84, 16, v40
	s_wait_loadcnt 0x9
	v_lshrrev_b32_e32 v85, 16, v44
	s_delay_alu instid0(VALU_DEP_2) | instskip(NEXT) | instid1(VALU_DEP_2)
	v_cvt_f32_f16_e32 v84, v84
	v_cvt_f32_f16_e32 v85, v85
	v_lshrrev_b32_e32 v69, 24, v72
	v_lshrrev_b32_e32 v83, 1, v73
	;; [unrolled: 1-line block ×3, first 2 shown]
	v_lshlrev_b32_e32 v81, 5, v73
	s_wait_loadcnt 0x0
	v_cvt_f32_f16_e32 v68, v68
	v_bfe_u32 v80, v72, 8, 8
	v_and_or_b32 v69, 0x700, v83, v69
	v_lshrrev_b32_e32 v83, 16, v36
	v_and_or_b32 v86, v86, 14, 1
	s_delay_alu instid0(VALU_DEP_2) | instskip(SKIP_1) | instid1(VALU_DEP_3)
	v_cvt_f32_f16_e32 v83, v83
	v_lshlrev_b32_e32 v82, 2, v73
	v_cvt_f32_ubyte0_e32 v86, v86
	v_lshlrev_b32_e32 v79, 8, v73
	s_delay_alu instid0(VALU_DEP_2) | instskip(SKIP_1) | instid1(VALU_DEP_2)
	v_dual_mul_f32 v68, v86, v68 :: v_dual_and_b32 v73, 0x8000, v73
	v_lshlrev_b32_e32 v69, 2, v69
	v_cvt_f32_u32_e32 v73, v73
	s_delay_alu instid0(VALU_DEP_1) | instskip(SKIP_2) | instid1(VALU_DEP_3)
	v_dual_fmaak_f32 v73, s4, v73, 0xbf600000 :: v_dual_add_nc_u32 v2, 32, v2
	v_and_b32_e32 v78, 0xff, v72
	v_bfe_u32 v72, v72, 16, 8
	v_mul_f32_e32 v83, v73, v83
	s_delay_alu instid0(VALU_DEP_3) | instskip(NEXT) | instid1(VALU_DEP_3)
	v_and_or_b32 v78, 0x700, v79, v78
	v_and_or_b32 v72, 0x700, v82, v72
	v_lshrrev_b32_e32 v82, 16, v32
	v_mul_f32_e32 v84, v73, v84
	s_delay_alu instid0(VALU_DEP_4) | instskip(NEXT) | instid1(VALU_DEP_4)
	v_lshlrev_b32_e32 v78, 2, v78
	v_lshlrev_b32_e32 v72, 2, v72
	s_delay_alu instid0(VALU_DEP_4) | instskip(NEXT) | instid1(VALU_DEP_1)
	v_cvt_f32_f16_e32 v82, v82
	v_mul_f32_e32 v82, v73, v82
	v_and_or_b32 v79, 0x700, v81, v80
	v_lshrrev_b32_e32 v81, 16, v28
	s_delay_alu instid0(VALU_DEP_2)
	v_lshlrev_b32_e32 v79, 2, v79
	s_clause 0x3
	global_load_b32 v78, v78, s[8:9]
	global_load_b32 v79, v79, s[8:9]
	;; [unrolled: 1-line block ×4, first 2 shown]
	global_load_b32 v80, v[4:5], off offset:16
	global_load_b32 v70, v[70:71], off offset:32
	v_lshrrev_b32_e32 v71, 16, v20
	v_cvt_f32_f16_e32 v81, v81
	v_add_co_u32 v4, vcc_lo, 0x480, v4
	s_wait_alu 0xfffd
	v_add_co_ci_u32_e64 v5, null, 0, v5, vcc_lo
	v_cvt_f32_f16_e32 v71, v71
	v_mul_f32_e32 v81, v73, v81
	s_delay_alu instid0(VALU_DEP_2)
	v_mul_f32_e32 v71, v73, v71
	v_mul_f32_e32 v73, v73, v85
	s_wait_loadcnt 0x5
	v_lshrrev_b32_e32 v85, 4, v78
	v_and_b32_e32 v78, 0xf0f0f0f, v78
	s_wait_loadcnt 0x4
	v_and_b32_e32 v86, 0xf0f0f0f, v79
	v_lshrrev_b32_e32 v79, 4, v79
	v_and_b32_e32 v85, 0xf0f0f0f, v85
	v_dot4_i32_iu8 v21, v78, v21, 0 neg_lo:[1,1,0]
	v_dot4_i32_iu8 v29, v78, v29, 0 neg_lo:[1,1,0]
	;; [unrolled: 1-line block ×15, first 2 shown]
	v_and_b32_e32 v35, 0xf0f0f0f, v79
	v_dot4_i32_iu8 v29, v86, v39, v30 neg_lo:[1,1,0]
	v_dot4_i32_iu8 v30, v86, v43, v33 neg_lo:[1,1,0]
	;; [unrolled: 1-line block ×3, first 2 shown]
	s_wait_loadcnt 0x3
	v_and_b32_e32 v37, 0xf0f0f0f, v72
	v_lshrrev_b32_e32 v38, 4, v72
	v_dot4_i32_iu8 v21, v35, v24, v21 neg_lo:[1,1,0]
	v_dot4_i32_iu8 v22, v35, v48, v22 neg_lo:[1,1,0]
	;; [unrolled: 1-line block ×6, first 2 shown]
	v_and_b32_e32 v38, 0xf0f0f0f, v38
	v_dot4_i32_iu8 v21, v37, v25, v21 neg_lo:[1,1,0]
	v_dot4_i32_iu8 v22, v37, v49, v22 neg_lo:[1,1,0]
	;; [unrolled: 1-line block ×6, first 2 shown]
	s_wait_loadcnt 0x2
	v_and_b32_e32 v33, 0xf0f0f0f, v69
	v_lshrrev_b32_e32 v34, 4, v69
	v_dot4_i32_iu8 v21, v38, v26, v21 neg_lo:[1,1,0]
	v_dot4_i32_iu8 v22, v38, v50, v22 neg_lo:[1,1,0]
	v_dot4_i32_iu8 v23, v38, v54, v23 neg_lo:[1,1,0]
	v_dot4_i32_iu8 v24, v38, v58, v24 neg_lo:[1,1,0]
	v_dot4_i32_iu8 v25, v38, v62, v25 neg_lo:[1,1,0]
	v_dot4_i32_iu8 v26, v38, v66, v29 neg_lo:[1,1,0]
	v_and_b32_e32 v34, 0xf0f0f0f, v34
	v_dot4_i32_iu8 v21, v33, v27, v21 neg_lo:[1,1,0]
	v_dot4_i32_iu8 v22, v33, v51, v22 neg_lo:[1,1,0]
	v_dot4_i32_iu8 v23, v33, v55, v23 neg_lo:[1,1,0]
	v_dot4_i32_iu8 v24, v33, v59, v24 neg_lo:[1,1,0]
	v_dot4_i32_iu8 v25, v33, v63, v25 neg_lo:[1,1,0]
	v_dot4_i32_iu8 v26, v33, v67, v26 neg_lo:[1,1,0]
	s_wait_loadcnt 0x1
	v_dot4_i32_iu8 v21, v34, v80, v21 neg_lo:[1,1,0]
	v_dot4_i32_iu8 v22, v34, v74, v22 neg_lo:[1,1,0]
	;; [unrolled: 1-line block ×5, first 2 shown]
	s_wait_loadcnt 0x0
	v_dot4_i32_iu8 v26, v34, v70, v26 neg_lo:[1,1,0]
	v_cvt_f32_i32_e32 v21, v21
	v_cvt_f32_i32_e32 v22, v22
	;; [unrolled: 1-line block ×6, first 2 shown]
	v_fma_mix_f32 v20, v21, v20, v71 op_sel_hi:[0,1,0]
	v_fma_mix_f32 v21, v22, v28, v81 op_sel_hi:[0,1,0]
	;; [unrolled: 1-line block ×3, first 2 shown]
	v_add_nc_u32_e32 v13, 4, v13
	v_fma_mix_f32 v23, v24, v36, v83 op_sel_hi:[0,1,0]
	v_fma_mix_f32 v24, v25, v40, v84 op_sel_hi:[0,1,0]
	;; [unrolled: 1-line block ×3, first 2 shown]
	v_fmac_f32_e32 v10, v68, v22
	v_cmp_le_u32_e32 vcc_lo, s22, v13
	v_dual_fmac_f32 v12, v68, v21 :: v_dual_add_nc_u32 v15, 32, v15
	s_delay_alu instid0(VALU_DEP_4)
	v_dual_fmac_f32 v6, v68, v25 :: v_dual_add_nc_u32 v3, 32, v3
	v_fmac_f32_e32 v14, v68, v20
	v_fmac_f32_e32 v9, v68, v23
	;; [unrolled: 1-line block ×3, first 2 shown]
	s_or_b32 s3, vcc_lo, s3
	s_wait_alu 0xfffe
	s_and_not1_b32 exec_lo, exec_lo, s3
	s_cbranch_execnz .LBB213_2
; %bb.3:
	s_or_b32 exec_lo, exec_lo, s3
.LBB213_4:
	s_delay_alu instid0(SALU_CYCLE_1)
	s_or_b32 exec_lo, exec_lo, s21
	s_mov_b32 s3, 0
	; wave barrier
	global_inv scope:SCOPE_SE
	s_mov_b32 s2, exec_lo
	v_cmpx_eq_u32_e32 0, v11
	s_cbranch_execz .LBB213_17
; %bb.5:
	v_mbcnt_lo_u32_b32 v4, -1, 0
	s_load_b64 s[0:1], s[0:1], 0x38
	s_mul_i32 s2, s10, s19
	s_mul_i32 s4, s18, s20
	s_wait_alu 0xfffe
	s_add_co_i32 s2, s2, ttmp9
	v_xor_b32_e32 v0, 16, v4
	v_xor_b32_e32 v1, 8, v4
	;; [unrolled: 1-line block ×3, first 2 shown]
	s_wait_alu 0xfffe
	s_add_co_i32 s2, s2, s4
	s_wait_alu 0xfffe
	s_lshl_b64 s[2:3], s[2:3], 2
	v_cmp_gt_i32_e32 vcc_lo, 32, v0
	s_wait_alu 0xfffd
	v_cndmask_b32_e32 v0, v4, v0, vcc_lo
	v_cmp_gt_i32_e32 vcc_lo, 32, v1
	s_wait_kmcnt 0x0
	s_wait_alu 0xfffe
	s_add_nc_u64 s[0:1], s[0:1], s[2:3]
	s_wait_alu 0xfffd
	v_cndmask_b32_e32 v1, v4, v1, vcc_lo
	s_delay_alu instid0(VALU_DEP_1)
	v_lshlrev_b32_e32 v1, 2, v1
	v_lshlrev_b32_e32 v0, 2, v0
	ds_bpermute_b32 v2, v0, v14
	s_wait_dscnt 0x0
	v_add_f32_e32 v3, v14, v2
	v_xor_b32_e32 v2, 4, v4
	ds_bpermute_b32 v5, v1, v3
	v_cmp_gt_i32_e32 vcc_lo, 32, v2
	s_wait_dscnt 0x0
	s_wait_alu 0xfffd
	v_dual_cndmask_b32 v2, v4, v2 :: v_dual_add_f32 v5, v3, v5
	s_delay_alu instid0(VALU_DEP_1)
	v_lshlrev_b32_e32 v2, 2, v2
	v_xor_b32_e32 v3, 2, v4
	ds_bpermute_b32 v11, v2, v5
	v_cmp_gt_i32_e32 vcc_lo, 32, v3
	s_wait_alu 0xfffd
	v_cndmask_b32_e32 v3, v4, v3, vcc_lo
	v_cmp_gt_i32_e32 vcc_lo, 32, v13
	s_wait_alu 0xfffd
	v_cndmask_b32_e32 v4, v4, v13, vcc_lo
	v_cmp_eq_u32_e32 vcc_lo, 0, v8
	s_delay_alu instid0(VALU_DEP_2)
	v_lshlrev_b32_e32 v4, 2, v4
	v_lshlrev_b32_e32 v3, 2, v3
	s_wait_dscnt 0x0
	v_add_f32_e32 v5, v5, v11
	ds_bpermute_b32 v11, v3, v5
	s_wait_dscnt 0x0
	v_add_f32_e32 v5, v5, v11
	ds_bpermute_b32 v11, v4, v5
	s_and_saveexec_b32 s2, vcc_lo
	s_cbranch_execz .LBB213_7
; %bb.6:
	s_wait_dscnt 0x0
	v_dual_add_f32 v5, v5, v11 :: v_dual_mov_b32 v8, 0
	global_store_b32 v8, v5, s[0:1]
.LBB213_7:
	s_wait_alu 0xfffe
	s_or_b32 exec_lo, exec_lo, s2
	ds_bpermute_b32 v5, v0, v12
	s_wait_dscnt 0x0
	v_add_f32_e32 v5, v12, v5
	ds_bpermute_b32 v8, v1, v5
	s_wait_dscnt 0x0
	v_add_f32_e32 v5, v5, v8
	;; [unrolled: 3-line block ×4, first 2 shown]
	ds_bpermute_b32 v8, v4, v5
	s_and_saveexec_b32 s2, vcc_lo
	s_cbranch_execz .LBB213_9
; %bb.8:
	s_mov_b32 s7, 0
	s_wait_dscnt 0x0
	v_dual_add_f32 v5, v5, v8 :: v_dual_mov_b32 v8, 0
	s_lshl_b64 s[4:5], s[6:7], 2
	s_wait_alu 0xfffe
	s_add_nc_u64 s[4:5], s[0:1], s[4:5]
	global_store_b32 v8, v5, s[4:5]
.LBB213_9:
	s_wait_alu 0xfffe
	s_or_b32 exec_lo, exec_lo, s2
	ds_bpermute_b32 v5, v0, v10
	s_wait_dscnt 0x0
	v_add_f32_e32 v5, v10, v5
	ds_bpermute_b32 v8, v1, v5
	s_wait_dscnt 0x0
	v_add_f32_e32 v5, v5, v8
	;; [unrolled: 3-line block ×4, first 2 shown]
	ds_bpermute_b32 v8, v4, v5
	s_and_saveexec_b32 s2, vcc_lo
	s_cbranch_execz .LBB213_11
; %bb.10:
	s_lshl_b32 s4, s6, 1
	s_mov_b32 s5, 0
	s_wait_dscnt 0x0
	v_dual_add_f32 v5, v5, v8 :: v_dual_mov_b32 v8, 0
	s_wait_alu 0xfffe
	s_lshl_b64 s[4:5], s[4:5], 2
	s_wait_alu 0xfffe
	s_add_nc_u64 s[4:5], s[0:1], s[4:5]
	global_store_b32 v8, v5, s[4:5]
.LBB213_11:
	s_wait_alu 0xfffe
	s_or_b32 exec_lo, exec_lo, s2
	ds_bpermute_b32 v5, v0, v9
	s_wait_dscnt 0x0
	v_add_f32_e32 v5, v9, v5
	ds_bpermute_b32 v8, v1, v5
	s_wait_dscnt 0x0
	v_add_f32_e32 v5, v5, v8
	;; [unrolled: 3-line block ×4, first 2 shown]
	ds_bpermute_b32 v8, v4, v5
	s_and_saveexec_b32 s2, vcc_lo
	s_cbranch_execz .LBB213_13
; %bb.12:
	s_mul_i32 s4, s6, 3
	s_mov_b32 s5, 0
	s_wait_dscnt 0x0
	v_dual_add_f32 v5, v5, v8 :: v_dual_mov_b32 v8, 0
	s_wait_alu 0xfffe
	s_lshl_b64 s[4:5], s[4:5], 2
	s_wait_alu 0xfffe
	s_add_nc_u64 s[4:5], s[0:1], s[4:5]
	global_store_b32 v8, v5, s[4:5]
.LBB213_13:
	s_wait_alu 0xfffe
	s_or_b32 exec_lo, exec_lo, s2
	ds_bpermute_b32 v5, v0, v7
	s_wait_dscnt 0x0
	v_add_f32_e32 v5, v7, v5
	ds_bpermute_b32 v7, v1, v5
	s_wait_dscnt 0x0
	v_add_f32_e32 v5, v5, v7
	ds_bpermute_b32 v7, v2, v5
	s_wait_dscnt 0x0
	v_add_f32_e32 v5, v5, v7
	ds_bpermute_b32 v7, v3, v5
	s_wait_dscnt 0x0
	v_add_f32_e32 v5, v5, v7
	ds_bpermute_b32 v7, v4, v5
	s_and_saveexec_b32 s2, vcc_lo
	s_cbranch_execz .LBB213_15
; %bb.14:
	s_lshl_b32 s4, s6, 2
	s_mov_b32 s5, 0
	s_wait_dscnt 0x0
	v_add_f32_e32 v5, v5, v7
	v_mov_b32_e32 v7, 0
	s_wait_alu 0xfffe
	s_lshl_b64 s[4:5], s[4:5], 2
	s_wait_alu 0xfffe
	s_add_nc_u64 s[4:5], s[0:1], s[4:5]
	global_store_b32 v7, v5, s[4:5]
.LBB213_15:
	s_wait_alu 0xfffe
	s_or_b32 exec_lo, exec_lo, s2
	ds_bpermute_b32 v0, v0, v6
	s_wait_dscnt 0x0
	v_add_f32_e32 v0, v6, v0
	ds_bpermute_b32 v1, v1, v0
	s_wait_dscnt 0x0
	v_add_f32_e32 v0, v0, v1
	;; [unrolled: 3-line block ×4, first 2 shown]
	ds_bpermute_b32 v1, v4, v0
	s_and_b32 exec_lo, exec_lo, vcc_lo
	s_cbranch_execz .LBB213_17
; %bb.16:
	s_mul_i32 s2, s6, 5
	s_mov_b32 s3, 0
	s_wait_dscnt 0x0
	v_dual_add_f32 v0, v0, v1 :: v_dual_mov_b32 v1, 0
	s_wait_alu 0xfffe
	s_lshl_b64 s[2:3], s[2:3], 2
	s_wait_alu 0xfffe
	s_add_nc_u64 s[0:1], s[0:1], s[2:3]
	global_store_b32 v1, v0, s[0:1]
.LBB213_17:
	s_endpgm
	.section	.rodata,"a",@progbits
	.p2align	6, 0x0
	.amdhsa_kernel _ZL13mul_mat_vec_qIL9ggml_type19ELi6ELb0ELb0EEvPKvS2_PKi31ggml_cuda_mm_fusion_args_devicePfj15HIP_vector_typeIjLj3EEjjjS8_jjjS8_jjjj
		.amdhsa_group_segment_fixed_size 0
		.amdhsa_private_segment_fixed_size 0
		.amdhsa_kernarg_size 144
		.amdhsa_user_sgpr_count 2
		.amdhsa_user_sgpr_dispatch_ptr 0
		.amdhsa_user_sgpr_queue_ptr 0
		.amdhsa_user_sgpr_kernarg_segment_ptr 1
		.amdhsa_user_sgpr_dispatch_id 0
		.amdhsa_user_sgpr_private_segment_size 0
		.amdhsa_wavefront_size32 1
		.amdhsa_uses_dynamic_stack 0
		.amdhsa_enable_private_segment 0
		.amdhsa_system_sgpr_workgroup_id_x 1
		.amdhsa_system_sgpr_workgroup_id_y 1
		.amdhsa_system_sgpr_workgroup_id_z 1
		.amdhsa_system_sgpr_workgroup_info 0
		.amdhsa_system_vgpr_workitem_id 1
		.amdhsa_next_free_vgpr 87
		.amdhsa_next_free_sgpr 30
		.amdhsa_reserve_vcc 1
		.amdhsa_float_round_mode_32 0
		.amdhsa_float_round_mode_16_64 0
		.amdhsa_float_denorm_mode_32 3
		.amdhsa_float_denorm_mode_16_64 3
		.amdhsa_fp16_overflow 0
		.amdhsa_workgroup_processor_mode 1
		.amdhsa_memory_ordered 1
		.amdhsa_forward_progress 1
		.amdhsa_inst_pref_size 22
		.amdhsa_round_robin_scheduling 0
		.amdhsa_exception_fp_ieee_invalid_op 0
		.amdhsa_exception_fp_denorm_src 0
		.amdhsa_exception_fp_ieee_div_zero 0
		.amdhsa_exception_fp_ieee_overflow 0
		.amdhsa_exception_fp_ieee_underflow 0
		.amdhsa_exception_fp_ieee_inexact 0
		.amdhsa_exception_int_div_zero 0
	.end_amdhsa_kernel
	.section	.text._ZL13mul_mat_vec_qIL9ggml_type19ELi6ELb0ELb0EEvPKvS2_PKi31ggml_cuda_mm_fusion_args_devicePfj15HIP_vector_typeIjLj3EEjjjS8_jjjS8_jjjj,"axG",@progbits,_ZL13mul_mat_vec_qIL9ggml_type19ELi6ELb0ELb0EEvPKvS2_PKi31ggml_cuda_mm_fusion_args_devicePfj15HIP_vector_typeIjLj3EEjjjS8_jjjS8_jjjj,comdat
.Lfunc_end213:
	.size	_ZL13mul_mat_vec_qIL9ggml_type19ELi6ELb0ELb0EEvPKvS2_PKi31ggml_cuda_mm_fusion_args_devicePfj15HIP_vector_typeIjLj3EEjjjS8_jjjS8_jjjj, .Lfunc_end213-_ZL13mul_mat_vec_qIL9ggml_type19ELi6ELb0ELb0EEvPKvS2_PKi31ggml_cuda_mm_fusion_args_devicePfj15HIP_vector_typeIjLj3EEjjjS8_jjjS8_jjjj
                                        ; -- End function
	.set _ZL13mul_mat_vec_qIL9ggml_type19ELi6ELb0ELb0EEvPKvS2_PKi31ggml_cuda_mm_fusion_args_devicePfj15HIP_vector_typeIjLj3EEjjjS8_jjjS8_jjjj.num_vgpr, 87
	.set _ZL13mul_mat_vec_qIL9ggml_type19ELi6ELb0ELb0EEvPKvS2_PKi31ggml_cuda_mm_fusion_args_devicePfj15HIP_vector_typeIjLj3EEjjjS8_jjjS8_jjjj.num_agpr, 0
	.set _ZL13mul_mat_vec_qIL9ggml_type19ELi6ELb0ELb0EEvPKvS2_PKi31ggml_cuda_mm_fusion_args_devicePfj15HIP_vector_typeIjLj3EEjjjS8_jjjS8_jjjj.numbered_sgpr, 30
	.set _ZL13mul_mat_vec_qIL9ggml_type19ELi6ELb0ELb0EEvPKvS2_PKi31ggml_cuda_mm_fusion_args_devicePfj15HIP_vector_typeIjLj3EEjjjS8_jjjS8_jjjj.num_named_barrier, 0
	.set _ZL13mul_mat_vec_qIL9ggml_type19ELi6ELb0ELb0EEvPKvS2_PKi31ggml_cuda_mm_fusion_args_devicePfj15HIP_vector_typeIjLj3EEjjjS8_jjjS8_jjjj.private_seg_size, 0
	.set _ZL13mul_mat_vec_qIL9ggml_type19ELi6ELb0ELb0EEvPKvS2_PKi31ggml_cuda_mm_fusion_args_devicePfj15HIP_vector_typeIjLj3EEjjjS8_jjjS8_jjjj.uses_vcc, 1
	.set _ZL13mul_mat_vec_qIL9ggml_type19ELi6ELb0ELb0EEvPKvS2_PKi31ggml_cuda_mm_fusion_args_devicePfj15HIP_vector_typeIjLj3EEjjjS8_jjjS8_jjjj.uses_flat_scratch, 0
	.set _ZL13mul_mat_vec_qIL9ggml_type19ELi6ELb0ELb0EEvPKvS2_PKi31ggml_cuda_mm_fusion_args_devicePfj15HIP_vector_typeIjLj3EEjjjS8_jjjS8_jjjj.has_dyn_sized_stack, 0
	.set _ZL13mul_mat_vec_qIL9ggml_type19ELi6ELb0ELb0EEvPKvS2_PKi31ggml_cuda_mm_fusion_args_devicePfj15HIP_vector_typeIjLj3EEjjjS8_jjjS8_jjjj.has_recursion, 0
	.set _ZL13mul_mat_vec_qIL9ggml_type19ELi6ELb0ELb0EEvPKvS2_PKi31ggml_cuda_mm_fusion_args_devicePfj15HIP_vector_typeIjLj3EEjjjS8_jjjS8_jjjj.has_indirect_call, 0
	.section	.AMDGPU.csdata,"",@progbits
; Kernel info:
; codeLenInByte = 2792
; TotalNumSgprs: 32
; NumVgprs: 87
; ScratchSize: 0
; MemoryBound: 0
; FloatMode: 240
; IeeeMode: 1
; LDSByteSize: 0 bytes/workgroup (compile time only)
; SGPRBlocks: 0
; VGPRBlocks: 10
; NumSGPRsForWavesPerEU: 32
; NumVGPRsForWavesPerEU: 87
; Occupancy: 16
; WaveLimiterHint : 0
; COMPUTE_PGM_RSRC2:SCRATCH_EN: 0
; COMPUTE_PGM_RSRC2:USER_SGPR: 2
; COMPUTE_PGM_RSRC2:TRAP_HANDLER: 0
; COMPUTE_PGM_RSRC2:TGID_X_EN: 1
; COMPUTE_PGM_RSRC2:TGID_Y_EN: 1
; COMPUTE_PGM_RSRC2:TGID_Z_EN: 1
; COMPUTE_PGM_RSRC2:TIDIG_COMP_CNT: 1
	.section	.text._ZL13mul_mat_vec_qIL9ggml_type19ELi7ELb0ELb0EEvPKvS2_PKi31ggml_cuda_mm_fusion_args_devicePfj15HIP_vector_typeIjLj3EEjjjS8_jjjS8_jjjj,"axG",@progbits,_ZL13mul_mat_vec_qIL9ggml_type19ELi7ELb0ELb0EEvPKvS2_PKi31ggml_cuda_mm_fusion_args_devicePfj15HIP_vector_typeIjLj3EEjjjS8_jjjS8_jjjj,comdat
	.globl	_ZL13mul_mat_vec_qIL9ggml_type19ELi7ELb0ELb0EEvPKvS2_PKi31ggml_cuda_mm_fusion_args_devicePfj15HIP_vector_typeIjLj3EEjjjS8_jjjS8_jjjj ; -- Begin function _ZL13mul_mat_vec_qIL9ggml_type19ELi7ELb0ELb0EEvPKvS2_PKi31ggml_cuda_mm_fusion_args_devicePfj15HIP_vector_typeIjLj3EEjjjS8_jjjS8_jjjj
	.p2align	8
	.type	_ZL13mul_mat_vec_qIL9ggml_type19ELi7ELb0ELb0EEvPKvS2_PKi31ggml_cuda_mm_fusion_args_devicePfj15HIP_vector_typeIjLj3EEjjjS8_jjjS8_jjjj,@function
_ZL13mul_mat_vec_qIL9ggml_type19ELi7ELb0ELb0EEvPKvS2_PKi31ggml_cuda_mm_fusion_args_devicePfj15HIP_vector_typeIjLj3EEjjjS8_jjjS8_jjjj: ; @_ZL13mul_mat_vec_qIL9ggml_type19ELi7ELb0ELb0EEvPKvS2_PKi31ggml_cuda_mm_fusion_args_devicePfj15HIP_vector_typeIjLj3EEjjjS8_jjjS8_jjjj
; %bb.0:
	s_clause 0x5
	s_load_b96 s[16:18], s[0:1], 0x80
	s_load_b32 s2, s[0:1], 0x40
	s_load_b128 s[4:7], s[0:1], 0x50
	s_load_b32 s23, s[0:1], 0x60
	s_load_b128 s[8:11], s[0:1], 0x68
	s_load_b32 s24, s[0:1], 0x78
	v_bfe_u32 v13, v0, 10, 10
	v_dual_mov_b32 v8, 0 :: v_dual_and_b32 v9, 0x3ff, v0
	v_dual_mov_b32 v7, 0 :: v_dual_mov_b32 v10, 0
	v_dual_mov_b32 v11, 0 :: v_dual_mov_b32 v12, 0
	s_delay_alu instid0(VALU_DEP_3)
	v_lshl_or_b32 v0, v13, 5, v9
	v_mov_b32_e32 v14, 0
	v_mov_b32_e32 v16, 0
	s_and_b32 s19, ttmp7, 0xffff
	s_lshr_b32 s20, ttmp7, 16
	v_lshrrev_b32_e32 v15, 3, v0
	s_mov_b32 s21, exec_lo
	s_wait_kmcnt 0x0
	s_lshr_b32 s22, s2, 8
	s_delay_alu instid0(VALU_DEP_1) | instid1(SALU_CYCLE_1)
	v_cmpx_gt_u32_e64 s22, v15
	s_cbranch_execz .LBB214_4
; %bb.1:
	v_lshl_add_u32 v0, v13, 5, v9
	s_mov_b32 s3, 0
	s_mul_i32 s26, s9, s19
	s_mov_b32 s27, s3
	s_load_b128 s[12:15], s[0:1], 0x0
	v_lshrrev_b32_e32 v0, 3, v0
	s_mul_u64 s[26:27], s[26:27], 36
	s_mul_i32 s2, s17, s20
	v_dual_mov_b32 v7, 0 :: v_dual_and_b32 v8, 7, v9
	s_delay_alu instid0(VALU_DEP_2)
	v_mad_co_u64_u32 v[0:1], null, 0x120, v0, s[26:27]
	v_lshlrev_b32_e32 v6, 3, v15
	s_mul_hi_u32 s7, s7, s19
	s_mul_hi_u32 s11, s11, s20
	s_add_co_i32 s7, s19, s7
	s_add_co_i32 s9, s20, s11
	s_mul_u64 s[28:29], s[2:3], 36
	s_delay_alu instid0(VALU_DEP_2)
	v_mad_co_u64_u32 v[2:3], null, s2, 36, v[0:1]
	s_lshr_b32 s7, s7, s23
	s_lshr_b32 s11, s9, s24
	s_mul_i32 s7, s7, s8
	v_lshlrev_b32_e32 v12, 1, v8
	s_wait_kmcnt 0x0
	s_add_nc_u64 s[8:9], s[14:15], s[28:29]
	s_mul_i32 s4, s4, ttmp9
	v_mad_co_u64_u32 v[10:11], null, v8, 36, v[2:3]
	v_mad_co_u64_u32 v[2:3], null, s5, 6, v[6:7]
	;; [unrolled: 1-line block ×4, first 2 shown]
	s_delay_alu instid0(VALU_DEP_4)
	v_add_co_u32 v5, vcc_lo, s14, v10
	s_add_nc_u64 s[8:9], s[8:9], s[26:27]
	v_add_co_ci_u32_e64 v10, null, s15, v11, vcc_lo
	v_mad_co_u64_u32 v[0:1], null, v8, 36, s[8:9]
	v_add_co_u32 v5, vcc_lo, v5, 16
	v_lshlrev_b32_e32 v20, 1, v12
	v_dual_mov_b32 v8, 0 :: v_dual_lshlrev_b32 v21, 1, v8
	v_mov_b32_e32 v11, 0
	v_add_nc_u32_e32 v17, s5, v6
	v_lshl_add_u32 v18, s5, 2, v6
	v_lshl_add_u32 v19, s5, 1, v6
	s_wait_alu 0xfffd
	v_add_co_ci_u32_e64 v6, null, 0, v10, vcc_lo
	v_mov_b32_e32 v10, 0
	v_mov_b32_e32 v12, 0
	;; [unrolled: 1-line block ×4, first 2 shown]
	s_mul_i32 s11, s11, s16
	s_add_co_i32 s7, s7, s4
	s_delay_alu instid0(SALU_CYCLE_1)
	s_add_co_i32 s2, s11, s7
	s_mov_b32 s7, 0xb7000000
.LBB214_2:                              ; =>This Inner Loop Header: Depth=1
	s_wait_alu 0xfffe
	v_add_nc_u32_e32 v30, s2, v15
	v_mad_co_u64_u32 v[38:39], null, v17, 36, v[0:1]
	v_mad_co_u64_u32 v[42:43], null, v19, 36, v[0:1]
	s_delay_alu instid0(VALU_DEP_3)
	v_mad_co_i64_i32 v[78:79], null, v30, 50, s[12:13]
	v_mad_co_u64_u32 v[70:71], null, v4, 36, v[0:1]
	s_clause 0x1
	global_load_b128 v[22:25], v[5:6], off offset:-16
	global_load_b128 v[26:29], v[5:6], off
	v_mad_co_u64_u32 v[72:73], null, v18, 36, v[0:1]
	v_mad_co_u64_u32 v[74:75], null, v3, 36, v[0:1]
	v_add_co_u32 v80, vcc_lo, v78, v20
	s_wait_alu 0xfffd
	v_add_co_ci_u32_e64 v81, null, 0, v79, vcc_lo
	v_add_co_u32 v82, vcc_lo, v78, v21
	s_wait_alu 0xfffd
	v_add_co_ci_u32_e64 v83, null, 0, v79, vcc_lo
	v_mad_co_u64_u32 v[76:77], null, v2, 36, v[0:1]
	s_clause 0xb
	global_load_b128 v[30:33], v[38:39], off
	global_load_b128 v[34:37], v[38:39], off offset:16
	global_load_b32 v84, v[38:39], off offset:32
	global_load_b128 v[38:41], v[42:43], off
	global_load_b32 v85, v[42:43], off offset:32
	global_load_b128 v[42:45], v[42:43], off offset:16
	global_load_b128 v[46:49], v[70:71], off
	global_load_b128 v[50:53], v[70:71], off offset:16
	global_load_b128 v[54:57], v[72:73], off
	;; [unrolled: 2-line block ×3, first 2 shown]
	global_load_b128 v[66:69], v[76:77], off
	s_clause 0x2
	global_load_b32 v80, v[80:81], off offset:2
	global_load_u16 v81, v[82:83], off offset:34
	global_load_u16 v78, v[78:79], off
	s_getpc_b64 s[4:5]
	s_wait_alu 0xfffe
	s_sext_i32_i16 s5, s5
	s_add_co_u32 s4, s4, _ZL13iq1s_grid_gpu@rel32@lo+12
	s_wait_alu 0xfffe
	s_add_co_ci_u32 s5, s5, _ZL13iq1s_grid_gpu@rel32@hi+24
	v_add_nc_u32_e32 v15, 4, v15
	v_add_nc_u32_e32 v2, 32, v2
	;; [unrolled: 1-line block ×6, first 2 shown]
	s_wait_loadcnt 0x2
	v_and_b32_e32 v82, 0xff, v80
	s_wait_loadcnt 0x1
	v_lshlrev_b32_e32 v83, 8, v81
	v_bfe_u32 v86, v80, 8, 8
	v_lshlrev_b32_e32 v87, 5, v81
	v_lshrrev_b32_e32 v79, 24, v80
	v_bfe_u32 v80, v80, 16, 8
	v_lshlrev_b32_e32 v88, 2, v81
	v_lshrrev_b32_e32 v89, 1, v81
	v_and_or_b32 v82, 0x700, v83, v82
	v_and_or_b32 v83, 0x700, v87, v86
	s_delay_alu instid0(VALU_DEP_4) | instskip(NEXT) | instid1(VALU_DEP_4)
	v_and_or_b32 v80, 0x700, v88, v80
	v_and_or_b32 v79, 0x700, v89, v79
	s_delay_alu instid0(VALU_DEP_4) | instskip(NEXT) | instid1(VALU_DEP_4)
	v_lshlrev_b32_e32 v82, 2, v82
	v_lshlrev_b32_e32 v83, 2, v83
	s_delay_alu instid0(VALU_DEP_4) | instskip(NEXT) | instid1(VALU_DEP_4)
	v_lshlrev_b32_e32 v80, 2, v80
	v_lshlrev_b32_e32 v79, 2, v79
	s_clause 0x3
	global_load_b32 v82, v82, s[4:5]
	global_load_b32 v83, v83, s[4:5]
	;; [unrolled: 1-line block ×4, first 2 shown]
	s_wait_loadcnt 0x3
	v_and_b32_e32 v86, 0xf0f0f0f, v82
	v_lshrrev_b32_e32 v82, 4, v82
	s_wait_loadcnt 0x2
	v_and_b32_e32 v87, 0xf0f0f0f, v83
	v_lshrrev_b32_e32 v83, 4, v83
	v_dot4_i32_iu8 v31, v86, v31, 0 neg_lo:[1,1,0]
	v_and_b32_e32 v82, 0xf0f0f0f, v82
	s_delay_alu instid0(VALU_DEP_3) | instskip(NEXT) | instid1(VALU_DEP_2)
	v_and_b32_e32 v83, 0xf0f0f0f, v83
	v_dot4_i32_iu8 v31, v82, v32, v31 neg_lo:[1,1,0]
	v_lshrrev_b32_e32 v32, 16, v46
	s_delay_alu instid0(VALU_DEP_2) | instskip(SKIP_1) | instid1(VALU_DEP_3)
	v_dot4_i32_iu8 v31, v87, v33, v31 neg_lo:[1,1,0]
	v_lshrrev_b32_e32 v33, 16, v54
	v_cvt_f32_f16_e32 v32, v32
	s_delay_alu instid0(VALU_DEP_3) | instskip(SKIP_1) | instid1(VALU_DEP_4)
	v_dot4_i32_iu8 v31, v83, v34, v31 neg_lo:[1,1,0]
	v_dot4_i32_iu8 v34, v86, v39, 0 neg_lo:[1,1,0]
	v_cvt_f32_f16_e32 v33, v33
	s_delay_alu instid0(VALU_DEP_2) | instskip(SKIP_1) | instid1(VALU_DEP_2)
	v_dot4_i32_iu8 v34, v82, v40, v34 neg_lo:[1,1,0]
	v_lshrrev_b32_e32 v40, 11, v81
	v_dot4_i32_iu8 v34, v87, v41, v34 neg_lo:[1,1,0]
	s_delay_alu instid0(VALU_DEP_2) | instskip(NEXT) | instid1(VALU_DEP_2)
	v_and_or_b32 v40, v40, 14, 1
	v_dot4_i32_iu8 v34, v83, v42, v34 neg_lo:[1,1,0]
	v_cvt_f32_f16_e32 v42, v78
	s_delay_alu instid0(VALU_DEP_3) | instskip(NEXT) | instid1(VALU_DEP_1)
	v_cvt_f32_ubyte0_e32 v40, v40
	v_mul_f32_e32 v40, v40, v42
	s_wait_loadcnt 0x1
	v_and_b32_e32 v88, 0xf0f0f0f, v80
	v_lshrrev_b32_e32 v80, 4, v80
	s_wait_loadcnt 0x0
	v_and_b32_e32 v89, 0xf0f0f0f, v79
	v_and_b32_e32 v41, 0x8000, v81
	v_dot4_i32_iu8 v31, v88, v35, v31 neg_lo:[1,1,0]
	v_and_b32_e32 v80, 0xf0f0f0f, v80
	v_dot4_i32_iu8 v34, v88, v43, v34 neg_lo:[1,1,0]
	s_delay_alu instid0(VALU_DEP_4) | instskip(NEXT) | instid1(VALU_DEP_3)
	v_cvt_f32_u32_e32 v41, v41
	v_dot4_i32_iu8 v31, v80, v36, v31 neg_lo:[1,1,0]
	s_delay_alu instid0(VALU_DEP_3) | instskip(NEXT) | instid1(VALU_DEP_3)
	v_dot4_i32_iu8 v34, v80, v44, v34 neg_lo:[1,1,0]
	v_fmaak_f32 v41, s7, v41, 0xbf600000
	s_delay_alu instid0(VALU_DEP_3)
	v_dot4_i32_iu8 v35, v89, v37, v31 neg_lo:[1,1,0]
	v_lshrrev_b32_e32 v37, 16, v66
	v_lshrrev_b32_e32 v31, 16, v38
	v_dot4_i32_iu8 v36, v89, v45, v34 neg_lo:[1,1,0]
	v_lshrrev_b32_e32 v34, 16, v62
	v_mul_f32_e32 v44, v41, v32
	v_cvt_f32_f16_e32 v37, v37
	v_cvt_f32_f16_e32 v31, v31
	v_mul_f32_e32 v45, v41, v33
	v_cvt_f32_f16_e32 v34, v34
	s_delay_alu instid0(VALU_DEP_4)
	v_mul_f32_e32 v37, v41, v37
	v_dot4_i32_iu8 v23, v86, v23, 0 neg_lo:[1,1,0]
	v_mul_f32_e32 v43, v41, v31
	v_dot4_i32_iu8 v31, v86, v47, 0 neg_lo:[1,1,0]
	v_dot4_i32_iu8 v32, v86, v55, 0 neg_lo:[1,1,0]
	v_dot4_i32_iu8 v33, v86, v63, 0 neg_lo:[1,1,0]
	v_dot4_i32_iu8 v23, v82, v24, v23 neg_lo:[1,1,0]
	s_delay_alu instid0(VALU_DEP_4) | instskip(NEXT) | instid1(VALU_DEP_4)
	v_dot4_i32_iu8 v31, v82, v48, v31 neg_lo:[1,1,0]
	v_dot4_i32_iu8 v32, v82, v56, v32 neg_lo:[1,1,0]
	s_delay_alu instid0(VALU_DEP_4) | instskip(NEXT) | instid1(VALU_DEP_4)
	v_dot4_i32_iu8 v33, v82, v64, v33 neg_lo:[1,1,0]
	v_dot4_i32_iu8 v23, v87, v25, v23 neg_lo:[1,1,0]
	;; [unrolled: 3-line block ×5, first 2 shown]
	s_delay_alu instid0(VALU_DEP_3) | instskip(NEXT) | instid1(VALU_DEP_1)
	v_dot4_i32_iu8 v23, v88, v27, v23 neg_lo:[1,1,0]
	v_dot4_i32_iu8 v23, v80, v28, v23 neg_lo:[1,1,0]
	s_delay_alu instid0(VALU_DEP_1)
	v_dot4_i32_iu8 v27, v89, v29, v23 neg_lo:[1,1,0]
	s_clause 0x3
	global_load_b128 v[23:26], v[74:75], off offset:16
	global_load_b32 v28, v[70:71], off offset:32
	global_load_b32 v29, v[72:73], off offset:32
	;; [unrolled: 1-line block ×3, first 2 shown]
	v_lshrrev_b32_e32 v71, 16, v22
	v_lshrrev_b32_e32 v72, 16, v30
	s_delay_alu instid0(VALU_DEP_2) | instskip(NEXT) | instid1(VALU_DEP_2)
	v_cvt_f32_f16_e32 v71, v71
	v_cvt_f32_f16_e32 v39, v72
	s_delay_alu instid0(VALU_DEP_2) | instskip(SKIP_2) | instid1(VALU_DEP_4)
	v_mul_f32_e32 v42, v41, v71
	v_mul_f32_e32 v71, v41, v34
	v_dot4_i32_iu8 v34, v86, v67, 0 neg_lo:[1,1,0]
	v_mul_f32_e32 v39, v41, v39
	global_load_b32 v41, v[76:77], off offset:32
	v_dot4_i32_iu8 v34, v82, v68, v34 neg_lo:[1,1,0]
	s_delay_alu instid0(VALU_DEP_1) | instskip(SKIP_4) | instid1(VALU_DEP_1)
	v_dot4_i32_iu8 v47, v87, v69, v34 neg_lo:[1,1,0]
	s_wait_loadcnt 0x4
	v_dot4_i32_iu8 v23, v83, v23, v33 neg_lo:[1,1,0]
	global_load_b128 v[31:34], v[76:77], off offset:16
	v_dot4_i32_iu8 v23, v88, v24, v23 neg_lo:[1,1,0]
	v_dot4_i32_iu8 v23, v80, v25, v23 neg_lo:[1,1,0]
	s_wait_loadcnt 0x0
	v_dot4_i32_iu8 v31, v83, v31, v47 neg_lo:[1,1,0]
	v_dot4_i32_iu8 v47, v88, v51, v48 neg_lo:[1,1,0]
	s_delay_alu instid0(VALU_DEP_2)
	v_dot4_i32_iu8 v24, v88, v32, v31 neg_lo:[1,1,0]
	global_load_b32 v31, v[5:6], off offset:16
	v_lshrrev_b32_e32 v32, 4, v79
	v_dot4_i32_iu8 v47, v80, v52, v47 neg_lo:[1,1,0]
	v_add_co_u32 v5, vcc_lo, 0x480, v5
	v_dot4_i32_iu8 v24, v80, v33, v24 neg_lo:[1,1,0]
	s_delay_alu instid0(VALU_DEP_4) | instskip(NEXT) | instid1(VALU_DEP_4)
	v_and_b32_e32 v32, 0xf0f0f0f, v32
	v_dot4_i32_iu8 v25, v89, v53, v47 neg_lo:[1,1,0]
	s_wait_alu 0xfffd
	v_add_co_ci_u32_e64 v6, null, 0, v6, vcc_lo
	v_cmp_le_u32_e32 vcc_lo, s22, v15
	s_delay_alu instid0(VALU_DEP_3) | instskip(SKIP_1) | instid1(VALU_DEP_1)
	v_dot4_i32_iu8 v25, v32, v28, v25 neg_lo:[1,1,0]
	s_or_b32 s3, vcc_lo, s3
	v_cvt_f32_i32_e32 v25, v25
	s_delay_alu instid0(VALU_DEP_1) | instskip(NEXT) | instid1(VALU_DEP_1)
	v_fma_mix_f32 v25, v25, v46, v44 op_sel_hi:[0,1,0]
	v_fmac_f32_e32 v11, v40, v25
	v_dot4_i32_iu8 v48, v88, v59, v49 neg_lo:[1,1,0]
	s_delay_alu instid0(VALU_DEP_1) | instskip(NEXT) | instid1(VALU_DEP_1)
	v_dot4_i32_iu8 v48, v80, v60, v48 neg_lo:[1,1,0]
	v_dot4_i32_iu8 v33, v89, v61, v48 neg_lo:[1,1,0]
	s_delay_alu instid0(VALU_DEP_1) | instskip(NEXT) | instid1(VALU_DEP_1)
	v_dot4_i32_iu8 v28, v32, v29, v33 neg_lo:[1,1,0]
	v_cvt_f32_i32_e32 v28, v28
	s_delay_alu instid0(VALU_DEP_1) | instskip(NEXT) | instid1(VALU_DEP_1)
	v_fma_mix_f32 v28, v28, v54, v45 op_sel_hi:[0,1,0]
	v_fmac_f32_e32 v10, v40, v28
	v_dot4_i32_iu8 v23, v89, v26, v23 neg_lo:[1,1,0]
	v_dot4_i32_iu8 v24, v89, v34, v24 neg_lo:[1,1,0]
	s_delay_alu instid0(VALU_DEP_2) | instskip(NEXT) | instid1(VALU_DEP_2)
	v_dot4_i32_iu8 v23, v32, v70, v23 neg_lo:[1,1,0]
	v_dot4_i32_iu8 v24, v32, v41, v24 neg_lo:[1,1,0]
	s_delay_alu instid0(VALU_DEP_2) | instskip(NEXT) | instid1(VALU_DEP_2)
	v_cvt_f32_i32_e32 v23, v23
	v_cvt_f32_i32_e32 v24, v24
	s_delay_alu instid0(VALU_DEP_2) | instskip(NEXT) | instid1(VALU_DEP_2)
	v_fma_mix_f32 v23, v23, v62, v71 op_sel_hi:[0,1,0]
	v_fma_mix_f32 v24, v24, v66, v37 op_sel_hi:[0,1,0]
	s_delay_alu instid0(VALU_DEP_2) | instskip(NEXT) | instid1(VALU_DEP_2)
	v_dual_fmac_f32 v8, v40, v23 :: v_dual_add_nc_u32 v17, 32, v17
	v_fmac_f32_e32 v7, v40, v24
	s_wait_loadcnt 0x0
	v_dot4_i32_iu8 v26, v32, v31, v27 neg_lo:[1,1,0]
	v_dot4_i32_iu8 v27, v32, v84, v35 neg_lo:[1,1,0]
	;; [unrolled: 1-line block ×3, first 2 shown]
	s_delay_alu instid0(VALU_DEP_3) | instskip(NEXT) | instid1(VALU_DEP_3)
	v_cvt_f32_i32_e32 v26, v26
	v_cvt_f32_i32_e32 v27, v27
	s_delay_alu instid0(VALU_DEP_3) | instskip(NEXT) | instid1(VALU_DEP_3)
	v_cvt_f32_i32_e32 v29, v31
	v_fma_mix_f32 v22, v26, v22, v42 op_sel_hi:[0,1,0]
	s_delay_alu instid0(VALU_DEP_3) | instskip(NEXT) | instid1(VALU_DEP_3)
	v_fma_mix_f32 v26, v27, v30, v39 op_sel_hi:[0,1,0]
	v_fma_mix_f32 v27, v29, v38, v43 op_sel_hi:[0,1,0]
	s_delay_alu instid0(VALU_DEP_3) | instskip(NEXT) | instid1(VALU_DEP_3)
	v_fmac_f32_e32 v16, v40, v22
	v_fmac_f32_e32 v14, v40, v26
	s_delay_alu instid0(VALU_DEP_3)
	v_fmac_f32_e32 v12, v40, v27
	s_wait_alu 0xfffe
	s_and_not1_b32 exec_lo, exec_lo, s3
	s_cbranch_execnz .LBB214_2
; %bb.3:
	s_or_b32 exec_lo, exec_lo, s3
.LBB214_4:
	s_delay_alu instid0(SALU_CYCLE_1)
	s_or_b32 exec_lo, exec_lo, s21
	s_mov_b32 s3, 0
	; wave barrier
	global_inv scope:SCOPE_SE
	s_mov_b32 s2, exec_lo
	v_cmpx_eq_u32_e32 0, v13
	s_cbranch_execz .LBB214_19
; %bb.5:
	v_mbcnt_lo_u32_b32 v4, -1, 0
	s_load_b64 s[0:1], s[0:1], 0x38
	s_mul_i32 s2, s10, s19
	s_mul_i32 s4, s18, s20
	s_wait_alu 0xfffe
	s_add_co_i32 s2, s2, ttmp9
	v_xor_b32_e32 v0, 16, v4
	v_xor_b32_e32 v1, 8, v4
	;; [unrolled: 1-line block ×3, first 2 shown]
	s_wait_alu 0xfffe
	s_add_co_i32 s2, s2, s4
	s_wait_alu 0xfffe
	s_lshl_b64 s[2:3], s[2:3], 2
	v_cmp_gt_i32_e32 vcc_lo, 32, v0
	s_wait_alu 0xfffd
	v_cndmask_b32_e32 v0, v4, v0, vcc_lo
	v_cmp_gt_i32_e32 vcc_lo, 32, v1
	s_wait_kmcnt 0x0
	s_wait_alu 0xfffe
	s_add_nc_u64 s[0:1], s[0:1], s[2:3]
	s_wait_alu 0xfffd
	v_cndmask_b32_e32 v1, v4, v1, vcc_lo
	s_delay_alu instid0(VALU_DEP_1)
	v_lshlrev_b32_e32 v1, 2, v1
	v_lshlrev_b32_e32 v0, 2, v0
	ds_bpermute_b32 v2, v0, v16
	s_wait_dscnt 0x0
	v_add_f32_e32 v3, v16, v2
	v_xor_b32_e32 v2, 4, v4
	ds_bpermute_b32 v5, v1, v3
	v_cmp_gt_i32_e32 vcc_lo, 32, v2
	s_wait_dscnt 0x0
	s_wait_alu 0xfffd
	v_dual_cndmask_b32 v2, v4, v2 :: v_dual_add_f32 v5, v3, v5
	s_delay_alu instid0(VALU_DEP_1)
	v_lshlrev_b32_e32 v2, 2, v2
	v_xor_b32_e32 v3, 2, v4
	ds_bpermute_b32 v6, v2, v5
	v_cmp_gt_i32_e32 vcc_lo, 32, v3
	s_wait_alu 0xfffd
	v_cndmask_b32_e32 v3, v4, v3, vcc_lo
	v_cmp_gt_i32_e32 vcc_lo, 32, v13
	s_wait_alu 0xfffd
	v_cndmask_b32_e32 v4, v4, v13, vcc_lo
	v_cmp_eq_u32_e32 vcc_lo, 0, v9
	s_delay_alu instid0(VALU_DEP_2)
	v_lshlrev_b32_e32 v4, 2, v4
	v_lshlrev_b32_e32 v3, 2, v3
	s_wait_dscnt 0x0
	v_add_f32_e32 v5, v5, v6
	ds_bpermute_b32 v6, v3, v5
	s_wait_dscnt 0x0
	v_add_f32_e32 v5, v5, v6
	ds_bpermute_b32 v6, v4, v5
	s_and_saveexec_b32 s2, vcc_lo
	s_cbranch_execz .LBB214_7
; %bb.6:
	s_wait_dscnt 0x0
	v_dual_add_f32 v5, v5, v6 :: v_dual_mov_b32 v6, 0
	global_store_b32 v6, v5, s[0:1]
.LBB214_7:
	s_wait_alu 0xfffe
	s_or_b32 exec_lo, exec_lo, s2
	ds_bpermute_b32 v5, v0, v14
	s_wait_dscnt 0x0
	v_add_f32_e32 v5, v14, v5
	ds_bpermute_b32 v6, v1, v5
	s_wait_dscnt 0x0
	v_add_f32_e32 v5, v5, v6
	;; [unrolled: 3-line block ×4, first 2 shown]
	ds_bpermute_b32 v6, v4, v5
	s_and_saveexec_b32 s2, vcc_lo
	s_cbranch_execz .LBB214_9
; %bb.8:
	s_mov_b32 s7, 0
	s_wait_dscnt 0x0
	v_dual_add_f32 v5, v5, v6 :: v_dual_mov_b32 v6, 0
	s_wait_alu 0xfffe
	s_lshl_b64 s[4:5], s[6:7], 2
	s_wait_alu 0xfffe
	s_add_nc_u64 s[4:5], s[0:1], s[4:5]
	global_store_b32 v6, v5, s[4:5]
.LBB214_9:
	s_wait_alu 0xfffe
	s_or_b32 exec_lo, exec_lo, s2
	ds_bpermute_b32 v5, v0, v12
	s_wait_dscnt 0x0
	v_add_f32_e32 v5, v12, v5
	ds_bpermute_b32 v6, v1, v5
	s_wait_dscnt 0x0
	v_add_f32_e32 v5, v5, v6
	;; [unrolled: 3-line block ×4, first 2 shown]
	ds_bpermute_b32 v6, v4, v5
	s_and_saveexec_b32 s2, vcc_lo
	s_cbranch_execz .LBB214_11
; %bb.10:
	s_lshl_b32 s4, s6, 1
	s_mov_b32 s5, 0
	s_wait_dscnt 0x0
	v_dual_add_f32 v5, v5, v6 :: v_dual_mov_b32 v6, 0
	s_wait_alu 0xfffe
	s_lshl_b64 s[4:5], s[4:5], 2
	s_wait_alu 0xfffe
	s_add_nc_u64 s[4:5], s[0:1], s[4:5]
	global_store_b32 v6, v5, s[4:5]
.LBB214_11:
	s_wait_alu 0xfffe
	s_or_b32 exec_lo, exec_lo, s2
	ds_bpermute_b32 v5, v0, v11
	s_wait_dscnt 0x0
	v_add_f32_e32 v5, v11, v5
	ds_bpermute_b32 v6, v1, v5
	s_wait_dscnt 0x0
	v_add_f32_e32 v5, v5, v6
	;; [unrolled: 3-line block ×4, first 2 shown]
	ds_bpermute_b32 v6, v4, v5
	s_and_saveexec_b32 s2, vcc_lo
	s_cbranch_execz .LBB214_13
; %bb.12:
	s_mul_i32 s4, s6, 3
	s_mov_b32 s5, 0
	s_wait_dscnt 0x0
	v_dual_add_f32 v5, v5, v6 :: v_dual_mov_b32 v6, 0
	s_wait_alu 0xfffe
	s_lshl_b64 s[4:5], s[4:5], 2
	s_wait_alu 0xfffe
	s_add_nc_u64 s[4:5], s[0:1], s[4:5]
	global_store_b32 v6, v5, s[4:5]
.LBB214_13:
	s_wait_alu 0xfffe
	s_or_b32 exec_lo, exec_lo, s2
	ds_bpermute_b32 v5, v0, v10
	s_wait_dscnt 0x0
	v_add_f32_e32 v5, v10, v5
	ds_bpermute_b32 v6, v1, v5
	s_wait_dscnt 0x0
	v_add_f32_e32 v5, v5, v6
	;; [unrolled: 3-line block ×4, first 2 shown]
	ds_bpermute_b32 v6, v4, v5
	s_and_saveexec_b32 s2, vcc_lo
	s_cbranch_execz .LBB214_15
; %bb.14:
	s_lshl_b32 s4, s6, 2
	s_mov_b32 s5, 0
	s_wait_dscnt 0x0
	v_dual_add_f32 v5, v5, v6 :: v_dual_mov_b32 v6, 0
	s_wait_alu 0xfffe
	s_lshl_b64 s[4:5], s[4:5], 2
	s_wait_alu 0xfffe
	s_add_nc_u64 s[4:5], s[0:1], s[4:5]
	global_store_b32 v6, v5, s[4:5]
.LBB214_15:
	s_wait_alu 0xfffe
	s_or_b32 exec_lo, exec_lo, s2
	ds_bpermute_b32 v5, v0, v8
	s_wait_dscnt 0x0
	v_add_f32_e32 v5, v8, v5
	ds_bpermute_b32 v6, v1, v5
	s_wait_dscnt 0x0
	v_add_f32_e32 v5, v5, v6
	;; [unrolled: 3-line block ×4, first 2 shown]
	ds_bpermute_b32 v6, v4, v5
	s_and_saveexec_b32 s2, vcc_lo
	s_cbranch_execz .LBB214_17
; %bb.16:
	s_mul_i32 s4, s6, 5
	s_mov_b32 s5, 0
	s_wait_dscnt 0x0
	v_dual_add_f32 v5, v5, v6 :: v_dual_mov_b32 v6, 0
	s_wait_alu 0xfffe
	s_lshl_b64 s[4:5], s[4:5], 2
	s_wait_alu 0xfffe
	s_add_nc_u64 s[4:5], s[0:1], s[4:5]
	global_store_b32 v6, v5, s[4:5]
.LBB214_17:
	s_wait_alu 0xfffe
	s_or_b32 exec_lo, exec_lo, s2
	ds_bpermute_b32 v0, v0, v7
	s_wait_dscnt 0x0
	v_add_f32_e32 v0, v7, v0
	ds_bpermute_b32 v1, v1, v0
	s_wait_dscnt 0x0
	v_add_f32_e32 v0, v0, v1
	;; [unrolled: 3-line block ×4, first 2 shown]
	ds_bpermute_b32 v1, v4, v0
	s_and_b32 exec_lo, exec_lo, vcc_lo
	s_cbranch_execz .LBB214_19
; %bb.18:
	s_mul_i32 s2, s6, 6
	s_mov_b32 s3, 0
	s_wait_dscnt 0x0
	v_dual_add_f32 v0, v0, v1 :: v_dual_mov_b32 v1, 0
	s_wait_alu 0xfffe
	s_lshl_b64 s[2:3], s[2:3], 2
	s_wait_alu 0xfffe
	s_add_nc_u64 s[0:1], s[0:1], s[2:3]
	global_store_b32 v1, v0, s[0:1]
.LBB214_19:
	s_endpgm
	.section	.rodata,"a",@progbits
	.p2align	6, 0x0
	.amdhsa_kernel _ZL13mul_mat_vec_qIL9ggml_type19ELi7ELb0ELb0EEvPKvS2_PKi31ggml_cuda_mm_fusion_args_devicePfj15HIP_vector_typeIjLj3EEjjjS8_jjjS8_jjjj
		.amdhsa_group_segment_fixed_size 0
		.amdhsa_private_segment_fixed_size 0
		.amdhsa_kernarg_size 144
		.amdhsa_user_sgpr_count 2
		.amdhsa_user_sgpr_dispatch_ptr 0
		.amdhsa_user_sgpr_queue_ptr 0
		.amdhsa_user_sgpr_kernarg_segment_ptr 1
		.amdhsa_user_sgpr_dispatch_id 0
		.amdhsa_user_sgpr_private_segment_size 0
		.amdhsa_wavefront_size32 1
		.amdhsa_uses_dynamic_stack 0
		.amdhsa_enable_private_segment 0
		.amdhsa_system_sgpr_workgroup_id_x 1
		.amdhsa_system_sgpr_workgroup_id_y 1
		.amdhsa_system_sgpr_workgroup_id_z 1
		.amdhsa_system_sgpr_workgroup_info 0
		.amdhsa_system_vgpr_workitem_id 1
		.amdhsa_next_free_vgpr 90
		.amdhsa_next_free_sgpr 30
		.amdhsa_reserve_vcc 1
		.amdhsa_float_round_mode_32 0
		.amdhsa_float_round_mode_16_64 0
		.amdhsa_float_denorm_mode_32 3
		.amdhsa_float_denorm_mode_16_64 3
		.amdhsa_fp16_overflow 0
		.amdhsa_workgroup_processor_mode 1
		.amdhsa_memory_ordered 1
		.amdhsa_forward_progress 1
		.amdhsa_inst_pref_size 26
		.amdhsa_round_robin_scheduling 0
		.amdhsa_exception_fp_ieee_invalid_op 0
		.amdhsa_exception_fp_denorm_src 0
		.amdhsa_exception_fp_ieee_div_zero 0
		.amdhsa_exception_fp_ieee_overflow 0
		.amdhsa_exception_fp_ieee_underflow 0
		.amdhsa_exception_fp_ieee_inexact 0
		.amdhsa_exception_int_div_zero 0
	.end_amdhsa_kernel
	.section	.text._ZL13mul_mat_vec_qIL9ggml_type19ELi7ELb0ELb0EEvPKvS2_PKi31ggml_cuda_mm_fusion_args_devicePfj15HIP_vector_typeIjLj3EEjjjS8_jjjS8_jjjj,"axG",@progbits,_ZL13mul_mat_vec_qIL9ggml_type19ELi7ELb0ELb0EEvPKvS2_PKi31ggml_cuda_mm_fusion_args_devicePfj15HIP_vector_typeIjLj3EEjjjS8_jjjS8_jjjj,comdat
.Lfunc_end214:
	.size	_ZL13mul_mat_vec_qIL9ggml_type19ELi7ELb0ELb0EEvPKvS2_PKi31ggml_cuda_mm_fusion_args_devicePfj15HIP_vector_typeIjLj3EEjjjS8_jjjS8_jjjj, .Lfunc_end214-_ZL13mul_mat_vec_qIL9ggml_type19ELi7ELb0ELb0EEvPKvS2_PKi31ggml_cuda_mm_fusion_args_devicePfj15HIP_vector_typeIjLj3EEjjjS8_jjjS8_jjjj
                                        ; -- End function
	.set _ZL13mul_mat_vec_qIL9ggml_type19ELi7ELb0ELb0EEvPKvS2_PKi31ggml_cuda_mm_fusion_args_devicePfj15HIP_vector_typeIjLj3EEjjjS8_jjjS8_jjjj.num_vgpr, 90
	.set _ZL13mul_mat_vec_qIL9ggml_type19ELi7ELb0ELb0EEvPKvS2_PKi31ggml_cuda_mm_fusion_args_devicePfj15HIP_vector_typeIjLj3EEjjjS8_jjjS8_jjjj.num_agpr, 0
	.set _ZL13mul_mat_vec_qIL9ggml_type19ELi7ELb0ELb0EEvPKvS2_PKi31ggml_cuda_mm_fusion_args_devicePfj15HIP_vector_typeIjLj3EEjjjS8_jjjS8_jjjj.numbered_sgpr, 30
	.set _ZL13mul_mat_vec_qIL9ggml_type19ELi7ELb0ELb0EEvPKvS2_PKi31ggml_cuda_mm_fusion_args_devicePfj15HIP_vector_typeIjLj3EEjjjS8_jjjS8_jjjj.num_named_barrier, 0
	.set _ZL13mul_mat_vec_qIL9ggml_type19ELi7ELb0ELb0EEvPKvS2_PKi31ggml_cuda_mm_fusion_args_devicePfj15HIP_vector_typeIjLj3EEjjjS8_jjjS8_jjjj.private_seg_size, 0
	.set _ZL13mul_mat_vec_qIL9ggml_type19ELi7ELb0ELb0EEvPKvS2_PKi31ggml_cuda_mm_fusion_args_devicePfj15HIP_vector_typeIjLj3EEjjjS8_jjjS8_jjjj.uses_vcc, 1
	.set _ZL13mul_mat_vec_qIL9ggml_type19ELi7ELb0ELb0EEvPKvS2_PKi31ggml_cuda_mm_fusion_args_devicePfj15HIP_vector_typeIjLj3EEjjjS8_jjjS8_jjjj.uses_flat_scratch, 0
	.set _ZL13mul_mat_vec_qIL9ggml_type19ELi7ELb0ELb0EEvPKvS2_PKi31ggml_cuda_mm_fusion_args_devicePfj15HIP_vector_typeIjLj3EEjjjS8_jjjS8_jjjj.has_dyn_sized_stack, 0
	.set _ZL13mul_mat_vec_qIL9ggml_type19ELi7ELb0ELb0EEvPKvS2_PKi31ggml_cuda_mm_fusion_args_devicePfj15HIP_vector_typeIjLj3EEjjjS8_jjjS8_jjjj.has_recursion, 0
	.set _ZL13mul_mat_vec_qIL9ggml_type19ELi7ELb0ELb0EEvPKvS2_PKi31ggml_cuda_mm_fusion_args_devicePfj15HIP_vector_typeIjLj3EEjjjS8_jjjS8_jjjj.has_indirect_call, 0
	.section	.AMDGPU.csdata,"",@progbits
; Kernel info:
; codeLenInByte = 3212
; TotalNumSgprs: 32
; NumVgprs: 90
; ScratchSize: 0
; MemoryBound: 0
; FloatMode: 240
; IeeeMode: 1
; LDSByteSize: 0 bytes/workgroup (compile time only)
; SGPRBlocks: 0
; VGPRBlocks: 11
; NumSGPRsForWavesPerEU: 32
; NumVGPRsForWavesPerEU: 90
; Occupancy: 16
; WaveLimiterHint : 0
; COMPUTE_PGM_RSRC2:SCRATCH_EN: 0
; COMPUTE_PGM_RSRC2:USER_SGPR: 2
; COMPUTE_PGM_RSRC2:TRAP_HANDLER: 0
; COMPUTE_PGM_RSRC2:TGID_X_EN: 1
; COMPUTE_PGM_RSRC2:TGID_Y_EN: 1
; COMPUTE_PGM_RSRC2:TGID_Z_EN: 1
; COMPUTE_PGM_RSRC2:TIDIG_COMP_CNT: 1
	.section	.text._ZL13mul_mat_vec_qIL9ggml_type19ELi8ELb0ELb0EEvPKvS2_PKi31ggml_cuda_mm_fusion_args_devicePfj15HIP_vector_typeIjLj3EEjjjS8_jjjS8_jjjj,"axG",@progbits,_ZL13mul_mat_vec_qIL9ggml_type19ELi8ELb0ELb0EEvPKvS2_PKi31ggml_cuda_mm_fusion_args_devicePfj15HIP_vector_typeIjLj3EEjjjS8_jjjS8_jjjj,comdat
	.globl	_ZL13mul_mat_vec_qIL9ggml_type19ELi8ELb0ELb0EEvPKvS2_PKi31ggml_cuda_mm_fusion_args_devicePfj15HIP_vector_typeIjLj3EEjjjS8_jjjS8_jjjj ; -- Begin function _ZL13mul_mat_vec_qIL9ggml_type19ELi8ELb0ELb0EEvPKvS2_PKi31ggml_cuda_mm_fusion_args_devicePfj15HIP_vector_typeIjLj3EEjjjS8_jjjS8_jjjj
	.p2align	8
	.type	_ZL13mul_mat_vec_qIL9ggml_type19ELi8ELb0ELb0EEvPKvS2_PKi31ggml_cuda_mm_fusion_args_devicePfj15HIP_vector_typeIjLj3EEjjjS8_jjjS8_jjjj,@function
_ZL13mul_mat_vec_qIL9ggml_type19ELi8ELb0ELb0EEvPKvS2_PKi31ggml_cuda_mm_fusion_args_devicePfj15HIP_vector_typeIjLj3EEjjjS8_jjjS8_jjjj: ; @_ZL13mul_mat_vec_qIL9ggml_type19ELi8ELb0ELb0EEvPKvS2_PKi31ggml_cuda_mm_fusion_args_devicePfj15HIP_vector_typeIjLj3EEjjjS8_jjjS8_jjjj
; %bb.0:
	s_clause 0x5
	s_load_b96 s[16:18], s[0:1], 0x80
	s_load_b32 s3, s[0:1], 0x40
	s_load_b128 s[4:7], s[0:1], 0x50
	s_load_b32 s2, s[0:1], 0x60
	s_load_b128 s[8:11], s[0:1], 0x68
	s_load_b32 s23, s[0:1], 0x78
	v_bfe_u32 v11, v0, 10, 10
	v_dual_mov_b32 v4, 0 :: v_dual_and_b32 v7, 0x3ff, v0
	v_dual_mov_b32 v5, 0 :: v_dual_mov_b32 v6, 0
	v_dual_mov_b32 v8, 0 :: v_dual_mov_b32 v9, 0
	s_delay_alu instid0(VALU_DEP_3)
	v_lshl_or_b32 v0, v11, 5, v7
	v_mov_b32_e32 v10, 0
	v_mov_b32_e32 v12, 0
	;; [unrolled: 1-line block ×3, first 2 shown]
	s_and_b32 s19, ttmp7, 0xffff
	v_lshrrev_b32_e32 v13, 3, v0
	s_lshr_b32 s20, ttmp7, 16
	s_mov_b32 s21, exec_lo
	s_wait_kmcnt 0x0
	s_lshr_b32 s22, s3, 8
	s_delay_alu instid0(SALU_CYCLE_1)
	v_cmpx_gt_u32_e64 s22, v13
	s_cbranch_execz .LBB215_4
; %bb.1:
	v_lshl_add_u32 v0, v11, 5, v7
	s_mul_hi_u32 s3, s7, s19
	s_mul_i32 s24, s9, s19
	s_add_co_i32 s7, s19, s3
	s_mov_b32 s3, 0
	v_lshrrev_b32_e32 v0, 3, v0
	s_mov_b32 s25, s3
	s_lshr_b32 s2, s7, s2
	s_mul_u64 s[24:25], s[24:25], 36
	s_load_b128 s[12:15], s[0:1], 0x0
	v_mad_co_u64_u32 v[0:1], null, 0x120, v0, s[24:25]
	s_mul_i32 s7, s2, s8
	s_mul_hi_u32 s2, s11, s20
	v_dual_mov_b32 v4, 0 :: v_dual_and_b32 v5, 7, v7
	s_add_co_i32 s8, s20, s2
	s_mul_i32 s2, s17, s20
	s_lshr_b32 s11, s8, s23
	v_mad_co_u64_u32 v[0:1], null, s2, 36, v[0:1]
	s_mul_u64 s[8:9], s[2:3], 36
	v_lshlrev_b32_e32 v6, 1, v5
	s_mul_i32 s4, s4, ttmp9
	v_lshlrev_b32_e32 v15, 3, v13
	v_dual_mov_b32 v8, 0 :: v_dual_lshlrev_b32 v17, 1, v5
	v_mad_co_u64_u32 v[2:3], null, v5, 36, v[0:1]
	s_wait_kmcnt 0x0
	s_add_nc_u64 s[8:9], s[14:15], s[8:9]
	v_mov_b32_e32 v9, 0
	s_add_nc_u64 s[8:9], s[8:9], s[24:25]
	v_mov_b32_e32 v10, 0
	v_mad_co_u64_u32 v[0:1], null, v5, 36, s[8:9]
	s_delay_alu instid0(VALU_DEP_4) | instskip(NEXT) | instid1(VALU_DEP_1)
	v_add_co_u32 v2, vcc_lo, s14, v2
	v_add_co_ci_u32_e64 v3, null, s15, v3, vcc_lo
	v_mov_b32_e32 v5, 0
	s_delay_alu instid0(VALU_DEP_3) | instskip(SKIP_1) | instid1(VALU_DEP_3)
	v_add_co_u32 v2, vcc_lo, v2, 16
	s_wait_alu 0xfffd
	v_add_co_ci_u32_e64 v3, null, 0, v3, vcc_lo
	v_lshlrev_b32_e32 v16, 1, v6
	v_mov_b32_e32 v6, 0
	v_mov_b32_e32 v12, 0
	;; [unrolled: 1-line block ×3, first 2 shown]
	s_mul_i32 s11, s11, s16
	s_add_co_i32 s7, s7, s4
	s_mul_i32 s4, s5, 7
	s_add_co_i32 s2, s11, s7
	s_mul_i32 s7, s5, 6
	s_mul_i32 s11, s5, 5
	s_lshl_b32 s14, s5, 2
	s_mul_i32 s15, s5, 3
	s_lshl_b32 s16, s5, 1
	s_mov_b32 s17, 0xb7000000
.LBB215_2:                              ; =>This Inner Loop Header: Depth=1
	s_wait_alu 0xfffe
	v_add_nc_u32_e32 v26, s2, v13
	v_add_nc_u32_e32 v27, s5, v15
	;; [unrolled: 1-line block ×5, first 2 shown]
	v_mad_co_i64_i32 v[74:75], null, v26, 50, s[12:13]
	v_mad_co_u64_u32 v[34:35], null, v27, 36, v[0:1]
	v_add_nc_u32_e32 v31, s11, v15
	v_add_nc_u32_e32 v32, s7, v15
	;; [unrolled: 1-line block ×3, first 2 shown]
	v_mad_co_u64_u32 v[38:39], null, v28, 36, v[0:1]
	v_add_co_u32 v80, vcc_lo, v74, v16
	v_mad_co_u64_u32 v[50:51], null, v29, 36, v[0:1]
	s_wait_alu 0xfffd
	v_add_co_ci_u32_e64 v81, null, 0, v75, vcc_lo
	v_add_co_u32 v82, vcc_lo, v74, v17
	v_mad_co_u64_u32 v[54:55], null, v30, 36, v[0:1]
	v_mad_co_u64_u32 v[66:67], null, v31, 36, v[0:1]
	s_clause 0x1
	global_load_b128 v[18:21], v[2:3], off offset:-16
	global_load_b128 v[22:25], v[2:3], off
	v_mad_co_u64_u32 v[76:77], null, v32, 36, v[0:1]
	v_mad_co_u64_u32 v[78:79], null, v33, 36, v[0:1]
	s_wait_alu 0xfffd
	v_add_co_ci_u32_e64 v83, null, 0, v75, vcc_lo
	s_clause 0x10
	global_load_b128 v[26:29], v[34:35], off
	global_load_b128 v[30:33], v[34:35], off offset:16
	global_load_b32 v84, v[34:35], off offset:32
	global_load_b128 v[34:37], v[38:39], off
	global_load_b32 v85, v[38:39], off offset:32
	global_load_b128 v[38:41], v[38:39], off offset:16
	global_load_b128 v[42:45], v[50:51], off
	global_load_b128 v[46:49], v[50:51], off offset:16
	global_load_b32 v86, v[50:51], off offset:32
	global_load_b128 v[50:53], v[54:55], off
	global_load_b32 v87, v[54:55], off offset:32
	global_load_b128 v[54:57], v[54:55], off offset:16
	global_load_b128 v[58:61], v[66:67], off
	global_load_b128 v[62:65], v[66:67], off offset:16
	global_load_b32 v88, v[66:67], off offset:32
	global_load_b128 v[66:69], v[76:77], off
	global_load_b128 v[70:73], v[78:79], off
	s_clause 0x2
	global_load_b32 v80, v[80:81], off offset:2
	global_load_u16 v81, v[82:83], off offset:34
	global_load_u16 v74, v[74:75], off
	s_getpc_b64 s[8:9]
	s_wait_alu 0xfffe
	s_sext_i32_i16 s9, s9
	s_add_co_u32 s8, s8, _ZL13iq1s_grid_gpu@rel32@lo+12
	s_wait_alu 0xfffe
	s_add_co_ci_u32 s9, s9, _ZL13iq1s_grid_gpu@rel32@hi+24
	v_add_nc_u32_e32 v13, 4, v13
	v_add_nc_u32_e32 v15, 32, v15
	s_wait_loadcnt 0x2
	v_and_b32_e32 v82, 0xff, v80
	s_wait_loadcnt 0x1
	v_lshlrev_b32_e32 v83, 8, v81
	v_bfe_u32 v89, v80, 8, 8
	v_lshlrev_b32_e32 v90, 5, v81
	v_lshrrev_b32_e32 v75, 24, v80
	v_bfe_u32 v80, v80, 16, 8
	v_lshlrev_b32_e32 v91, 2, v81
	v_lshrrev_b32_e32 v92, 1, v81
	v_and_or_b32 v82, 0x700, v83, v82
	v_and_or_b32 v83, 0x700, v90, v89
	s_delay_alu instid0(VALU_DEP_4) | instskip(NEXT) | instid1(VALU_DEP_4)
	v_and_or_b32 v80, 0x700, v91, v80
	v_and_or_b32 v75, 0x700, v92, v75
	s_delay_alu instid0(VALU_DEP_4) | instskip(NEXT) | instid1(VALU_DEP_4)
	v_lshlrev_b32_e32 v82, 2, v82
	v_lshlrev_b32_e32 v83, 2, v83
	s_delay_alu instid0(VALU_DEP_4) | instskip(NEXT) | instid1(VALU_DEP_4)
	v_lshlrev_b32_e32 v80, 2, v80
	v_lshlrev_b32_e32 v75, 2, v75
	s_clause 0x3
	global_load_b32 v82, v82, s[8:9]
	global_load_b32 v83, v83, s[8:9]
	;; [unrolled: 1-line block ×4, first 2 shown]
	s_wait_loadcnt 0x3
	v_and_b32_e32 v89, 0xf0f0f0f, v82
	v_lshrrev_b32_e32 v82, 4, v82
	s_wait_loadcnt 0x2
	v_and_b32_e32 v90, 0xf0f0f0f, v83
	v_lshrrev_b32_e32 v83, 4, v83
	s_wait_loadcnt 0x1
	v_and_b32_e32 v91, 0xf0f0f0f, v80
	v_dot4_i32_iu8 v19, v89, v19, 0 neg_lo:[1,1,0]
	v_and_b32_e32 v82, 0xf0f0f0f, v82
	v_lshrrev_b32_e32 v80, 4, v80
	v_and_b32_e32 v83, 0xf0f0f0f, v83
	s_wait_loadcnt 0x0
	v_and_b32_e32 v92, 0xf0f0f0f, v75
	v_dot4_i32_iu8 v19, v82, v20, v19 neg_lo:[1,1,0]
	v_and_b32_e32 v80, 0xf0f0f0f, v80
	s_delay_alu instid0(VALU_DEP_2) | instskip(NEXT) | instid1(VALU_DEP_1)
	v_dot4_i32_iu8 v19, v90, v21, v19 neg_lo:[1,1,0]
	v_dot4_i32_iu8 v19, v83, v22, v19 neg_lo:[1,1,0]
	s_delay_alu instid0(VALU_DEP_1) | instskip(NEXT) | instid1(VALU_DEP_1)
	v_dot4_i32_iu8 v19, v91, v23, v19 neg_lo:[1,1,0]
	v_dot4_i32_iu8 v19, v80, v24, v19 neg_lo:[1,1,0]
	s_delay_alu instid0(VALU_DEP_1)
	v_dot4_i32_iu8 v23, v92, v25, v19 neg_lo:[1,1,0]
	s_clause 0x1
	global_load_b32 v24, v[78:79], off offset:32
	global_load_b128 v[19:22], v[78:79], off offset:16
	v_dot4_i32_iu8 v25, v89, v27, 0 neg_lo:[1,1,0]
	v_lshrrev_b32_e32 v27, 16, v18
	s_delay_alu instid0(VALU_DEP_2) | instskip(SKIP_1) | instid1(VALU_DEP_3)
	v_dot4_i32_iu8 v25, v82, v28, v25 neg_lo:[1,1,0]
	v_lshrrev_b32_e32 v28, 16, v26
	v_cvt_f32_f16_e32 v27, v27
	s_delay_alu instid0(VALU_DEP_3) | instskip(SKIP_1) | instid1(VALU_DEP_4)
	v_dot4_i32_iu8 v25, v90, v29, v25 neg_lo:[1,1,0]
	v_lshrrev_b32_e32 v29, 16, v34
	v_cvt_f32_f16_e32 v28, v28
	s_delay_alu instid0(VALU_DEP_3) | instskip(SKIP_3) | instid1(VALU_DEP_4)
	v_dot4_i32_iu8 v25, v83, v30, v25 neg_lo:[1,1,0]
	v_dot4_i32_iu8 v30, v89, v35, 0 neg_lo:[1,1,0]
	;; [unrolled: 1-line block ×3, first 2 shown]
	v_cvt_f32_f16_e32 v29, v29
	v_dot4_i32_iu8 v25, v91, v31, v25 neg_lo:[1,1,0]
	s_delay_alu instid0(VALU_DEP_4) | instskip(NEXT) | instid1(VALU_DEP_4)
	v_dot4_i32_iu8 v30, v82, v36, v30 neg_lo:[1,1,0]
	v_dot4_i32_iu8 v35, v82, v44, v35 neg_lo:[1,1,0]
	v_lshrrev_b32_e32 v36, 16, v66
	s_delay_alu instid0(VALU_DEP_4) | instskip(NEXT) | instid1(VALU_DEP_4)
	v_dot4_i32_iu8 v25, v80, v32, v25 neg_lo:[1,1,0]
	v_dot4_i32_iu8 v30, v90, v37, v30 neg_lo:[1,1,0]
	s_delay_alu instid0(VALU_DEP_4)
	v_dot4_i32_iu8 v35, v90, v45, v35 neg_lo:[1,1,0]
	v_lshrrev_b32_e32 v32, 16, v50
	v_lshrrev_b32_e32 v37, 16, v70
	v_dot4_i32_iu8 v25, v92, v33, v25 neg_lo:[1,1,0]
	v_dot4_i32_iu8 v30, v83, v38, v30 neg_lo:[1,1,0]
	v_cvt_f32_f16_e32 v38, v74
	v_lshrrev_b32_e32 v33, 16, v58
	v_dot4_i32_iu8 v35, v83, v46, v35 neg_lo:[1,1,0]
	v_cvt_f32_f16_e32 v32, v32
	v_dot4_i32_iu8 v30, v91, v39, v30 neg_lo:[1,1,0]
	v_lshrrev_b32_e32 v39, 11, v81
	v_cvt_f32_f16_e32 v33, v33
	v_dot4_i32_iu8 v35, v91, v47, v35 neg_lo:[1,1,0]
	v_cvt_f32_f16_e32 v36, v36
	v_dot4_i32_iu8 v30, v80, v40, v30 neg_lo:[1,1,0]
	v_and_b32_e32 v40, 0x8000, v81
	v_and_or_b32 v39, v39, 14, 1
	v_cvt_f32_f16_e32 v37, v37
	v_dot4_i32_iu8 v35, v80, v48, v35 neg_lo:[1,1,0]
	v_dot4_i32_iu8 v31, v92, v41, v30 neg_lo:[1,1,0]
	v_cvt_f32_u32_e32 v40, v40
	v_lshrrev_b32_e32 v30, 16, v42
	v_cvt_f32_ubyte0_e32 v39, v39
	v_dot4_i32_iu8 v35, v92, v49, v35 neg_lo:[1,1,0]
	s_delay_alu instid0(VALU_DEP_4) | instskip(NEXT) | instid1(VALU_DEP_4)
	v_fmaak_f32 v40, s17, v40, 0xbf600000
	v_cvt_f32_f16_e32 v30, v30
	s_delay_alu instid0(VALU_DEP_2)
	v_dual_mul_f32 v38, v39, v38 :: v_dual_mul_f32 v39, v40, v27
	v_mul_f32_e32 v41, v40, v28
	v_dot4_i32_iu8 v27, v89, v51, 0 neg_lo:[1,1,0]
	v_dot4_i32_iu8 v28, v89, v59, 0 neg_lo:[1,1,0]
	v_mul_f32_e32 v43, v40, v29
	v_mul_f32_e32 v44, v40, v30
	v_dot4_i32_iu8 v29, v89, v67, 0 neg_lo:[1,1,0]
	v_dot4_i32_iu8 v30, v89, v71, 0 neg_lo:[1,1,0]
	;; [unrolled: 1-line block ×4, first 2 shown]
	v_mul_f32_e32 v32, v40, v32
	v_dot4_i32_iu8 v29, v82, v68, v29 neg_lo:[1,1,0]
	v_dot4_i32_iu8 v30, v82, v72, v30 neg_lo:[1,1,0]
	;; [unrolled: 1-line block ×4, first 2 shown]
	v_mul_f32_e32 v33, v40, v33
	v_mul_f32_e32 v36, v40, v36
	;; [unrolled: 1-line block ×3, first 2 shown]
	global_load_b32 v40, v[76:77], off offset:32
	v_dot4_i32_iu8 v45, v90, v69, v29 neg_lo:[1,1,0]
	v_dot4_i32_iu8 v46, v90, v73, v30 neg_lo:[1,1,0]
	v_dot4_i32_iu8 v47, v83, v54, v27 neg_lo:[1,1,0]
	v_dot4_i32_iu8 v48, v83, v62, v28 neg_lo:[1,1,0]
	global_load_b128 v[27:30], v[76:77], off offset:16
	s_wait_loadcnt 0x2
	v_dot4_i32_iu8 v19, v83, v19, v46 neg_lo:[1,1,0]
	s_delay_alu instid0(VALU_DEP_1)
	v_dot4_i32_iu8 v19, v91, v20, v19 neg_lo:[1,1,0]
	global_load_b32 v20, v[2:3], off offset:16
	v_add_co_u32 v2, vcc_lo, 0x480, v2
	s_wait_alu 0xfffd
	v_add_co_ci_u32_e64 v3, null, 0, v3, vcc_lo
	v_dot4_i32_iu8 v19, v80, v21, v19 neg_lo:[1,1,0]
	v_cmp_le_u32_e32 vcc_lo, s22, v13
	s_delay_alu instid0(VALU_DEP_2) | instskip(SKIP_3) | instid1(VALU_DEP_1)
	v_dot4_i32_iu8 v19, v92, v22, v19 neg_lo:[1,1,0]
	s_or_b32 s3, vcc_lo, s3
	s_wait_loadcnt 0x1
	v_dot4_i32_iu8 v27, v83, v27, v45 neg_lo:[1,1,0]
	v_dot4_i32_iu8 v27, v91, v28, v27 neg_lo:[1,1,0]
	v_lshrrev_b32_e32 v28, 4, v75
	s_delay_alu instid0(VALU_DEP_2) | instskip(NEXT) | instid1(VALU_DEP_2)
	v_dot4_i32_iu8 v27, v80, v29, v27 neg_lo:[1,1,0]
	v_and_b32_e32 v28, 0xf0f0f0f, v28
	s_delay_alu instid0(VALU_DEP_2) | instskip(NEXT) | instid1(VALU_DEP_2)
	v_dot4_i32_iu8 v27, v92, v30, v27 neg_lo:[1,1,0]
	v_dot4_i32_iu8 v19, v28, v24, v19 neg_lo:[1,1,0]
	v_dot4_i32_iu8 v22, v28, v84, v25 neg_lo:[1,1,0]
	v_dot4_i32_iu8 v25, v28, v86, v35 neg_lo:[1,1,0]
	s_delay_alu instid0(VALU_DEP_4) | instskip(NEXT) | instid1(VALU_DEP_4)
	v_dot4_i32_iu8 v27, v28, v40, v27 neg_lo:[1,1,0]
	v_cvt_f32_i32_e32 v19, v19
	s_delay_alu instid0(VALU_DEP_4) | instskip(NEXT) | instid1(VALU_DEP_4)
	v_cvt_f32_i32_e32 v22, v22
	v_cvt_f32_i32_e32 v24, v25
	s_delay_alu instid0(VALU_DEP_4) | instskip(NEXT) | instid1(VALU_DEP_4)
	v_cvt_f32_i32_e32 v27, v27
	v_fma_mix_f32 v19, v19, v70, v37 op_sel_hi:[0,1,0]
	s_delay_alu instid0(VALU_DEP_1) | instskip(SKIP_2) | instid1(VALU_DEP_2)
	v_fmac_f32_e32 v4, v38, v19
	v_dot4_i32_iu8 v45, v91, v55, v47 neg_lo:[1,1,0]
	v_dot4_i32_iu8 v46, v91, v63, v48 neg_lo:[1,1,0]
	v_dot4_i32_iu8 v45, v80, v56, v45 neg_lo:[1,1,0]
	s_delay_alu instid0(VALU_DEP_2) | instskip(NEXT) | instid1(VALU_DEP_2)
	v_dot4_i32_iu8 v46, v80, v64, v46 neg_lo:[1,1,0]
	v_dot4_i32_iu8 v21, v92, v57, v45 neg_lo:[1,1,0]
	s_delay_alu instid0(VALU_DEP_2) | instskip(NEXT) | instid1(VALU_DEP_2)
	v_dot4_i32_iu8 v29, v92, v65, v46 neg_lo:[1,1,0]
	v_dot4_i32_iu8 v21, v28, v87, v21 neg_lo:[1,1,0]
	s_delay_alu instid0(VALU_DEP_2) | instskip(NEXT) | instid1(VALU_DEP_2)
	v_dot4_i32_iu8 v29, v28, v88, v29 neg_lo:[1,1,0]
	v_cvt_f32_i32_e32 v21, v21
	s_delay_alu instid0(VALU_DEP_2) | instskip(NEXT) | instid1(VALU_DEP_2)
	v_cvt_f32_i32_e32 v25, v29
	v_fma_mix_f32 v21, v21, v50, v32 op_sel_hi:[0,1,0]
	s_delay_alu instid0(VALU_DEP_1) | instskip(SKIP_3) | instid1(VALU_DEP_2)
	v_fmac_f32_e32 v8, v38, v21
	s_wait_loadcnt 0x0
	v_dot4_i32_iu8 v20, v28, v20, v23 neg_lo:[1,1,0]
	v_dot4_i32_iu8 v23, v28, v85, v31 neg_lo:[1,1,0]
	v_cvt_f32_i32_e32 v20, v20
	s_delay_alu instid0(VALU_DEP_2) | instskip(NEXT) | instid1(VALU_DEP_2)
	v_cvt_f32_i32_e32 v23, v23
	v_fma_mix_f32 v18, v20, v18, v39 op_sel_hi:[0,1,0]
	v_fma_mix_f32 v20, v22, v26, v41 op_sel_hi:[0,1,0]
	s_delay_alu instid0(VALU_DEP_3)
	v_fma_mix_f32 v22, v23, v34, v43 op_sel_hi:[0,1,0]
	v_fma_mix_f32 v23, v24, v42, v44 op_sel_hi:[0,1,0]
	;; [unrolled: 1-line block ×4, first 2 shown]
	v_fmac_f32_e32 v14, v38, v18
	v_fmac_f32_e32 v12, v38, v20
	v_fmac_f32_e32 v10, v38, v22
	v_fmac_f32_e32 v9, v38, v23
	v_fmac_f32_e32 v6, v38, v24
	v_fmac_f32_e32 v5, v38, v25
	s_wait_alu 0xfffe
	s_and_not1_b32 exec_lo, exec_lo, s3
	s_cbranch_execnz .LBB215_2
; %bb.3:
	s_or_b32 exec_lo, exec_lo, s3
.LBB215_4:
	s_delay_alu instid0(SALU_CYCLE_1)
	s_or_b32 exec_lo, exec_lo, s21
	s_mov_b32 s3, 0
	; wave barrier
	global_inv scope:SCOPE_SE
	s_mov_b32 s2, exec_lo
	v_cmpx_eq_u32_e32 0, v11
	s_cbranch_execz .LBB215_21
; %bb.5:
	v_mbcnt_lo_u32_b32 v11, -1, 0
	s_load_b64 s[0:1], s[0:1], 0x38
	s_mul_i32 s2, s10, s19
	s_mul_i32 s4, s18, s20
	s_wait_alu 0xfffe
	s_add_co_i32 s2, s2, ttmp9
	v_xor_b32_e32 v0, 16, v11
	v_xor_b32_e32 v1, 8, v11
	;; [unrolled: 1-line block ×3, first 2 shown]
	s_wait_alu 0xfffe
	s_add_co_i32 s2, s2, s4
	s_wait_alu 0xfffe
	s_lshl_b64 s[2:3], s[2:3], 2
	v_cmp_gt_i32_e32 vcc_lo, 32, v0
	s_wait_alu 0xfffd
	v_cndmask_b32_e32 v0, v11, v0, vcc_lo
	v_cmp_gt_i32_e32 vcc_lo, 32, v1
	s_wait_kmcnt 0x0
	s_wait_alu 0xfffe
	s_add_nc_u64 s[0:1], s[0:1], s[2:3]
	s_wait_alu 0xfffd
	v_cndmask_b32_e32 v1, v11, v1, vcc_lo
	s_delay_alu instid0(VALU_DEP_1)
	v_lshlrev_b32_e32 v1, 2, v1
	v_lshlrev_b32_e32 v0, 2, v0
	ds_bpermute_b32 v2, v0, v14
	s_wait_dscnt 0x0
	v_add_f32_e32 v3, v14, v2
	v_xor_b32_e32 v2, 4, v11
	ds_bpermute_b32 v13, v1, v3
	v_cmp_gt_i32_e32 vcc_lo, 32, v2
	s_wait_alu 0xfffd
	v_cndmask_b32_e32 v2, v11, v2, vcc_lo
	s_wait_dscnt 0x0
	v_add_f32_e32 v13, v3, v13
	v_xor_b32_e32 v3, 2, v11
	s_delay_alu instid0(VALU_DEP_1) | instskip(SKIP_3) | instid1(VALU_DEP_2)
	v_cmp_gt_i32_e32 vcc_lo, 32, v3
	s_wait_alu 0xfffd
	v_cndmask_b32_e32 v3, v11, v3, vcc_lo
	v_cmp_gt_i32_e32 vcc_lo, 32, v15
	v_lshlrev_b32_e32 v3, 2, v3
	s_wait_alu 0xfffd
	v_dual_cndmask_b32 v11, v11, v15 :: v_dual_lshlrev_b32 v2, 2, v2
	v_cmp_eq_u32_e32 vcc_lo, 0, v7
	ds_bpermute_b32 v14, v2, v13
	v_lshlrev_b32_e32 v11, 2, v11
	s_wait_dscnt 0x0
	v_add_f32_e32 v13, v13, v14
	ds_bpermute_b32 v14, v3, v13
	s_wait_dscnt 0x0
	v_add_f32_e32 v13, v13, v14
	ds_bpermute_b32 v14, v11, v13
	s_and_saveexec_b32 s2, vcc_lo
	s_cbranch_execz .LBB215_7
; %bb.6:
	s_wait_dscnt 0x0
	v_add_f32_e32 v7, v13, v14
	v_mov_b32_e32 v13, 0
	global_store_b32 v13, v7, s[0:1]
.LBB215_7:
	s_wait_alu 0xfffe
	s_or_b32 exec_lo, exec_lo, s2
	ds_bpermute_b32 v7, v0, v12
	s_wait_dscnt 0x0
	v_add_f32_e32 v7, v12, v7
	ds_bpermute_b32 v12, v1, v7
	s_wait_dscnt 0x0
	v_add_f32_e32 v7, v7, v12
	;; [unrolled: 3-line block ×4, first 2 shown]
	ds_bpermute_b32 v12, v11, v7
	s_and_saveexec_b32 s2, vcc_lo
	s_cbranch_execz .LBB215_9
; %bb.8:
	s_mov_b32 s7, 0
	s_wait_dscnt 0x0
	v_dual_add_f32 v7, v7, v12 :: v_dual_mov_b32 v12, 0
	s_wait_alu 0xfffe
	s_lshl_b64 s[4:5], s[6:7], 2
	s_wait_alu 0xfffe
	s_add_nc_u64 s[4:5], s[0:1], s[4:5]
	global_store_b32 v12, v7, s[4:5]
.LBB215_9:
	s_wait_alu 0xfffe
	s_or_b32 exec_lo, exec_lo, s2
	ds_bpermute_b32 v7, v0, v10
	s_wait_dscnt 0x0
	v_add_f32_e32 v7, v10, v7
	ds_bpermute_b32 v10, v1, v7
	s_wait_dscnt 0x0
	v_add_f32_e32 v7, v7, v10
	;; [unrolled: 3-line block ×4, first 2 shown]
	ds_bpermute_b32 v10, v11, v7
	s_and_saveexec_b32 s2, vcc_lo
	s_cbranch_execz .LBB215_11
; %bb.10:
	s_lshl_b32 s4, s6, 1
	s_mov_b32 s5, 0
	s_wait_dscnt 0x0
	v_dual_add_f32 v7, v7, v10 :: v_dual_mov_b32 v10, 0
	s_wait_alu 0xfffe
	s_lshl_b64 s[4:5], s[4:5], 2
	s_wait_alu 0xfffe
	s_add_nc_u64 s[4:5], s[0:1], s[4:5]
	global_store_b32 v10, v7, s[4:5]
.LBB215_11:
	s_wait_alu 0xfffe
	s_or_b32 exec_lo, exec_lo, s2
	ds_bpermute_b32 v7, v0, v9
	s_wait_dscnt 0x0
	v_add_f32_e32 v7, v9, v7
	ds_bpermute_b32 v9, v1, v7
	s_wait_dscnt 0x0
	v_add_f32_e32 v7, v7, v9
	;; [unrolled: 3-line block ×4, first 2 shown]
	ds_bpermute_b32 v9, v11, v7
	s_and_saveexec_b32 s2, vcc_lo
	s_cbranch_execz .LBB215_13
; %bb.12:
	s_mul_i32 s4, s6, 3
	s_mov_b32 s5, 0
	s_wait_dscnt 0x0
	v_add_f32_e32 v7, v7, v9
	v_mov_b32_e32 v9, 0
	s_wait_alu 0xfffe
	s_lshl_b64 s[4:5], s[4:5], 2
	s_wait_alu 0xfffe
	s_add_nc_u64 s[4:5], s[0:1], s[4:5]
	global_store_b32 v9, v7, s[4:5]
.LBB215_13:
	s_wait_alu 0xfffe
	s_or_b32 exec_lo, exec_lo, s2
	ds_bpermute_b32 v7, v0, v8
	s_wait_dscnt 0x0
	v_add_f32_e32 v7, v8, v7
	ds_bpermute_b32 v8, v1, v7
	s_wait_dscnt 0x0
	v_add_f32_e32 v7, v7, v8
	;; [unrolled: 3-line block ×4, first 2 shown]
	ds_bpermute_b32 v8, v11, v7
	s_and_saveexec_b32 s2, vcc_lo
	s_cbranch_execz .LBB215_15
; %bb.14:
	s_lshl_b32 s4, s6, 2
	s_mov_b32 s5, 0
	s_wait_dscnt 0x0
	v_dual_add_f32 v7, v7, v8 :: v_dual_mov_b32 v8, 0
	s_wait_alu 0xfffe
	s_lshl_b64 s[4:5], s[4:5], 2
	s_wait_alu 0xfffe
	s_add_nc_u64 s[4:5], s[0:1], s[4:5]
	global_store_b32 v8, v7, s[4:5]
.LBB215_15:
	s_wait_alu 0xfffe
	s_or_b32 exec_lo, exec_lo, s2
	ds_bpermute_b32 v7, v0, v6
	s_wait_dscnt 0x0
	v_add_f32_e32 v6, v6, v7
	ds_bpermute_b32 v7, v1, v6
	s_wait_dscnt 0x0
	v_add_f32_e32 v6, v6, v7
	;; [unrolled: 3-line block ×4, first 2 shown]
	ds_bpermute_b32 v7, v11, v6
	s_and_saveexec_b32 s2, vcc_lo
	s_cbranch_execz .LBB215_17
; %bb.16:
	s_mul_i32 s4, s6, 5
	s_mov_b32 s5, 0
	s_wait_dscnt 0x0
	v_dual_add_f32 v6, v6, v7 :: v_dual_mov_b32 v7, 0
	s_wait_alu 0xfffe
	s_lshl_b64 s[4:5], s[4:5], 2
	s_wait_alu 0xfffe
	s_add_nc_u64 s[4:5], s[0:1], s[4:5]
	global_store_b32 v7, v6, s[4:5]
.LBB215_17:
	s_wait_alu 0xfffe
	s_or_b32 exec_lo, exec_lo, s2
	ds_bpermute_b32 v6, v0, v5
	s_wait_dscnt 0x0
	v_add_f32_e32 v5, v5, v6
	ds_bpermute_b32 v6, v1, v5
	s_wait_dscnt 0x0
	v_add_f32_e32 v5, v5, v6
	ds_bpermute_b32 v6, v2, v5
	s_wait_dscnt 0x0
	v_add_f32_e32 v5, v5, v6
	ds_bpermute_b32 v6, v3, v5
	s_wait_dscnt 0x0
	v_add_f32_e32 v5, v5, v6
	ds_bpermute_b32 v6, v11, v5
	s_and_saveexec_b32 s2, vcc_lo
	s_cbranch_execz .LBB215_19
; %bb.18:
	s_mul_i32 s4, s6, 6
	s_mov_b32 s5, 0
	s_wait_dscnt 0x0
	v_dual_add_f32 v5, v5, v6 :: v_dual_mov_b32 v6, 0
	s_wait_alu 0xfffe
	s_lshl_b64 s[4:5], s[4:5], 2
	s_wait_alu 0xfffe
	s_add_nc_u64 s[4:5], s[0:1], s[4:5]
	global_store_b32 v6, v5, s[4:5]
.LBB215_19:
	s_wait_alu 0xfffe
	s_or_b32 exec_lo, exec_lo, s2
	ds_bpermute_b32 v0, v0, v4
	s_wait_dscnt 0x0
	v_add_f32_e32 v0, v4, v0
	ds_bpermute_b32 v1, v1, v0
	s_wait_dscnt 0x0
	v_add_f32_e32 v0, v0, v1
	;; [unrolled: 3-line block ×4, first 2 shown]
	ds_bpermute_b32 v1, v11, v0
	s_and_b32 exec_lo, exec_lo, vcc_lo
	s_cbranch_execz .LBB215_21
; %bb.20:
	s_mul_i32 s2, s6, 7
	s_mov_b32 s3, 0
	s_wait_dscnt 0x0
	v_dual_add_f32 v0, v0, v1 :: v_dual_mov_b32 v1, 0
	s_wait_alu 0xfffe
	s_lshl_b64 s[2:3], s[2:3], 2
	s_wait_alu 0xfffe
	s_add_nc_u64 s[0:1], s[0:1], s[2:3]
	global_store_b32 v1, v0, s[0:1]
.LBB215_21:
	s_endpgm
	.section	.rodata,"a",@progbits
	.p2align	6, 0x0
	.amdhsa_kernel _ZL13mul_mat_vec_qIL9ggml_type19ELi8ELb0ELb0EEvPKvS2_PKi31ggml_cuda_mm_fusion_args_devicePfj15HIP_vector_typeIjLj3EEjjjS8_jjjS8_jjjj
		.amdhsa_group_segment_fixed_size 0
		.amdhsa_private_segment_fixed_size 0
		.amdhsa_kernarg_size 144
		.amdhsa_user_sgpr_count 2
		.amdhsa_user_sgpr_dispatch_ptr 0
		.amdhsa_user_sgpr_queue_ptr 0
		.amdhsa_user_sgpr_kernarg_segment_ptr 1
		.amdhsa_user_sgpr_dispatch_id 0
		.amdhsa_user_sgpr_private_segment_size 0
		.amdhsa_wavefront_size32 1
		.amdhsa_uses_dynamic_stack 0
		.amdhsa_enable_private_segment 0
		.amdhsa_system_sgpr_workgroup_id_x 1
		.amdhsa_system_sgpr_workgroup_id_y 1
		.amdhsa_system_sgpr_workgroup_id_z 1
		.amdhsa_system_sgpr_workgroup_info 0
		.amdhsa_system_vgpr_workitem_id 1
		.amdhsa_next_free_vgpr 93
		.amdhsa_next_free_sgpr 26
		.amdhsa_reserve_vcc 1
		.amdhsa_float_round_mode_32 0
		.amdhsa_float_round_mode_16_64 0
		.amdhsa_float_denorm_mode_32 3
		.amdhsa_float_denorm_mode_16_64 3
		.amdhsa_fp16_overflow 0
		.amdhsa_workgroup_processor_mode 1
		.amdhsa_memory_ordered 1
		.amdhsa_forward_progress 1
		.amdhsa_inst_pref_size 27
		.amdhsa_round_robin_scheduling 0
		.amdhsa_exception_fp_ieee_invalid_op 0
		.amdhsa_exception_fp_denorm_src 0
		.amdhsa_exception_fp_ieee_div_zero 0
		.amdhsa_exception_fp_ieee_overflow 0
		.amdhsa_exception_fp_ieee_underflow 0
		.amdhsa_exception_fp_ieee_inexact 0
		.amdhsa_exception_int_div_zero 0
	.end_amdhsa_kernel
	.section	.text._ZL13mul_mat_vec_qIL9ggml_type19ELi8ELb0ELb0EEvPKvS2_PKi31ggml_cuda_mm_fusion_args_devicePfj15HIP_vector_typeIjLj3EEjjjS8_jjjS8_jjjj,"axG",@progbits,_ZL13mul_mat_vec_qIL9ggml_type19ELi8ELb0ELb0EEvPKvS2_PKi31ggml_cuda_mm_fusion_args_devicePfj15HIP_vector_typeIjLj3EEjjjS8_jjjS8_jjjj,comdat
.Lfunc_end215:
	.size	_ZL13mul_mat_vec_qIL9ggml_type19ELi8ELb0ELb0EEvPKvS2_PKi31ggml_cuda_mm_fusion_args_devicePfj15HIP_vector_typeIjLj3EEjjjS8_jjjS8_jjjj, .Lfunc_end215-_ZL13mul_mat_vec_qIL9ggml_type19ELi8ELb0ELb0EEvPKvS2_PKi31ggml_cuda_mm_fusion_args_devicePfj15HIP_vector_typeIjLj3EEjjjS8_jjjS8_jjjj
                                        ; -- End function
	.set _ZL13mul_mat_vec_qIL9ggml_type19ELi8ELb0ELb0EEvPKvS2_PKi31ggml_cuda_mm_fusion_args_devicePfj15HIP_vector_typeIjLj3EEjjjS8_jjjS8_jjjj.num_vgpr, 93
	.set _ZL13mul_mat_vec_qIL9ggml_type19ELi8ELb0ELb0EEvPKvS2_PKi31ggml_cuda_mm_fusion_args_devicePfj15HIP_vector_typeIjLj3EEjjjS8_jjjS8_jjjj.num_agpr, 0
	.set _ZL13mul_mat_vec_qIL9ggml_type19ELi8ELb0ELb0EEvPKvS2_PKi31ggml_cuda_mm_fusion_args_devicePfj15HIP_vector_typeIjLj3EEjjjS8_jjjS8_jjjj.numbered_sgpr, 26
	.set _ZL13mul_mat_vec_qIL9ggml_type19ELi8ELb0ELb0EEvPKvS2_PKi31ggml_cuda_mm_fusion_args_devicePfj15HIP_vector_typeIjLj3EEjjjS8_jjjS8_jjjj.num_named_barrier, 0
	.set _ZL13mul_mat_vec_qIL9ggml_type19ELi8ELb0ELb0EEvPKvS2_PKi31ggml_cuda_mm_fusion_args_devicePfj15HIP_vector_typeIjLj3EEjjjS8_jjjS8_jjjj.private_seg_size, 0
	.set _ZL13mul_mat_vec_qIL9ggml_type19ELi8ELb0ELb0EEvPKvS2_PKi31ggml_cuda_mm_fusion_args_devicePfj15HIP_vector_typeIjLj3EEjjjS8_jjjS8_jjjj.uses_vcc, 1
	.set _ZL13mul_mat_vec_qIL9ggml_type19ELi8ELb0ELb0EEvPKvS2_PKi31ggml_cuda_mm_fusion_args_devicePfj15HIP_vector_typeIjLj3EEjjjS8_jjjS8_jjjj.uses_flat_scratch, 0
	.set _ZL13mul_mat_vec_qIL9ggml_type19ELi8ELb0ELb0EEvPKvS2_PKi31ggml_cuda_mm_fusion_args_devicePfj15HIP_vector_typeIjLj3EEjjjS8_jjjS8_jjjj.has_dyn_sized_stack, 0
	.set _ZL13mul_mat_vec_qIL9ggml_type19ELi8ELb0ELb0EEvPKvS2_PKi31ggml_cuda_mm_fusion_args_devicePfj15HIP_vector_typeIjLj3EEjjjS8_jjjS8_jjjj.has_recursion, 0
	.set _ZL13mul_mat_vec_qIL9ggml_type19ELi8ELb0ELb0EEvPKvS2_PKi31ggml_cuda_mm_fusion_args_devicePfj15HIP_vector_typeIjLj3EEjjjS8_jjjS8_jjjj.has_indirect_call, 0
	.section	.AMDGPU.csdata,"",@progbits
; Kernel info:
; codeLenInByte = 3424
; TotalNumSgprs: 28
; NumVgprs: 93
; ScratchSize: 0
; MemoryBound: 0
; FloatMode: 240
; IeeeMode: 1
; LDSByteSize: 0 bytes/workgroup (compile time only)
; SGPRBlocks: 0
; VGPRBlocks: 11
; NumSGPRsForWavesPerEU: 28
; NumVGPRsForWavesPerEU: 93
; Occupancy: 16
; WaveLimiterHint : 0
; COMPUTE_PGM_RSRC2:SCRATCH_EN: 0
; COMPUTE_PGM_RSRC2:USER_SGPR: 2
; COMPUTE_PGM_RSRC2:TRAP_HANDLER: 0
; COMPUTE_PGM_RSRC2:TGID_X_EN: 1
; COMPUTE_PGM_RSRC2:TGID_Y_EN: 1
; COMPUTE_PGM_RSRC2:TGID_Z_EN: 1
; COMPUTE_PGM_RSRC2:TIDIG_COMP_CNT: 1
	.section	.text._ZL17mul_mat_vec_q_moeIL9ggml_type29ELi2EEvPKvS2_PKiPfj15HIP_vector_typeIjLj3EEjjjjjjjjj,"axG",@progbits,_ZL17mul_mat_vec_q_moeIL9ggml_type29ELi2EEvPKvS2_PKiPfj15HIP_vector_typeIjLj3EEjjjjjjjjj,comdat
	.globl	_ZL17mul_mat_vec_q_moeIL9ggml_type29ELi2EEvPKvS2_PKiPfj15HIP_vector_typeIjLj3EEjjjjjjjjj ; -- Begin function _ZL17mul_mat_vec_q_moeIL9ggml_type29ELi2EEvPKvS2_PKiPfj15HIP_vector_typeIjLj3EEjjjjjjjjj
	.p2align	8
	.type	_ZL17mul_mat_vec_q_moeIL9ggml_type29ELi2EEvPKvS2_PKiPfj15HIP_vector_typeIjLj3EEjjjjjjjjj,@function
_ZL17mul_mat_vec_q_moeIL9ggml_type29ELi2EEvPKvS2_PKiPfj15HIP_vector_typeIjLj3EEjjjjjjjjj: ; @_ZL17mul_mat_vec_q_moeIL9ggml_type29ELi2EEvPKvS2_PKiPfj15HIP_vector_typeIjLj3EEjjjjjjjjj
; %bb.0:
	s_load_b256 s[4:11], s[0:1], 0x30
	v_bfe_u32 v6, v0, 10, 10
	s_mov_b32 s2, exec_lo
	s_wait_kmcnt 0x0
	s_delay_alu instid0(VALU_DEP_1)
	v_cmpx_gt_u32_e64 s11, v6
	s_cbranch_execz .LBB216_7
; %bb.1:
	s_clause 0x2
	s_load_b32 s2, s[0:1], 0x20
	s_load_b32 s20, s[0:1], 0x50
	s_load_b256 s[12:19], s[0:1], 0x0
	v_bfe_u32 v8, v0, 3, 7
	v_dual_mov_b32 v0, 0 :: v_dual_and_b32 v7, 0x3ff, v0
	v_mov_b32_e32 v1, 0
	s_mov_b32 s11, exec_lo
	s_wait_kmcnt 0x0
	s_lshr_b32 s3, s2, 8
	s_lshl_b32 s2, ttmp9, 1
	v_cmpx_gt_u32_e64 s3, v8
	s_cbranch_execz .LBB216_5
; %bb.2:
	s_mov_b32 s22, ttmp7
	v_lshrrev_b32_e32 v4, 3, v7
	v_mad_co_u64_u32 v[0:1], null, s20, v6, s[22:23]
	v_mov_b32_e32 v1, 0
	s_load_b96 s[20:22], s[0:1], 0x24
	v_bfe_u32 v12, v7, 1, 2
	s_mov_b32 s1, 0
	s_delay_alu instid0(VALU_DEP_2) | instskip(NEXT) | instid1(VALU_DEP_2)
	v_lshlrev_b64_e32 v[2:3], 2, v[0:1]
	v_lshlrev_b32_e32 v12, 1, v12
	s_delay_alu instid0(VALU_DEP_2) | instskip(NEXT) | instid1(VALU_DEP_1)
	v_add_co_u32 v2, vcc_lo, s16, v2
	v_add_co_ci_u32_e64 v3, null, s17, v3, vcc_lo
	global_load_b32 v0, v[2:3], off
	v_mul_lo_u32 v2, s6, v6
	s_wait_kmcnt 0x0
	s_mul_hi_u32 s0, s20, ttmp7
	s_delay_alu instid0(SALU_CYCLE_1) | instskip(NEXT) | instid1(SALU_CYCLE_1)
	s_add_co_i32 s0, ttmp7, s0
	s_lshr_b32 s0, s0, s21
	s_delay_alu instid0(SALU_CYCLE_1) | instskip(NEXT) | instid1(VALU_DEP_1)
	s_mul_i32 s0, s0, s22
	v_mad_co_u64_u32 v[2:3], null, v2, 36, 0
	s_sub_co_i32 s0, ttmp7, s0
	s_delay_alu instid0(SALU_CYCLE_1) | instskip(SKIP_3) | instid1(VALU_DEP_2)
	s_mul_i32 s0, s0, s9
	v_mad_co_u64_u32 v[2:3], null, 0x120, v4, v[2:3]
	v_and_b32_e32 v4, 1, v7
	v_and_b32_e32 v11, 7, v7
	v_cmp_eq_u32_e32 vcc_lo, 1, v4
	s_delay_alu instid0(VALU_DEP_4) | instskip(SKIP_4) | instid1(VALU_DEP_1)
	v_mad_co_u64_u32 v[2:3], null, s0, 36, v[2:3]
	s_add_co_i32 s0, s2, 1
	s_wait_alu 0xfffd
	v_cndmask_b32_e64 v10, 0, 6, vcc_lo
	v_mad_co_u64_u32 v[2:3], null, v11, 36, v[2:3]
	v_add_co_u32 v5, vcc_lo, s14, v2
	s_wait_alu 0xfffd
	s_delay_alu instid0(VALU_DEP_2) | instskip(SKIP_2) | instid1(VALU_DEP_1)
	v_add_co_ci_u32_e64 v13, null, s15, v3, vcc_lo
	s_wait_loadcnt 0x0
	v_mul_lo_u32 v0, v0, s8
	v_mad_co_u64_u32 v[2:3], null, s2, s5, v[0:1]
	s_wait_alu 0xfffe
	v_mad_co_u64_u32 v[3:4], null, s5, s0, v[0:1]
	v_add_co_u32 v4, vcc_lo, v5, 32
	s_wait_alu 0xfffd
	v_add_co_ci_u32_e64 v5, null, 0, v13, vcc_lo
	v_dual_mov_b32 v0, v1 :: v_dual_lshlrev_b32 v9, 1, v11
	v_lshlrev_b32_e32 v11, 2, v11
	s_mov_b32 s5, 0xbd000000
.LBB216_3:                              ; =>This Inner Loop Header: Depth=1
	v_add_nc_u32_e32 v13, v2, v8
	v_add_nc_u32_e32 v14, v3, v8
	s_getpc_b64 s[8:9]
	s_wait_alu 0xfffe
	s_sext_i32_i16 s9, s9
	s_add_co_u32 s8, s8, _ZL13iq1s_grid_gpu@rel32@lo+12
	s_wait_alu 0xfffe
	s_add_co_ci_u32 s9, s9, _ZL13iq1s_grid_gpu@rel32@hi+24
	v_add_nc_u32_e32 v8, 4, v8
	v_mad_co_i64_i32 v[21:22], null, v13, 56, s[12:13]
	v_mad_co_i64_i32 v[23:24], null, v14, 56, s[12:13]
	s_delay_alu instid0(VALU_DEP_3) | instskip(NEXT) | instid1(VALU_DEP_3)
	v_cmp_le_u32_e64 s0, s3, v8
	v_add_co_u32 v13, vcc_lo, v21, v11
	s_wait_alu 0xfffd
	s_delay_alu instid0(VALU_DEP_4)
	v_add_co_ci_u32_e64 v14, null, 0, v22, vcc_lo
	v_add_co_u32 v15, vcc_lo, v21, v9
	s_wait_alu 0xfffd
	v_add_co_ci_u32_e64 v16, null, 0, v22, vcc_lo
	v_add_co_u32 v17, vcc_lo, v23, v11
	s_wait_alu 0xfffd
	;; [unrolled: 3-line block ×4, first 2 shown]
	v_add_co_ci_u32_e64 v26, null, 0, v24, vcc_lo
	s_clause 0x4
	global_load_b32 v27, v[13:14], off
	global_load_u16 v28, v[15:16], off offset:32
	global_load_b32 v29, v[17:18], off
	global_load_u16 v30, v[19:20], off offset:32
	global_load_u16 v31, v[25:26], off offset:48
	s_clause 0x2
	global_load_b128 v[13:16], v[4:5], off offset:-16
	global_load_b128 v[17:20], v[4:5], off offset:-32
	global_load_b32 v32, v[4:5], off
	v_add_co_u32 v25, vcc_lo, v21, v12
	s_wait_alu 0xfffd
	v_add_co_ci_u32_e64 v26, null, 0, v22, vcc_lo
	s_clause 0x2
	global_load_u16 v25, v[25:26], off offset:48
	global_load_b64 v[21:22], v[21:22], off offset:48
	global_load_b64 v[23:24], v[23:24], off offset:48
	v_add_co_u32 v4, vcc_lo, 0x480, v4
	s_wait_alu 0xfffd
	v_add_co_ci_u32_e64 v5, null, 0, v5, vcc_lo
	s_or_b32 s1, s0, s1
	s_wait_loadcnt 0xa
	v_bfe_u32 v36, v27, 8, 8
	s_wait_loadcnt 0x9
	v_lshrrev_b16 v33, 8, v28
	v_lshlrev_b32_e32 v35, 8, v28
	v_lshlrev_b32_e32 v37, 4, v28
	s_wait_loadcnt 0x7
	v_lshrrev_b16 v41, 8, v30
	v_and_b32_e32 v38, 0xff, v29
	s_wait_loadcnt 0x4
	v_cvt_f32_f16_e32 v17, v17
	v_and_b32_e32 v45, 8, v28
	v_lshrrev_b32_e32 v28, 4, v28
	v_dot4_i32_iu8 v44, v20, 0x1010101, 0 neg_lo:[1,1,0]
	v_bfe_u32 v39, v29, 8, 8
	v_bfe_u32 v40, v29, 16, 8
	;; [unrolled: 1-line block ×3, first 2 shown]
	v_and_b32_e32 v28, 8, v28
	s_wait_loadcnt 0x1
	v_lshrrev_b32_e32 v46, 16, v22
	v_lshrrev_b16 v47, 12, v21
	v_lshrrev_b32_e32 v21, 24, v21
	v_lshrrev_b16 v22, 4, v22
	s_wait_loadcnt 0x0
	v_pk_lshrrev_b16 v23, 0x8000c, v23
	v_pk_lshrrev_b16 v24, 4, v24
	v_dot4_i32_iu8 v44, v13, 0x1010101, v44 neg_lo:[1,1,0]
	v_and_b32_e32 v46, 0xfffff000, v46
	v_and_b32_e32 v22, 0xf00, v22
	v_bfi_b32 v21, 0xffff, v21, v23
	v_and_b32_e32 v24, 0xf0000f00, v24
	v_perm_b32 v23, v23, v47, 0x5040100
	v_cvt_f32_ubyte0_e32 v28, v28
	v_lshlrev_b32_e32 v43, 4, v30
	v_cvt_f32_i32_e32 v44, v44
	v_lshrrev_b32_e32 v25, v10, v25
	v_and_or_b32 v21, 0xf000f0, v21, v23
	v_perm_b32 v22, v24, v22, 0x5040100
	v_bfi_b32 v23, 0xffff, v46, v24
	v_fmaak_f32 v24, s5, v28, 0xbf600000
	v_and_b32_e32 v34, 0xff, v27
	v_lshlrev_b32_e32 v49, 1, v25
	v_lshrrev_b32_e32 v25, 2, v25
	v_cvt_f32_ubyte0_e32 v45, v45
	v_and_b32_e32 v48, 8, v48
	v_and_or_b32 v34, 0x700, v35, v34
	v_and_or_b32 v35, 0x700, v37, v36
	v_and_b32_e32 v36, 0xffff, v41
	v_and_b32_e32 v41, 8, v41
	v_and_or_b32 v25, v25, 14, 1
	v_fmaak_f32 v45, s5, v45, 0xbf600000
	v_cvt_f32_ubyte0_e32 v48, v48
	v_lshlrev_b32_e32 v34, 2, v34
	v_cvt_f32_ubyte0_e32 v41, v41
	v_lshlrev_b32_e32 v42, 8, v30
	v_cvt_f32_ubyte0_e32 v25, v25
	v_and_b32_e32 v30, 8, v30
	v_or3_b32 v21, v21, v22, v23
	v_fmaak_f32 v41, s5, v41, 0xbf600000
	v_and_or_b32 v37, 0x700, v42, v38
	v_and_or_b32 v38, 0x700, v43, v39
	v_lshrrev_b32_e32 v43, 4, v36
	v_lshlrev_b32_e32 v36, 8, v36
	v_cvt_f32_ubyte0_e32 v30, v30
	v_lshrrev_b32_e32 v26, 24, v27
	v_bfe_u32 v27, v27, 16, 8
	v_alignbit_b32 v29, v43, v29, 24
	v_and_or_b32 v36, 0x700, v36, v40
	v_dot4_i32_iu8 v40, v18, 0x1010101, 0 neg_lo:[1,1,0]
	v_fmaak_f32 v30, s5, v30, 0xbf600000
	v_lshrrev_b32_e32 v31, v10, v31
	v_and_or_b32 v49, v49, 14, 1
	s_delay_alu instid0(VALU_DEP_4) | instskip(NEXT) | instid1(VALU_DEP_3)
	v_dot4_i32_iu8 v40, v19, 0x1010101, v40 neg_lo:[1,1,0]
	v_lshlrev_b32_e32 v50, 1, v31
	v_lshrrev_b32_e32 v31, 2, v31
	s_delay_alu instid0(VALU_DEP_4) | instskip(NEXT) | instid1(VALU_DEP_4)
	v_cvt_f32_ubyte0_e32 v46, v49
	v_cvt_f32_i32_e32 v40, v40
	s_delay_alu instid0(VALU_DEP_4) | instskip(NEXT) | instid1(VALU_DEP_4)
	v_and_b32_e32 v50, 14, v50
	v_and_b32_e32 v31, 14, v31
	s_delay_alu instid0(VALU_DEP_3) | instskip(SKIP_3) | instid1(VALU_DEP_4)
	v_fma_f32 v45, v45, v40, 0
	v_fma_f32 v30, v30, v40, 0
	v_dual_fmaak_f32 v43, s5, v48, 0xbf600000 :: v_dual_and_b32 v40, 8, v43
	v_and_b32_e32 v33, 0xffff, v33
	v_dual_fmac_f32 v45, v24, v44 :: v_dual_lshlrev_b32 v38, 2, v38
	v_or_b32_e32 v31, 1, v31
	s_delay_alu instid0(VALU_DEP_3) | instskip(SKIP_2) | instid1(VALU_DEP_4)
	v_dual_fmac_f32 v30, v43, v44 :: v_dual_and_b32 v47, 8, v33
	v_lshlrev_b32_e32 v37, 2, v37
	v_lshlrev_b32_e32 v42, 4, v33
	v_cvt_f32_ubyte0_e32 v31, v31
	s_delay_alu instid0(VALU_DEP_4) | instskip(SKIP_2) | instid1(VALU_DEP_3)
	v_cvt_f32_ubyte0_e32 v28, v47
	v_lshlrev_b32_e32 v35, 2, v35
	v_or_b32_e32 v47, 1, v50
	v_fmaak_f32 v22, s5, v28, 0xbf600000
	s_clause 0x3
	global_load_b32 v34, v34, s[8:9]
	global_load_b32 v35, v35, s[8:9]
	;; [unrolled: 1-line block ×4, first 2 shown]
	v_cvt_f32_ubyte0_e32 v28, v40
	v_lshlrev_b32_e32 v39, 8, v33
	v_lshrrev_b32_e32 v33, 4, v33
	v_lshrrev_b32_e32 v40, 16, v21
	v_cvt_f32_f16_e32 v21, v21
	v_fmaak_f32 v28, s5, v28, 0xbf600000
	v_and_or_b32 v27, 0x700, v39, v27
	v_and_b32_e32 v33, 8, v33
	v_dot4_i32_iu8 v39, v14, 0x1010101, 0 neg_lo:[1,1,0]
	s_delay_alu instid0(VALU_DEP_2) | instskip(NEXT) | instid1(VALU_DEP_2)
	v_cvt_f32_ubyte0_e32 v23, v33
	v_dot4_i32_iu8 v39, v15, 0x1010101, v39 neg_lo:[1,1,0]
	v_cvt_f32_ubyte0_e32 v33, v47
	v_lshlrev_b32_e32 v27, 2, v27
	s_delay_alu instid0(VALU_DEP_4) | instskip(SKIP_3) | instid1(VALU_DEP_3)
	v_fmaak_f32 v23, s5, v23, 0xbf600000
	v_and_or_b32 v26, 0x700, v42, v26
	v_dot4_i32_iu8 v42, v16, 0x1010101, 0 neg_lo:[1,1,0]
	v_cvt_f32_i32_e32 v39, v39
	v_lshlrev_b32_e32 v26, 2, v26
	s_delay_alu instid0(VALU_DEP_3) | instskip(NEXT) | instid1(VALU_DEP_3)
	v_dot4_i32_iu8 v42, v32, 0x1010101, v42 neg_lo:[1,1,0]
	v_fma_f32 v24, v41, v39, 0
	v_fma_f32 v22, v22, v39, 0
	v_cvt_f32_f16_e32 v39, v40
	s_delay_alu instid0(VALU_DEP_4) | instskip(NEXT) | instid1(VALU_DEP_1)
	v_cvt_f32_i32_e32 v42, v42
	v_fmac_f32_e32 v22, v23, v42
	v_dual_fmac_f32 v24, v28, v42 :: v_dual_and_b32 v29, 0x7ff, v29
	s_delay_alu instid0(VALU_DEP_1)
	v_lshlrev_b32_e32 v29, 2, v29
	s_wait_loadcnt 0x3
	v_and_b32_e32 v23, 0xf0f0f0f, v34
	v_lshrrev_b32_e32 v28, 4, v34
	s_wait_loadcnt 0x1
	v_and_b32_e32 v40, 0xf0f0f0f, v37
	v_lshrrev_b32_e32 v37, 4, v37
	v_and_b32_e32 v34, 0xf0f0f0f, v35
	v_dot4_i32_iu8 v23, v23, v18, 0 neg_lo:[1,1,0]
	v_and_b32_e32 v28, 0xf0f0f0f, v28
	v_dot4_i32_iu8 v18, v40, v18, 0 neg_lo:[1,1,0]
	v_and_b32_e32 v37, 0xf0f0f0f, v37
	v_lshrrev_b32_e32 v35, 4, v35
	s_wait_loadcnt 0x0
	v_and_b32_e32 v41, 0xf0f0f0f, v38
	v_lshrrev_b32_e32 v38, 4, v38
	v_dot4_i32_iu8 v23, v28, v19, v23 neg_lo:[1,1,0]
	v_dot4_i32_iu8 v18, v37, v19, v18 neg_lo:[1,1,0]
	v_and_b32_e32 v35, 0xf0f0f0f, v35
	s_delay_alu instid0(VALU_DEP_4) | instskip(NEXT) | instid1(VALU_DEP_4)
	v_and_b32_e32 v38, 0xf0f0f0f, v38
	v_dot4_i32_iu8 v23, v34, v20, v23 neg_lo:[1,1,0]
	s_delay_alu instid0(VALU_DEP_4) | instskip(NEXT) | instid1(VALU_DEP_1)
	v_dot4_i32_iu8 v18, v41, v20, v18 neg_lo:[1,1,0]
	v_dot4_i32_iu8 v18, v38, v13, v18 neg_lo:[1,1,0]
	s_delay_alu instid0(VALU_DEP_3) | instskip(NEXT) | instid1(VALU_DEP_1)
	v_dot4_i32_iu8 v13, v35, v13, v23 neg_lo:[1,1,0]
	v_cvt_f32_i32_e32 v13, v13
	s_delay_alu instid0(VALU_DEP_1)
	v_dual_add_f32 v13, v45, v13 :: v_dual_lshlrev_b32 v36, 2, v36
	s_clause 0x3
	global_load_b32 v27, v27, s[8:9]
	global_load_b32 v26, v26, s[8:9]
	;; [unrolled: 1-line block ×4, first 2 shown]
	s_wait_loadcnt 0x3
	v_and_b32_e32 v28, 0xf0f0f0f, v27
	v_lshrrev_b32_e32 v27, 4, v27
	s_wait_loadcnt 0x1
	v_and_b32_e32 v19, 0xf0f0f0f, v36
	v_lshrrev_b32_e32 v36, 4, v36
	v_and_b32_e32 v40, 0xf0f0f0f, v26
	v_dot4_i32_iu8 v28, v28, v14, 0 neg_lo:[1,1,0]
	v_and_b32_e32 v27, 0xf0f0f0f, v27
	v_lshrrev_b32_e32 v26, 4, v26
	v_and_b32_e32 v20, 0xf0f0f0f, v36
	v_dot4_i32_iu8 v14, v19, v14, 0 neg_lo:[1,1,0]
	s_delay_alu instid0(VALU_DEP_4) | instskip(NEXT) | instid1(VALU_DEP_4)
	v_dot4_i32_iu8 v19, v27, v15, v28 neg_lo:[1,1,0]
	v_and_b32_e32 v26, 0xf0f0f0f, v26
	s_wait_loadcnt 0x0
	v_and_b32_e32 v27, 0xf0f0f0f, v29
	v_lshrrev_b32_e32 v28, 4, v29
	v_dot4_i32_iu8 v14, v20, v15, v14 neg_lo:[1,1,0]
	v_dot4_i32_iu8 v15, v40, v16, v19 neg_lo:[1,1,0]
	s_delay_alu instid0(VALU_DEP_3) | instskip(NEXT) | instid1(VALU_DEP_3)
	v_and_b32_e32 v19, 0xf0f0f0f, v28
	v_dot4_i32_iu8 v14, v27, v16, v14 neg_lo:[1,1,0]
	s_delay_alu instid0(VALU_DEP_3)
	v_dot4_i32_iu8 v15, v26, v32, v15 neg_lo:[1,1,0]
	v_cvt_f32_i32_e32 v16, v18
	v_mul_f32_e32 v18, v17, v21
	v_mul_f32_e32 v17, v17, v39
	v_dot4_i32_iu8 v14, v19, v32, v14 neg_lo:[1,1,0]
	v_cvt_f32_i32_e32 v15, v15
	v_add_f32_e32 v16, v30, v16
	s_delay_alu instid0(VALU_DEP_3) | instskip(NEXT) | instid1(VALU_DEP_2)
	v_cvt_f32_i32_e32 v14, v14
	v_dual_add_f32 v15, v22, v15 :: v_dual_mul_f32 v16, v16, v33
	s_delay_alu instid0(VALU_DEP_1) | instskip(NEXT) | instid1(VALU_DEP_1)
	v_dual_add_f32 v14, v24, v14 :: v_dual_mul_f32 v15, v15, v25
	v_dual_fmac_f32 v16, v14, v31 :: v_dual_fmac_f32 v15, v13, v46
	s_delay_alu instid0(VALU_DEP_1)
	v_dual_fmac_f32 v0, v17, v16 :: v_dual_fmac_f32 v1, v18, v15
	s_wait_alu 0xfffe
	s_and_not1_b32 exec_lo, exec_lo, s1
	s_cbranch_execnz .LBB216_3
; %bb.4:
	s_or_b32 exec_lo, exec_lo, s1
.LBB216_5:
	s_wait_alu 0xfffe
	s_or_b32 exec_lo, exec_lo, s11
	v_mbcnt_lo_u32_b32 v2, -1, 0
	s_delay_alu instid0(VALU_DEP_1) | instskip(SKIP_1) | instid1(VALU_DEP_2)
	v_xor_b32_e32 v3, 16, v2
	v_xor_b32_e32 v5, 8, v2
	v_cmp_gt_i32_e32 vcc_lo, 32, v3
	s_wait_alu 0xfffd
	v_cndmask_b32_e32 v3, v2, v3, vcc_lo
	s_delay_alu instid0(VALU_DEP_3) | instskip(NEXT) | instid1(VALU_DEP_2)
	v_cmp_gt_i32_e32 vcc_lo, 32, v5
	v_lshlrev_b32_e32 v3, 2, v3
	ds_bpermute_b32 v4, v3, v1
	ds_bpermute_b32 v3, v3, v0
	s_wait_alu 0xfffd
	v_cndmask_b32_e32 v5, v2, v5, vcc_lo
	s_wait_dscnt 0x0
	v_dual_add_f32 v1, v1, v4 :: v_dual_add_f32 v0, v0, v3
	s_delay_alu instid0(VALU_DEP_2) | instskip(SKIP_3) | instid1(VALU_DEP_1)
	v_lshlrev_b32_e32 v5, 2, v5
	ds_bpermute_b32 v3, v5, v1
	ds_bpermute_b32 v4, v5, v0
	v_xor_b32_e32 v5, 4, v2
	v_cmp_gt_i32_e32 vcc_lo, 32, v5
	s_wait_alu 0xfffd
	v_cndmask_b32_e32 v5, v2, v5, vcc_lo
	s_delay_alu instid0(VALU_DEP_1)
	v_lshlrev_b32_e32 v5, 2, v5
	s_wait_dscnt 0x0
	v_dual_add_f32 v1, v1, v3 :: v_dual_add_f32 v0, v0, v4
	ds_bpermute_b32 v3, v5, v1
	ds_bpermute_b32 v4, v5, v0
	v_xor_b32_e32 v5, 2, v2
	s_delay_alu instid0(VALU_DEP_1) | instskip(SKIP_2) | instid1(VALU_DEP_1)
	v_cmp_gt_i32_e32 vcc_lo, 32, v5
	s_wait_alu 0xfffd
	v_cndmask_b32_e32 v5, v2, v5, vcc_lo
	v_lshlrev_b32_e32 v5, 2, v5
	s_wait_dscnt 0x1
	v_add_f32_e32 v1, v1, v3
	s_wait_dscnt 0x0
	v_add_f32_e32 v3, v0, v4
	ds_bpermute_b32 v0, v5, v1
	ds_bpermute_b32 v4, v5, v3
	v_xor_b32_e32 v5, 1, v2
	s_delay_alu instid0(VALU_DEP_1) | instskip(SKIP_4) | instid1(VALU_DEP_2)
	v_cmp_gt_i32_e32 vcc_lo, 32, v5
	s_wait_alu 0xfffd
	v_cndmask_b32_e32 v2, v2, v5, vcc_lo
	v_cmp_gt_u32_e32 vcc_lo, 2, v7
	s_wait_dscnt 0x1
	v_dual_add_f32 v0, v1, v0 :: v_dual_lshlrev_b32 v5, 2, v2
	s_wait_dscnt 0x0
	v_dual_add_f32 v1, v3, v4 :: v_dual_add_nc_u32 v4, s2, v7
	ds_bpermute_b32 v2, v5, v0
	ds_bpermute_b32 v3, v5, v1
	v_cmp_gt_u32_e64 s0, s4, v4
	s_and_b32 s0, vcc_lo, s0
	s_wait_alu 0xfffe
	s_and_b32 exec_lo, exec_lo, s0
	s_cbranch_execz .LBB216_7
; %bb.6:
	v_mul_lo_u32 v4, s7, v6
	v_or_b32_e32 v6, s2, v7
	s_mul_i32 s0, s10, ttmp7
	s_wait_dscnt 0x1
	v_dual_mov_b32 v5, 0 :: v_dual_add_f32 v2, v0, v2
	s_wait_dscnt 0x0
	v_add_f32_e32 v3, v1, v3
	v_cmp_eq_u32_e32 vcc_lo, 1, v7
	s_wait_alu 0xfffe
	v_add3_u32 v4, v6, v4, s0
	s_wait_alu 0xfffd
	v_cndmask_b32_e32 v2, v2, v3, vcc_lo
	s_delay_alu instid0(VALU_DEP_2) | instskip(NEXT) | instid1(VALU_DEP_1)
	v_lshlrev_b64_e32 v[0:1], 2, v[4:5]
	v_add_co_u32 v0, vcc_lo, s18, v0
	s_wait_alu 0xfffd
	s_delay_alu instid0(VALU_DEP_2)
	v_add_co_ci_u32_e64 v1, null, s19, v1, vcc_lo
	global_store_b32 v[0:1], v2, off
.LBB216_7:
	s_endpgm
	.section	.rodata,"a",@progbits
	.p2align	6, 0x0
	.amdhsa_kernel _ZL17mul_mat_vec_q_moeIL9ggml_type29ELi2EEvPKvS2_PKiPfj15HIP_vector_typeIjLj3EEjjjjjjjjj
		.amdhsa_group_segment_fixed_size 0
		.amdhsa_private_segment_fixed_size 0
		.amdhsa_kernarg_size 84
		.amdhsa_user_sgpr_count 2
		.amdhsa_user_sgpr_dispatch_ptr 0
		.amdhsa_user_sgpr_queue_ptr 0
		.amdhsa_user_sgpr_kernarg_segment_ptr 1
		.amdhsa_user_sgpr_dispatch_id 0
		.amdhsa_user_sgpr_private_segment_size 0
		.amdhsa_wavefront_size32 1
		.amdhsa_uses_dynamic_stack 0
		.amdhsa_enable_private_segment 0
		.amdhsa_system_sgpr_workgroup_id_x 1
		.amdhsa_system_sgpr_workgroup_id_y 1
		.amdhsa_system_sgpr_workgroup_id_z 0
		.amdhsa_system_sgpr_workgroup_info 0
		.amdhsa_system_vgpr_workitem_id 1
		.amdhsa_next_free_vgpr 51
		.amdhsa_next_free_sgpr 24
		.amdhsa_reserve_vcc 1
		.amdhsa_float_round_mode_32 0
		.amdhsa_float_round_mode_16_64 0
		.amdhsa_float_denorm_mode_32 3
		.amdhsa_float_denorm_mode_16_64 3
		.amdhsa_fp16_overflow 0
		.amdhsa_workgroup_processor_mode 1
		.amdhsa_memory_ordered 1
		.amdhsa_forward_progress 1
		.amdhsa_inst_pref_size 21
		.amdhsa_round_robin_scheduling 0
		.amdhsa_exception_fp_ieee_invalid_op 0
		.amdhsa_exception_fp_denorm_src 0
		.amdhsa_exception_fp_ieee_div_zero 0
		.amdhsa_exception_fp_ieee_overflow 0
		.amdhsa_exception_fp_ieee_underflow 0
		.amdhsa_exception_fp_ieee_inexact 0
		.amdhsa_exception_int_div_zero 0
	.end_amdhsa_kernel
	.section	.text._ZL17mul_mat_vec_q_moeIL9ggml_type29ELi2EEvPKvS2_PKiPfj15HIP_vector_typeIjLj3EEjjjjjjjjj,"axG",@progbits,_ZL17mul_mat_vec_q_moeIL9ggml_type29ELi2EEvPKvS2_PKiPfj15HIP_vector_typeIjLj3EEjjjjjjjjj,comdat
.Lfunc_end216:
	.size	_ZL17mul_mat_vec_q_moeIL9ggml_type29ELi2EEvPKvS2_PKiPfj15HIP_vector_typeIjLj3EEjjjjjjjjj, .Lfunc_end216-_ZL17mul_mat_vec_q_moeIL9ggml_type29ELi2EEvPKvS2_PKiPfj15HIP_vector_typeIjLj3EEjjjjjjjjj
                                        ; -- End function
	.set _ZL17mul_mat_vec_q_moeIL9ggml_type29ELi2EEvPKvS2_PKiPfj15HIP_vector_typeIjLj3EEjjjjjjjjj.num_vgpr, 51
	.set _ZL17mul_mat_vec_q_moeIL9ggml_type29ELi2EEvPKvS2_PKiPfj15HIP_vector_typeIjLj3EEjjjjjjjjj.num_agpr, 0
	.set _ZL17mul_mat_vec_q_moeIL9ggml_type29ELi2EEvPKvS2_PKiPfj15HIP_vector_typeIjLj3EEjjjjjjjjj.numbered_sgpr, 24
	.set _ZL17mul_mat_vec_q_moeIL9ggml_type29ELi2EEvPKvS2_PKiPfj15HIP_vector_typeIjLj3EEjjjjjjjjj.num_named_barrier, 0
	.set _ZL17mul_mat_vec_q_moeIL9ggml_type29ELi2EEvPKvS2_PKiPfj15HIP_vector_typeIjLj3EEjjjjjjjjj.private_seg_size, 0
	.set _ZL17mul_mat_vec_q_moeIL9ggml_type29ELi2EEvPKvS2_PKiPfj15HIP_vector_typeIjLj3EEjjjjjjjjj.uses_vcc, 1
	.set _ZL17mul_mat_vec_q_moeIL9ggml_type29ELi2EEvPKvS2_PKiPfj15HIP_vector_typeIjLj3EEjjjjjjjjj.uses_flat_scratch, 0
	.set _ZL17mul_mat_vec_q_moeIL9ggml_type29ELi2EEvPKvS2_PKiPfj15HIP_vector_typeIjLj3EEjjjjjjjjj.has_dyn_sized_stack, 0
	.set _ZL17mul_mat_vec_q_moeIL9ggml_type29ELi2EEvPKvS2_PKiPfj15HIP_vector_typeIjLj3EEjjjjjjjjj.has_recursion, 0
	.set _ZL17mul_mat_vec_q_moeIL9ggml_type29ELi2EEvPKvS2_PKiPfj15HIP_vector_typeIjLj3EEjjjjjjjjj.has_indirect_call, 0
	.section	.AMDGPU.csdata,"",@progbits
; Kernel info:
; codeLenInByte = 2580
; TotalNumSgprs: 26
; NumVgprs: 51
; ScratchSize: 0
; MemoryBound: 0
; FloatMode: 240
; IeeeMode: 1
; LDSByteSize: 0 bytes/workgroup (compile time only)
; SGPRBlocks: 0
; VGPRBlocks: 6
; NumSGPRsForWavesPerEU: 26
; NumVGPRsForWavesPerEU: 51
; Occupancy: 16
; WaveLimiterHint : 1
; COMPUTE_PGM_RSRC2:SCRATCH_EN: 0
; COMPUTE_PGM_RSRC2:USER_SGPR: 2
; COMPUTE_PGM_RSRC2:TRAP_HANDLER: 0
; COMPUTE_PGM_RSRC2:TGID_X_EN: 1
; COMPUTE_PGM_RSRC2:TGID_Y_EN: 1
; COMPUTE_PGM_RSRC2:TGID_Z_EN: 0
; COMPUTE_PGM_RSRC2:TIDIG_COMP_CNT: 1
	.section	.text._ZL13mul_mat_vec_qIL9ggml_type29ELi1ELb1ELb1EEvPKvS2_PKi31ggml_cuda_mm_fusion_args_devicePfj15HIP_vector_typeIjLj3EEjjjS8_jjjS8_jjjj,"axG",@progbits,_ZL13mul_mat_vec_qIL9ggml_type29ELi1ELb1ELb1EEvPKvS2_PKi31ggml_cuda_mm_fusion_args_devicePfj15HIP_vector_typeIjLj3EEjjjS8_jjjS8_jjjj,comdat
	.globl	_ZL13mul_mat_vec_qIL9ggml_type29ELi1ELb1ELb1EEvPKvS2_PKi31ggml_cuda_mm_fusion_args_devicePfj15HIP_vector_typeIjLj3EEjjjS8_jjjS8_jjjj ; -- Begin function _ZL13mul_mat_vec_qIL9ggml_type29ELi1ELb1ELb1EEvPKvS2_PKi31ggml_cuda_mm_fusion_args_devicePfj15HIP_vector_typeIjLj3EEjjjS8_jjjS8_jjjj
	.p2align	8
	.type	_ZL13mul_mat_vec_qIL9ggml_type29ELi1ELb1ELb1EEvPKvS2_PKi31ggml_cuda_mm_fusion_args_devicePfj15HIP_vector_typeIjLj3EEjjjS8_jjjS8_jjjj,@function
_ZL13mul_mat_vec_qIL9ggml_type29ELi1ELb1ELb1EEvPKvS2_PKi31ggml_cuda_mm_fusion_args_devicePfj15HIP_vector_typeIjLj3EEjjjS8_jjjS8_jjjj: ; @_ZL13mul_mat_vec_qIL9ggml_type29ELi1ELb1ELb1EEvPKvS2_PKi31ggml_cuda_mm_fusion_args_devicePfj15HIP_vector_typeIjLj3EEjjjS8_jjjS8_jjjj
; %bb.0:
	s_clause 0x3
	s_load_b256 s[8:15], s[0:1], 0x0
	s_load_b128 s[16:19], s[0:1], 0x20
	s_load_b128 s[20:23], s[0:1], 0x40
	;; [unrolled: 1-line block ×3, first 2 shown]
	s_and_b32 s27, ttmp7, 0xffff
	s_wait_kmcnt 0x0
	s_cmp_lg_u64 s[12:13], 0
	s_cselect_b32 s2, -1, 0
	s_cmp_eq_u64 s[12:13], 0
	s_cbranch_scc1 .LBB217_24
; %bb.1:
	s_lshl_b32 s3, s27, 2
	s_load_b32 s29, s[12:13], s3 offset:0x0
	s_clause 0x1
	s_load_b32 s30, s[0:1], 0x50
	s_load_b32 s28, s[0:1], 0x78
	s_cbranch_execnz .LBB217_3
.LBB217_2:
	s_load_b64 s[12:13], s[0:1], 0x5c
	s_wait_kmcnt 0x0
	s_mul_hi_u32 s3, s12, s27
	s_delay_alu instid0(SALU_CYCLE_1) | instskip(NEXT) | instid1(SALU_CYCLE_1)
	s_add_co_i32 s3, s27, s3
	s_lshr_b32 s29, s3, s13
.LBB217_3:
	s_and_not1_b32 vcc_lo, exec_lo, s2
	s_mov_b32 s3, s27
	s_mov_b32 s31, s27
	s_cbranch_vccnz .LBB217_5
; %bb.4:
	s_mul_hi_u32 s2, s21, s27
	s_wait_kmcnt 0x0
	s_mov_b32 s3, s29
	s_add_co_i32 s2, s27, s2
	s_delay_alu instid0(SALU_CYCLE_1) | instskip(NEXT) | instid1(SALU_CYCLE_1)
	s_lshr_b32 s2, s2, s22
	s_mul_i32 s2, s2, s23
	s_delay_alu instid0(SALU_CYCLE_1)
	s_sub_co_i32 s31, s27, s2
.LBB217_5:
	s_load_b96 s[24:26], s[0:1], 0x80
	v_bfe_u32 v15, v0, 10, 10
	v_dual_mov_b32 v13, 0 :: v_dual_and_b32 v12, 0x3ff, v0
	s_lshr_b32 s21, ttmp7, 16
	s_cmp_lg_u64 s[14:15], 0
	v_mov_b32_e32 v14, 0
	s_delay_alu instid0(VALU_DEP_2) | instskip(SKIP_3) | instid1(VALU_DEP_1)
	v_or_b32_e32 v0, v12, v15
	s_cselect_b32 s2, -1, 0
	s_mov_b32 s23, 0
	s_mul_i32 s12, s3, s6
	v_cmp_eq_u32_e32 vcc_lo, 0, v0
	s_and_b32 s13, s2, vcc_lo
	s_delay_alu instid0(SALU_CYCLE_1)
	s_and_saveexec_b32 s3, s13
	s_cbranch_execz .LBB217_7
; %bb.6:
	s_wait_kmcnt 0x0
	s_mul_i32 s22, s26, s21
	s_mov_b32 s13, s23
	s_lshl_b64 s[22:23], s[22:23], 2
	s_mov_b32 s34, ttmp9
	s_lshl_b64 s[36:37], s[12:13], 2
	s_add_nc_u64 s[14:15], s[14:15], s[22:23]
	s_ashr_i32 s35, ttmp9, 31
	v_lshlrev_b32_e32 v0, 2, v12
	s_add_nc_u64 s[14:15], s[14:15], s[36:37]
	s_lshl_b64 s[22:23], s[34:35], 2
	s_delay_alu instid0(SALU_CYCLE_1)
	s_add_nc_u64 s[14:15], s[14:15], s[22:23]
	global_load_b32 v14, v0, s[14:15]
.LBB217_7:
	s_or_b32 exec_lo, exec_lo, s3
	s_cmp_lg_u64 s[16:17], 0
	s_cselect_b32 s14, -1, 0
	s_cmp_lg_u64 s[18:19], 0
	s_cselect_b32 s3, -1, 0
	s_delay_alu instid0(SALU_CYCLE_1) | instskip(NEXT) | instid1(SALU_CYCLE_1)
	s_and_b32 s13, s3, s14
	s_and_b32 s13, s13, vcc_lo
	s_delay_alu instid0(SALU_CYCLE_1)
	s_and_saveexec_b32 s15, s13
	s_cbranch_execz .LBB217_9
; %bb.8:
	s_wait_kmcnt 0x0
	s_mul_i32 s34, s26, s21
	s_mov_b32 s35, 0
	s_mov_b32 s22, ttmp9
	s_lshl_b64 s[36:37], s[34:35], 2
	s_mov_b32 s13, s35
	s_add_nc_u64 s[18:19], s[18:19], s[36:37]
	s_lshl_b64 s[12:13], s[12:13], 2
	s_ashr_i32 s23, ttmp9, 31
	v_lshlrev_b32_e32 v0, 2, v12
	s_add_nc_u64 s[12:13], s[18:19], s[12:13]
	s_lshl_b64 s[18:19], s[22:23], 2
	s_delay_alu instid0(SALU_CYCLE_1)
	s_add_nc_u64 s[12:13], s[12:13], s[18:19]
	global_load_b32 v13, v0, s[12:13]
.LBB217_9:
	s_or_b32 exec_lo, exec_lo, s15
	v_lshl_add_u32 v0, v15, 5, v12
	v_dual_mov_b32 v18, 0 :: v_dual_mov_b32 v17, 0
	v_cndmask_b32_e64 v16, 0, 1, s14
	s_lshr_b32 s15, s20, 8
	s_delay_alu instid0(VALU_DEP_3) | instskip(SKIP_2) | instid1(VALU_DEP_1)
	v_lshrrev_b32_e32 v19, 3, v0
	s_mov_b32 s18, exec_lo
	s_wait_alu 0xfffe
	v_cmpx_gt_u32_e64 s15, v19
	s_cbranch_execz .LBB217_15
; %bb.10:
	v_lshrrev_b32_e32 v0, 3, v0
	s_mul_i32 s12, s31, s5
	s_mov_b32 s13, 0
	s_mul_hi_u32 s5, s7, s21
	s_mul_u64 s[22:23], s[12:13], 36
	s_wait_kmcnt 0x0
	s_mul_i32 s7, s29, s4
	v_mad_co_u64_u32 v[0:1], null, 0x120, v0, s[22:23]
	s_mul_i32 s4, s25, s21
	v_dual_mov_b32 v17, 0 :: v_dual_and_b32 v2, 7, v12
	v_and_b32_e32 v4, 1, v12
	v_bfe_u32 v3, v12, 1, 2
	s_mul_i32 s30, s30, ttmp9
	v_mad_co_u64_u32 v[0:1], null, s4, 36, v[0:1]
	s_delay_alu instid0(VALU_DEP_3)
	v_cmp_eq_u32_e32 vcc_lo, 1, v4
	s_add_co_i32 s4, s21, s5
	v_dual_mov_b32 v18, 0 :: v_dual_lshlrev_b32 v23, 1, v3
	s_wait_alu 0xfffe
	s_lshr_b32 s4, s4, s28
	v_cndmask_b32_e64 v21, 0, 6, vcc_lo
	s_delay_alu instid0(VALU_DEP_4)
	v_mad_co_u64_u32 v[0:1], null, v2, 36, v[0:1]
	s_wait_alu 0xfffe
	s_mul_i32 s4, s4, s24
	v_lshlrev_b32_e32 v20, 1, v2
	v_lshlrev_b32_e32 v22, 2, v2
	s_wait_alu 0xfffe
	s_add_co_i32 s4, s4, s30
	s_wait_alu 0xfffe
	s_add_co_i32 s7, s7, s4
	v_add_co_u32 v0, vcc_lo, s10, v0
	s_wait_alu 0xfffd
	v_add_co_ci_u32_e64 v1, null, s11, v1, vcc_lo
	s_mov_b32 s10, 0xbd000000
	v_add_co_u32 v8, vcc_lo, v0, 32
	s_wait_alu 0xfffd
	v_add_co_ci_u32_e64 v9, null, 0, v1, vcc_lo
	s_branch .LBB217_12
.LBB217_11:                             ;   in Loop: Header=BB217_12 Depth=1
	s_wait_loadcnt 0x3
	v_and_b32_e32 v38, 0xf0f0f0f, v35
	v_lshrrev_b32_e32 v35, 4, v35
	s_wait_loadcnt 0x2
	v_and_b32_e32 v40, 0xf0f0f0f, v34
	v_lshrrev_b32_e32 v34, 4, v34
	v_pk_lshrrev_b16 v10, 0x8000c, v10
	v_dot4_i32_iu8 v5, v38, v5, 0 neg_lo:[1,1,0]
	v_and_b32_e32 v35, 0xf0f0f0f, v35
	v_pk_lshrrev_b16 v11, 4, v11
	v_and_b32_e32 v34, 0xf0f0f0f, v34
	v_lshrrev_b32_e32 v39, 16, v10
	s_wait_loadcnt 0x1
	v_and_b32_e32 v41, 0xf0f0f0f, v33
	v_dot4_i32_iu8 v5, v35, v6, v5 neg_lo:[1,1,0]
	v_lshrrev_b32_e32 v33, 4, v33
	v_and_b32_e32 v11, 0xf0000f00, v11
	v_bfe_u32 v37, v25, 4, 4
	v_dot4_i32_iu8 v1, v41, v1, 0 neg_lo:[1,1,0]
	v_dot4_i32_iu8 v5, v40, v7, v5 neg_lo:[1,1,0]
	v_add_nc_u32_e32 v19, 4, v19
	v_lshrrev_b32_e32 v6, 16, v11
	v_add_co_u32 v8, s4, 0x480, v8
	s_delay_alu instid0(VALU_DEP_4) | instskip(NEXT) | instid1(VALU_DEP_4)
	v_dot4_i32_iu8 v0, v34, v0, v5 neg_lo:[1,1,0]
	v_cmp_le_u32_e32 vcc_lo, s15, v19
	s_wait_alu 0xf1ff
	v_add_co_ci_u32_e64 v9, null, 0, v9, s4
	s_delay_alu instid0(VALU_DEP_3) | instskip(SKIP_2) | instid1(VALU_DEP_1)
	v_cvt_f32_i32_e32 v0, v0
	v_and_b32_e32 v39, 0xf0, v39
	s_or_b32 s13, vcc_lo, s13
	v_or_b32_e32 v10, v39, v10
	s_delay_alu instid0(VALU_DEP_1) | instskip(SKIP_1) | instid1(VALU_DEP_2)
	v_or_b32_e32 v10, v10, v11
	v_and_b32_e32 v11, 0xf0f0f0f, v33
	v_or_b32_e32 v6, v10, v6
	s_delay_alu instid0(VALU_DEP_2) | instskip(SKIP_4) | instid1(VALU_DEP_2)
	v_dot4_i32_iu8 v1, v11, v2, v1 neg_lo:[1,1,0]
	v_and_b32_e32 v2, 8, v26
	s_wait_loadcnt 0x0
	v_and_b32_e32 v11, 0xf0f0f0f, v32
	v_and_b32_e32 v26, 8, v27
	v_dot4_i32_iu8 v1, v11, v3, v1 neg_lo:[1,1,0]
	s_delay_alu instid0(VALU_DEP_2) | instskip(NEXT) | instid1(VALU_DEP_1)
	v_cvt_f32_ubyte0_e32 v3, v26
	v_dual_fmaak_f32 v3, s10, v3, 0xbf600000 :: v_dual_and_b32 v10, 8, v25
	s_delay_alu instid0(VALU_DEP_1) | instskip(SKIP_1) | instid1(VALU_DEP_2)
	v_cvt_f32_ubyte0_e32 v5, v10
	v_lshrrev_b32_e32 v10, 4, v32
	v_fmaak_f32 v5, s10, v5, 0xbf600000
	v_cvt_f32_ubyte0_e32 v2, v2
	v_and_b32_e32 v27, 8, v37
	s_delay_alu instid0(VALU_DEP_4) | instskip(NEXT) | instid1(VALU_DEP_4)
	v_and_b32_e32 v10, 0xf0f0f0f, v10
	v_fma_f32 v5, v5, v29, 0
	s_delay_alu instid0(VALU_DEP_4) | instskip(NEXT) | instid1(VALU_DEP_4)
	v_fmaak_f32 v2, s10, v2, 0xbf600000
	v_cvt_f32_ubyte0_e32 v11, v27
	s_delay_alu instid0(VALU_DEP_4) | instskip(NEXT) | instid1(VALU_DEP_3)
	v_dot4_i32_iu8 v1, v10, v24, v1 neg_lo:[1,1,0]
	v_fma_f32 v2, v2, v31, 0
	s_delay_alu instid0(VALU_DEP_3) | instskip(NEXT) | instid1(VALU_DEP_3)
	v_fmaak_f32 v10, s10, v11, 0xbf600000
	v_cvt_f32_i32_e32 v1, v1
	s_delay_alu instid0(VALU_DEP_3) | instskip(SKIP_1) | instid1(VALU_DEP_4)
	v_fmac_f32_e32 v2, v3, v30
	v_and_b32_e32 v36, 0xffff, v36
	v_fmac_f32_e32 v5, v10, v28
	s_delay_alu instid0(VALU_DEP_3) | instskip(NEXT) | instid1(VALU_DEP_3)
	v_add_f32_e32 v1, v2, v1
	v_lshrrev_b32_e32 v36, v21, v36
	s_delay_alu instid0(VALU_DEP_3) | instskip(NEXT) | instid1(VALU_DEP_2)
	v_add_f32_e32 v0, v5, v0
	v_lshrrev_b32_e32 v25, 2, v36
	v_lshlrev_b32_e32 v7, 1, v36
	s_delay_alu instid0(VALU_DEP_2) | instskip(NEXT) | instid1(VALU_DEP_2)
	v_and_b32_e32 v11, 14, v25
	v_and_b32_e32 v7, 14, v7
	s_delay_alu instid0(VALU_DEP_2) | instskip(NEXT) | instid1(VALU_DEP_2)
	v_or_b32_e32 v3, 1, v11
	v_or_b32_e32 v7, 1, v7
	s_delay_alu instid0(VALU_DEP_2) | instskip(SKIP_1) | instid1(VALU_DEP_3)
	v_cvt_f32_ubyte0_e32 v2, v3
	v_cvt_f32_f16_e32 v3, v6
	v_cvt_f32_ubyte0_e32 v5, v7
	s_delay_alu instid0(VALU_DEP_2) | instskip(NEXT) | instid1(VALU_DEP_1)
	v_dual_mul_f32 v1, v1, v2 :: v_dual_mul_f32 v2, v4, v3
	v_fmac_f32_e32 v1, v0, v5
	s_delay_alu instid0(VALU_DEP_1)
	v_fmac_f32_e32 v18, v2, v1
	s_and_not1_b32 exec_lo, exec_lo, s13
	s_cbranch_execz .LBB217_14
.LBB217_12:                             ; =>This Inner Loop Header: Depth=1
	v_add_nc_u32_e32 v37, s7, v19
	s_getpc_b64 s[4:5]
	s_wait_alu 0xfffe
	s_sext_i32_i16 s5, s5
	s_add_co_u32 s4, s4, _ZL13iq1s_grid_gpu@rel32@lo+12
	s_wait_alu 0xfffe
	s_add_co_ci_u32 s5, s5, _ZL13iq1s_grid_gpu@rel32@hi+24
	v_mad_co_i64_i32 v[28:29], null, v37, 56, s[8:9]
	s_delay_alu instid0(VALU_DEP_1) | instskip(SKIP_1) | instid1(VALU_DEP_2)
	v_add_co_u32 v0, vcc_lo, v28, v20
	s_wait_alu 0xfffd
	v_add_co_ci_u32_e64 v1, null, 0, v29, vcc_lo
	global_load_u16 v25, v[0:1], off offset:32
	v_add_co_u32 v0, vcc_lo, v28, v22
	s_wait_alu 0xfffd
	v_add_co_ci_u32_e64 v1, null, 0, v29, vcc_lo
	global_load_b32 v30, v[0:1], off
	s_clause 0x2
	global_load_b32 v24, v[8:9], off
	global_load_b128 v[4:7], v[8:9], off offset:-32
	global_load_b128 v[0:3], v[8:9], off offset:-16
	global_load_b64 v[10:11], v[28:29], off offset:48
	v_add_co_u32 v28, vcc_lo, v28, v23
	s_wait_alu 0xfffd
	v_add_co_ci_u32_e64 v29, null, 0, v29, vcc_lo
	s_and_not1_b32 vcc_lo, exec_lo, s14
	s_wait_loadcnt 0x5
	v_lshrrev_b16 v26, 8, v25
	v_lshlrev_b32_e32 v33, 8, v25
	v_lshlrev_b32_e32 v36, 4, v25
	s_delay_alu instid0(VALU_DEP_3) | instskip(SKIP_3) | instid1(VALU_DEP_3)
	v_and_b32_e32 v31, 0xffff, v26
	s_wait_loadcnt 0x2
	v_cvt_f32_f16_e32 v4, v4
	v_and_b32_e32 v32, 0xff, v30
	v_lshrrev_b32_e32 v27, 4, v31
	v_bfe_u32 v34, v30, 8, 8
	v_bfe_u32 v35, v30, 16, 8
	v_lshlrev_b32_e32 v31, 8, v31
	v_and_or_b32 v32, 0x700, v33, v32
	v_alignbit_b32 v30, v27, v30, 24
	v_and_or_b32 v33, 0x700, v36, v34
	s_delay_alu instid0(VALU_DEP_4) | instskip(NEXT) | instid1(VALU_DEP_4)
	v_and_or_b32 v31, 0x700, v31, v35
	v_lshlrev_b32_e32 v32, 2, v32
	s_delay_alu instid0(VALU_DEP_4) | instskip(NEXT) | instid1(VALU_DEP_4)
	v_and_b32_e32 v30, 0x7ff, v30
	v_lshlrev_b32_e32 v33, 2, v33
	s_delay_alu instid0(VALU_DEP_4) | instskip(NEXT) | instid1(VALU_DEP_3)
	v_lshlrev_b32_e32 v31, 2, v31
	v_lshlrev_b32_e32 v30, 2, v30
	global_load_u16 v36, v[28:29], off offset:48
	s_clause 0x3
	global_load_b32 v35, v32, s[4:5]
	global_load_b32 v34, v33, s[4:5]
	;; [unrolled: 1-line block ×4, first 2 shown]
	s_wait_loadcnt 0x6
	v_dot4_i32_iu8 v28, v1, 0x1010101, 0 neg_lo:[1,1,0]
	v_dot4_i32_iu8 v29, v5, 0x1010101, 0 neg_lo:[1,1,0]
	;; [unrolled: 1-line block ×4, first 2 shown]
	s_delay_alu instid0(VALU_DEP_4) | instskip(NEXT) | instid1(VALU_DEP_4)
	v_dot4_i32_iu8 v28, v2, 0x1010101, v28 neg_lo:[1,1,0]
	v_dot4_i32_iu8 v29, v6, 0x1010101, v29 neg_lo:[1,1,0]
	s_delay_alu instid0(VALU_DEP_4) | instskip(NEXT) | instid1(VALU_DEP_4)
	v_dot4_i32_iu8 v30, v24, 0x1010101, v30 neg_lo:[1,1,0]
	v_dot4_i32_iu8 v38, v0, 0x1010101, v31 neg_lo:[1,1,0]
	s_delay_alu instid0(VALU_DEP_4) | instskip(NEXT) | instid1(VALU_DEP_4)
	v_cvt_f32_i32_e32 v31, v28
	v_cvt_f32_i32_e32 v29, v29
	s_delay_alu instid0(VALU_DEP_4) | instskip(NEXT) | instid1(VALU_DEP_4)
	v_cvt_f32_i32_e32 v30, v30
	v_cvt_f32_i32_e32 v28, v38
	s_wait_alu 0xfffe
	s_cbranch_vccnz .LBB217_11
; %bb.13:                               ;   in Loop: Header=BB217_12 Depth=1
	v_mad_co_i64_i32 v[37:38], null, v37, 56, s[16:17]
	s_delay_alu instid0(VALU_DEP_1) | instskip(SKIP_1) | instid1(VALU_DEP_2)
	v_add_co_u32 v39, vcc_lo, v37, v20
	s_wait_alu 0xfffd
	v_add_co_ci_u32_e64 v40, null, 0, v38, vcc_lo
	global_load_u16 v41, v[39:40], off offset:32
	v_add_co_u32 v39, vcc_lo, v37, v22
	s_wait_alu 0xfffd
	v_add_co_ci_u32_e64 v40, null, 0, v38, vcc_lo
	s_clause 0x1
	global_load_b32 v42, v[39:40], off
	global_load_b64 v[39:40], v[37:38], off offset:48
	v_add_co_u32 v37, vcc_lo, v37, v23
	s_wait_alu 0xfffd
	v_add_co_ci_u32_e64 v38, null, 0, v38, vcc_lo
	global_load_u16 v37, v[37:38], off offset:48
	s_wait_loadcnt 0x3
	v_lshrrev_b16 v43, 8, v41
	v_lshlrev_b32_e32 v47, 8, v41
	v_bfe_u32 v48, v41, 4, 4
	s_delay_alu instid0(VALU_DEP_3)
	v_and_b32_e32 v38, 0xffff, v43
	v_and_b32_e32 v43, 8, v43
	s_wait_loadcnt 0x2
	v_bfe_u32 v44, v42, 16, 8
	s_wait_loadcnt 0x1
	v_pk_lshrrev_b16 v39, 0x8000c, v39
	v_pk_lshrrev_b16 v40, 4, v40
	v_and_b32_e32 v48, 8, v48
	v_cvt_f32_ubyte0_e32 v43, v43
	v_lshlrev_b32_e32 v45, 8, v38
	v_lshrrev_b32_e32 v38, 4, v38
	v_and_b32_e32 v40, 0xf0000f00, v40
	s_wait_loadcnt 0x0
	v_lshrrev_b32_e32 v37, v21, v37
	v_and_or_b32 v44, 0x700, v45, v44
	s_delay_alu instid0(VALU_DEP_3) | instskip(NEXT) | instid1(VALU_DEP_3)
	v_lshrrev_b32_e32 v49, 16, v40
	v_lshlrev_b32_e32 v50, 1, v37
	v_lshrrev_b32_e32 v37, 2, v37
	s_delay_alu instid0(VALU_DEP_1) | instskip(NEXT) | instid1(VALU_DEP_1)
	v_and_b32_e32 v37, 14, v37
	v_or_b32_e32 v37, 1, v37
	s_delay_alu instid0(VALU_DEP_1) | instskip(SKIP_1) | instid1(VALU_DEP_1)
	v_cvt_f32_ubyte0_e32 v37, v37
	v_and_b32_e32 v46, 0xff, v42
	v_and_or_b32 v45, 0x700, v47, v46
	v_bfe_u32 v46, v42, 8, 8
	v_alignbit_b32 v42, v38, v42, 24
	v_and_b32_e32 v38, 8, v38
	s_delay_alu instid0(VALU_DEP_1) | instskip(NEXT) | instid1(VALU_DEP_1)
	v_cvt_f32_ubyte0_e32 v38, v38
	v_dual_fmaak_f32 v38, s10, v38, 0xbf600000 :: v_dual_lshlrev_b32 v47, 4, v41
	v_and_b32_e32 v41, 8, v41
	s_delay_alu instid0(VALU_DEP_2) | instskip(SKIP_1) | instid1(VALU_DEP_3)
	v_and_or_b32 v46, 0x700, v47, v46
	v_lshrrev_b32_e32 v47, 16, v39
	v_cvt_f32_ubyte0_e32 v41, v41
	v_lshlrev_b32_e32 v44, 2, v44
	s_delay_alu instid0(VALU_DEP_4) | instskip(NEXT) | instid1(VALU_DEP_4)
	v_lshlrev_b32_e32 v46, 2, v46
	v_and_b32_e32 v47, 0xf0, v47
	s_delay_alu instid0(VALU_DEP_4)
	v_fmaak_f32 v41, s10, v41, 0xbf600000
	global_load_b32 v44, v44, s[4:5]
	v_or_b32_e32 v39, v47, v39
	v_cvt_f32_ubyte0_e32 v47, v48
	v_and_b32_e32 v48, 14, v50
	v_fma_f32 v41, v41, v29, 0
	s_delay_alu instid0(VALU_DEP_4) | instskip(SKIP_1) | instid1(VALU_DEP_2)
	v_or_b32_e32 v39, v39, v40
	v_fmaak_f32 v40, s10, v43, 0xbf600000
	v_or_b32_e32 v39, v39, v49
	s_delay_alu instid0(VALU_DEP_2) | instskip(NEXT) | instid1(VALU_DEP_2)
	v_fma_f32 v40, v40, v31, 0
	v_cvt_f32_f16_e32 v39, v39
	s_delay_alu instid0(VALU_DEP_2) | instskip(NEXT) | instid1(VALU_DEP_2)
	v_dual_fmac_f32 v40, v38, v30 :: v_dual_lshlrev_b32 v45, 2, v45
	v_dual_mul_f32 v39, v4, v39 :: v_dual_and_b32 v42, 0x7ff, v42
	global_load_b32 v45, v45, s[4:5]
	v_lshlrev_b32_e32 v42, 2, v42
	s_clause 0x1
	global_load_b32 v42, v42, s[4:5]
	global_load_b32 v46, v46, s[4:5]
	s_wait_loadcnt 0x3
	v_lshrrev_b32_e32 v43, 4, v44
	v_and_b32_e32 v44, 0xf0f0f0f, v44
	s_delay_alu instid0(VALU_DEP_2) | instskip(NEXT) | instid1(VALU_DEP_2)
	v_and_b32_e32 v43, 0xf0f0f0f, v43
	v_dot4_i32_iu8 v44, v44, v1, 0 neg_lo:[1,1,0]
	s_delay_alu instid0(VALU_DEP_1) | instskip(SKIP_3) | instid1(VALU_DEP_2)
	v_dot4_i32_iu8 v43, v43, v2, v44 neg_lo:[1,1,0]
	s_wait_loadcnt 0x2
	v_lshrrev_b32_e32 v50, 4, v45
	v_and_b32_e32 v45, 0xf0f0f0f, v45
	v_and_b32_e32 v50, 0xf0f0f0f, v50
	s_delay_alu instid0(VALU_DEP_2)
	v_dot4_i32_iu8 v45, v45, v5, 0 neg_lo:[1,1,0]
	s_wait_loadcnt 0x1
	v_and_b32_e32 v51, 0xf0f0f0f, v42
	v_lshrrev_b32_e32 v42, 4, v42
	s_wait_loadcnt 0x0
	v_and_b32_e32 v44, 0xf0f0f0f, v46
	v_lshrrev_b32_e32 v46, 4, v46
	v_dot4_i32_iu8 v45, v50, v6, v45 neg_lo:[1,1,0]
	v_dot4_i32_iu8 v43, v51, v3, v43 neg_lo:[1,1,0]
	v_and_b32_e32 v42, 0xf0f0f0f, v42
	s_delay_alu instid0(VALU_DEP_4) | instskip(NEXT) | instid1(VALU_DEP_4)
	v_and_b32_e32 v46, 0xf0f0f0f, v46
	v_dot4_i32_iu8 v44, v44, v7, v45 neg_lo:[1,1,0]
	s_delay_alu instid0(VALU_DEP_3) | instskip(SKIP_1) | instid1(VALU_DEP_3)
	v_dot4_i32_iu8 v42, v42, v24, v43 neg_lo:[1,1,0]
	v_fmaak_f32 v43, s10, v47, 0xbf600000
	v_dot4_i32_iu8 v38, v46, v0, v44 neg_lo:[1,1,0]
	v_or_b32_e32 v44, 1, v48
	s_delay_alu instid0(VALU_DEP_4) | instskip(NEXT) | instid1(VALU_DEP_4)
	v_cvt_f32_i32_e32 v42, v42
	v_fmac_f32_e32 v41, v43, v28
	s_delay_alu instid0(VALU_DEP_4) | instskip(NEXT) | instid1(VALU_DEP_3)
	v_cvt_f32_i32_e32 v38, v38
	v_add_f32_e32 v40, v40, v42
	s_delay_alu instid0(VALU_DEP_2) | instskip(SKIP_1) | instid1(VALU_DEP_3)
	v_add_f32_e32 v38, v41, v38
	v_cvt_f32_ubyte0_e32 v41, v44
	v_mul_f32_e32 v37, v40, v37
	s_delay_alu instid0(VALU_DEP_1) | instskip(NEXT) | instid1(VALU_DEP_1)
	v_fmac_f32_e32 v37, v38, v41
	v_fmac_f32_e32 v17, v39, v37
	s_branch .LBB217_11
.LBB217_14:
	s_or_b32 exec_lo, exec_lo, s13
.LBB217_15:
	s_delay_alu instid0(SALU_CYCLE_1)
	s_or_b32 exec_lo, exec_lo, s18
	s_load_b32 s4, s[0:1], 0x30
	s_wait_loadcnt 0x0
	; wave barrier
	global_inv scope:SCOPE_SE
	s_mov_b32 s5, exec_lo
	v_cmpx_eq_u32_e32 0, v15
	s_cbranch_execz .LBB217_43
; %bb.16:
	v_mbcnt_lo_u32_b32 v1, -1, 0
	s_delay_alu instid0(VALU_DEP_1) | instskip(SKIP_2) | instid1(VALU_DEP_3)
	v_xor_b32_e32 v0, 16, v1
	v_xor_b32_e32 v3, 8, v1
	;; [unrolled: 1-line block ×3, first 2 shown]
	v_cmp_gt_i32_e32 vcc_lo, 32, v0
	s_wait_alu 0xfffd
	v_cndmask_b32_e32 v0, v1, v0, vcc_lo
	v_cmp_gt_i32_e32 vcc_lo, 32, v3
	s_wait_alu 0xfffd
	v_cndmask_b32_e32 v3, v1, v3, vcc_lo
	v_cmp_gt_i32_e32 vcc_lo, 32, v4
	s_delay_alu instid0(VALU_DEP_2)
	v_lshlrev_b32_e32 v3, 2, v3
	v_lshlrev_b32_e32 v0, 2, v0
	s_wait_alu 0xfffd
	v_cndmask_b32_e32 v4, v1, v4, vcc_lo
	ds_bpermute_b32 v2, v0, v18
	s_wait_dscnt 0x0
	v_add_f32_e32 v2, v18, v2
	ds_bpermute_b32 v5, v3, v2
	s_wait_dscnt 0x0
	v_add_f32_e32 v2, v2, v5
	v_xor_b32_e32 v5, 2, v1
	s_delay_alu instid0(VALU_DEP_1) | instskip(SKIP_2) | instid1(VALU_DEP_1)
	v_cmp_gt_i32_e32 vcc_lo, 32, v5
	s_wait_alu 0xfffd
	v_cndmask_b32_e32 v5, v1, v5, vcc_lo
	v_lshlrev_b32_e32 v5, 2, v5
	v_lshlrev_b32_e32 v4, 2, v4
	ds_bpermute_b32 v6, v4, v2
	s_wait_dscnt 0x0
	v_add_f32_e32 v2, v2, v6
	v_xor_b32_e32 v6, 1, v1
	ds_bpermute_b32 v7, v5, v2
	v_cmp_gt_i32_e32 vcc_lo, 32, v6
	s_wait_alu 0xfffd
	v_cndmask_b32_e32 v1, v1, v6, vcc_lo
	v_cmp_ne_u32_e32 vcc_lo, 1, v16
	s_delay_alu instid0(VALU_DEP_2)
	v_lshlrev_b32_e32 v6, 2, v1
	s_wait_dscnt 0x0
	v_add_f32_e32 v1, v2, v7
	ds_bpermute_b32 v2, v6, v1
	s_cbranch_vccnz .LBB217_18
; %bb.17:
	ds_bpermute_b32 v0, v0, v17
	s_wait_dscnt 0x0
	v_add_f32_e32 v0, v17, v0
	ds_bpermute_b32 v3, v3, v0
	s_wait_dscnt 0x0
	v_add_f32_e32 v0, v0, v3
	;; [unrolled: 3-line block ×5, first 2 shown]
.LBB217_18:
	v_cmp_eq_u32_e32 vcc_lo, 0, v12
	s_and_b32 exec_lo, exec_lo, vcc_lo
	s_cbranch_execz .LBB217_43
; %bb.19:
	s_wait_dscnt 0x0
	v_add_f32_e32 v0, v1, v2
	v_cmp_ne_u32_e32 vcc_lo, 1, v16
	s_delay_alu instid0(VALU_DEP_2) | instskip(NEXT) | instid1(VALU_DEP_1)
	v_add_f32_e32 v1, v14, v0
	v_cndmask_b32_e64 v0, v0, v1, s2
	s_cbranch_vccnz .LBB217_42
; %bb.20:
	v_add_f32_e32 v1, v13, v17
	s_wait_kmcnt 0x0
	s_cmp_lt_i32 s4, 2
	s_mov_b32 s2, 0
	s_delay_alu instid0(VALU_DEP_1)
	v_cndmask_b32_e64 v1, v17, v1, s3
	s_cbranch_scc1 .LBB217_25
; %bb.21:
	s_cmp_gt_i32 s4, 2
	s_cbranch_scc0 .LBB217_26
; %bb.22:
	s_cmp_eq_u32 s4, 3
	s_cbranch_scc0 .LBB217_27
; %bb.23:
	v_max_num_f32_e32 v2, v1, v1
	s_mov_b32 s3, 0xc0e00000
	s_delay_alu instid0(VALU_DEP_1) | instskip(NEXT) | instid1(VALU_DEP_1)
	v_min_num_f32_e32 v2, 0x40e00000, v2
	v_mul_f32_e32 v3, 0xbfd9db23, v2
	s_delay_alu instid0(VALU_DEP_1) | instskip(NEXT) | instid1(VALU_DEP_1)
	v_mul_f32_e32 v4, 0x3fb8aa3b, v3
	v_fma_f32 v5, 0x3fb8aa3b, v3, -v4
	v_rndne_f32_e32 v6, v4
	s_delay_alu instid0(VALU_DEP_1) | instskip(NEXT) | instid1(VALU_DEP_1)
	v_dual_fmamk_f32 v5, v3, 0x32a5705f, v5 :: v_dual_sub_f32 v4, v4, v6
	v_add_f32_e32 v4, v4, v5
	v_cvt_i32_f32_e32 v5, v6
	v_cmp_ngt_f32_e32 vcc_lo, 0xc2ce8ed0, v3
	s_delay_alu instid0(VALU_DEP_3) | instskip(NEXT) | instid1(TRANS32_DEP_1)
	v_exp_f32_e32 v4, v4
	v_ldexp_f32 v4, v4, v5
	s_wait_alu 0xfffd
	s_delay_alu instid0(VALU_DEP_1) | instskip(SKIP_2) | instid1(VALU_DEP_2)
	v_cndmask_b32_e32 v4, 0, v4, vcc_lo
	v_cmp_nlt_f32_e32 vcc_lo, 0x42b17218, v3
	s_wait_alu 0xfffd
	v_cndmask_b32_e32 v3, 0x7f800000, v4, vcc_lo
	s_delay_alu instid0(VALU_DEP_1) | instskip(NEXT) | instid1(VALU_DEP_1)
	v_add_f32_e32 v3, 1.0, v3
	v_div_scale_f32 v4, null, v3, v3, v2
	v_div_scale_f32 v7, vcc_lo, v2, v3, v2
	s_delay_alu instid0(VALU_DEP_2) | instskip(NEXT) | instid1(TRANS32_DEP_1)
	v_rcp_f32_e32 v5, v4
	v_fma_f32 v6, -v4, v5, 1.0
	s_delay_alu instid0(VALU_DEP_1) | instskip(NEXT) | instid1(VALU_DEP_1)
	v_fmac_f32_e32 v5, v6, v5
	v_mul_f32_e32 v6, v7, v5
	s_delay_alu instid0(VALU_DEP_1) | instskip(NEXT) | instid1(VALU_DEP_1)
	v_fma_f32 v8, -v4, v6, v7
	v_fmac_f32_e32 v6, v8, v5
	s_delay_alu instid0(VALU_DEP_1) | instskip(SKIP_1) | instid1(VALU_DEP_1)
	v_fma_f32 v4, -v4, v6, v7
	s_wait_alu 0xfffd
	v_div_fmas_f32 v4, v4, v5, v6
	s_delay_alu instid0(VALU_DEP_1) | instskip(SKIP_2) | instid1(VALU_DEP_1)
	v_div_fixup_f32 v2, v4, v3, v2
	v_max_num_f32_e32 v7, v0, v0
	s_wait_alu 0xfffe
	v_minmax_num_f32 v5, v7, 0x40e00000, s3
	s_mov_b32 s3, 0
	s_delay_alu instid0(VALU_DEP_1) | instskip(NEXT) | instid1(VALU_DEP_1)
	v_add_f32_e32 v3, 1.0, v5
	v_mul_f32_e32 v2, v3, v2
	s_branch .LBB217_28
.LBB217_24:
                                        ; implicit-def: $sgpr29
	s_clause 0x1
	s_load_b32 s30, s[0:1], 0x50
	s_load_b32 s28, s[0:1], 0x78
	s_branch .LBB217_2
.LBB217_25:
	s_mov_b32 s3, 0
                                        ; implicit-def: $vgpr2
	s_cbranch_execnz .LBB217_32
	s_branch .LBB217_33
.LBB217_26:
	s_mov_b32 s5, -1
	s_mov_b32 s3, 0
                                        ; implicit-def: $vgpr2
	s_branch .LBB217_29
.LBB217_27:
	s_mov_b32 s3, -1
                                        ; implicit-def: $vgpr2
.LBB217_28:
	s_mov_b32 s5, 0
.LBB217_29:
	s_wait_alu 0xfffe
	s_and_b32 vcc_lo, exec_lo, s5
	s_wait_alu 0xfffe
	s_cbranch_vccz .LBB217_31
; %bb.30:
	v_mul_f32_e32 v2, 0xbfb8aa3b, v1
	v_cmp_nlt_f32_e32 vcc_lo, 0x42ce8ed0, v1
	s_delay_alu instid0(VALU_DEP_2) | instskip(SKIP_1) | instid1(VALU_DEP_2)
	v_rndne_f32_e32 v3, v2
	v_fma_f32 v4, 0xbfb8aa3b, v1, -v2
	v_sub_f32_e32 v2, v2, v3
	s_delay_alu instid0(VALU_DEP_2) | instskip(SKIP_1) | instid1(VALU_DEP_2)
	v_fmamk_f32 v4, v1, 0xb2a5705f, v4
	v_cvt_i32_f32_e32 v3, v3
	v_add_f32_e32 v2, v2, v4
	s_delay_alu instid0(VALU_DEP_1) | instskip(NEXT) | instid1(TRANS32_DEP_1)
	v_exp_f32_e32 v2, v2
	v_ldexp_f32 v2, v2, v3
	s_wait_alu 0xfffd
	s_delay_alu instid0(VALU_DEP_1) | instskip(SKIP_2) | instid1(VALU_DEP_2)
	v_cndmask_b32_e32 v2, 0, v2, vcc_lo
	v_cmp_ngt_f32_e32 vcc_lo, 0xc2b17218, v1
	s_wait_alu 0xfffd
	v_cndmask_b32_e32 v2, 0x7f800000, v2, vcc_lo
	s_delay_alu instid0(VALU_DEP_1) | instskip(NEXT) | instid1(VALU_DEP_1)
	v_add_f32_e32 v2, 1.0, v2
	v_div_scale_f32 v3, null, v2, v2, v1
	s_delay_alu instid0(VALU_DEP_1) | instskip(NEXT) | instid1(TRANS32_DEP_1)
	v_rcp_f32_e32 v4, v3
	v_fma_f32 v5, -v3, v4, 1.0
	s_delay_alu instid0(VALU_DEP_1) | instskip(SKIP_1) | instid1(VALU_DEP_1)
	v_fmac_f32_e32 v4, v5, v4
	v_div_scale_f32 v5, vcc_lo, v1, v2, v1
	v_mul_f32_e32 v6, v5, v4
	s_delay_alu instid0(VALU_DEP_1) | instskip(NEXT) | instid1(VALU_DEP_1)
	v_fma_f32 v7, -v3, v6, v5
	v_fmac_f32_e32 v6, v7, v4
	s_delay_alu instid0(VALU_DEP_1) | instskip(SKIP_1) | instid1(VALU_DEP_1)
	v_fma_f32 v3, -v3, v6, v5
	s_wait_alu 0xfffd
	v_div_fmas_f32 v3, v3, v4, v6
	s_delay_alu instid0(VALU_DEP_1) | instskip(NEXT) | instid1(VALU_DEP_1)
	v_div_fixup_f32 v2, v3, v2, v1
	v_mul_f32_e32 v2, v0, v2
.LBB217_31:
	s_branch .LBB217_33
.LBB217_32:
	s_cmp_lg_u32 s4, 1
	s_mov_b32 s2, -1
	s_cselect_b32 s3, -1, 0
.LBB217_33:
	s_wait_alu 0xfffe
	s_and_not1_b32 vcc_lo, exec_lo, s3
	s_wait_alu 0xfffe
	s_cbranch_vccz .LBB217_35
; %bb.34:
	s_and_not1_b32 vcc_lo, exec_lo, s2
	s_wait_alu 0xfffe
	s_cbranch_vccz .LBB217_36
	s_branch .LBB217_41
.LBB217_35:
	v_mul_f32_e32 v2, v1, v0
	s_cbranch_execnz .LBB217_41
.LBB217_36:
	v_mul_f32_e32 v2, 0x3d372713, v1
	v_mul_f32_e32 v3, 0x3f4c422a, v1
	s_delay_alu instid0(VALU_DEP_2) | instskip(NEXT) | instid1(VALU_DEP_1)
	v_fma_f32 v2, v1, v2, 1.0
	v_mul_f32_e32 v2, v3, v2
                                        ; implicit-def: $vgpr3
	s_delay_alu instid0(VALU_DEP_1)
	v_cmp_ngt_f32_e64 s2, 0x3f200000, |v2|
	s_and_saveexec_b32 s3, s2
	s_wait_alu 0xfffe
	s_xor_b32 s2, exec_lo, s3
	s_cbranch_execz .LBB217_38
; %bb.37:
	v_add_f32_e64 v3, |v2|, |v2|
	s_delay_alu instid0(VALU_DEP_1) | instskip(SKIP_1) | instid1(VALU_DEP_2)
	v_mul_f32_e32 v4, 0x3fb8aa3b, v3
	v_cmp_ngt_f32_e32 vcc_lo, 0xc2ce8ed0, v3
	v_rndne_f32_e32 v5, v4
	v_fma_f32 v6, 0x3fb8aa3b, v3, -v4
	s_delay_alu instid0(VALU_DEP_2) | instskip(NEXT) | instid1(VALU_DEP_2)
	v_sub_f32_e32 v4, v4, v5
	v_fmamk_f32 v6, v3, 0x32a5705f, v6
	v_cvt_i32_f32_e32 v5, v5
	s_delay_alu instid0(VALU_DEP_2) | instskip(NEXT) | instid1(VALU_DEP_1)
	v_add_f32_e32 v4, v4, v6
	v_exp_f32_e32 v4, v4
	s_delay_alu instid0(TRANS32_DEP_1) | instskip(SKIP_1) | instid1(VALU_DEP_1)
	v_ldexp_f32 v4, v4, v5
	s_wait_alu 0xfffd
	v_cndmask_b32_e32 v4, 0, v4, vcc_lo
	v_cmp_nlt_f32_e32 vcc_lo, 0x42b17218, v3
	s_wait_alu 0xfffd
	s_delay_alu instid0(VALU_DEP_2) | instskip(NEXT) | instid1(VALU_DEP_1)
	v_cndmask_b32_e32 v3, 0x7f800000, v4, vcc_lo
	v_add_f32_e32 v3, 1.0, v3
	s_delay_alu instid0(VALU_DEP_1) | instskip(NEXT) | instid1(TRANS32_DEP_1)
	v_rcp_f32_e32 v3, v3
	v_fma_f32 v3, v3, -2.0, 1.0
.LBB217_38:
	s_wait_alu 0xfffe
	s_and_not1_saveexec_b32 s2, s2
	s_cbranch_execz .LBB217_40
; %bb.39:
	v_mul_f32_e32 v3, v2, v2
	s_mov_b32 s3, 0xbbbac73d
	s_wait_alu 0xfffe
	s_delay_alu instid0(VALU_DEP_1) | instskip(NEXT) | instid1(VALU_DEP_1)
	v_fmaak_f32 v4, s3, v3, 0x3ca908c9
	v_fmaak_f32 v4, v3, v4, 0xbd5c1c4e
	s_delay_alu instid0(VALU_DEP_1) | instskip(NEXT) | instid1(VALU_DEP_1)
	v_fmaak_f32 v4, v3, v4, 0x3e088382
	v_fmaak_f32 v4, v3, v4, 0xbeaaaa99
	s_delay_alu instid0(VALU_DEP_1) | instskip(NEXT) | instid1(VALU_DEP_1)
	v_mul_f32_e64 v4, |v2|, v4
	v_fma_f32 v3, v3, v4, |v2|
.LBB217_40:
	s_wait_alu 0xfffe
	s_or_b32 exec_lo, exec_lo, s2
	s_delay_alu instid0(VALU_DEP_1) | instskip(NEXT) | instid1(VALU_DEP_1)
	v_bfi_b32 v2, 0x7fffffff, v3, v2
	v_dual_mul_f32 v1, 0.5, v1 :: v_dual_add_f32 v2, 1.0, v2
	s_delay_alu instid0(VALU_DEP_1) | instskip(NEXT) | instid1(VALU_DEP_1)
	v_mul_f32_e32 v1, v1, v2
	v_mul_f32_e32 v2, v0, v1
.LBB217_41:
	s_delay_alu instid0(VALU_DEP_1)
	v_mov_b32_e32 v0, v2
.LBB217_42:
	s_load_b64 s[0:1], s[0:1], 0x38
	s_mul_i32 s2, s6, s27
	s_wait_kmcnt 0x0
	s_mul_i32 s3, s26, s21
	s_wait_alu 0xfffe
	s_add_co_i32 s2, s2, ttmp9
	v_lshlrev_b32_e32 v1, 2, v12
	s_wait_alu 0xfffe
	s_add_co_i32 s2, s2, s3
	s_mov_b32 s3, 0
	s_wait_alu 0xfffe
	s_lshl_b64 s[2:3], s[2:3], 2
	s_wait_alu 0xfffe
	s_add_nc_u64 s[0:1], s[0:1], s[2:3]
	global_store_b32 v1, v0, s[0:1]
.LBB217_43:
	s_endpgm
	.section	.rodata,"a",@progbits
	.p2align	6, 0x0
	.amdhsa_kernel _ZL13mul_mat_vec_qIL9ggml_type29ELi1ELb1ELb1EEvPKvS2_PKi31ggml_cuda_mm_fusion_args_devicePfj15HIP_vector_typeIjLj3EEjjjS8_jjjS8_jjjj
		.amdhsa_group_segment_fixed_size 0
		.amdhsa_private_segment_fixed_size 0
		.amdhsa_kernarg_size 144
		.amdhsa_user_sgpr_count 2
		.amdhsa_user_sgpr_dispatch_ptr 0
		.amdhsa_user_sgpr_queue_ptr 0
		.amdhsa_user_sgpr_kernarg_segment_ptr 1
		.amdhsa_user_sgpr_dispatch_id 0
		.amdhsa_user_sgpr_private_segment_size 0
		.amdhsa_wavefront_size32 1
		.amdhsa_uses_dynamic_stack 0
		.amdhsa_enable_private_segment 0
		.amdhsa_system_sgpr_workgroup_id_x 1
		.amdhsa_system_sgpr_workgroup_id_y 1
		.amdhsa_system_sgpr_workgroup_id_z 1
		.amdhsa_system_sgpr_workgroup_info 0
		.amdhsa_system_vgpr_workitem_id 1
		.amdhsa_next_free_vgpr 52
		.amdhsa_next_free_sgpr 38
		.amdhsa_reserve_vcc 1
		.amdhsa_float_round_mode_32 0
		.amdhsa_float_round_mode_16_64 0
		.amdhsa_float_denorm_mode_32 3
		.amdhsa_float_denorm_mode_16_64 3
		.amdhsa_fp16_overflow 0
		.amdhsa_workgroup_processor_mode 1
		.amdhsa_memory_ordered 1
		.amdhsa_forward_progress 1
		.amdhsa_inst_pref_size 32
		.amdhsa_round_robin_scheduling 0
		.amdhsa_exception_fp_ieee_invalid_op 0
		.amdhsa_exception_fp_denorm_src 0
		.amdhsa_exception_fp_ieee_div_zero 0
		.amdhsa_exception_fp_ieee_overflow 0
		.amdhsa_exception_fp_ieee_underflow 0
		.amdhsa_exception_fp_ieee_inexact 0
		.amdhsa_exception_int_div_zero 0
	.end_amdhsa_kernel
	.section	.text._ZL13mul_mat_vec_qIL9ggml_type29ELi1ELb1ELb1EEvPKvS2_PKi31ggml_cuda_mm_fusion_args_devicePfj15HIP_vector_typeIjLj3EEjjjS8_jjjS8_jjjj,"axG",@progbits,_ZL13mul_mat_vec_qIL9ggml_type29ELi1ELb1ELb1EEvPKvS2_PKi31ggml_cuda_mm_fusion_args_devicePfj15HIP_vector_typeIjLj3EEjjjS8_jjjS8_jjjj,comdat
.Lfunc_end217:
	.size	_ZL13mul_mat_vec_qIL9ggml_type29ELi1ELb1ELb1EEvPKvS2_PKi31ggml_cuda_mm_fusion_args_devicePfj15HIP_vector_typeIjLj3EEjjjS8_jjjS8_jjjj, .Lfunc_end217-_ZL13mul_mat_vec_qIL9ggml_type29ELi1ELb1ELb1EEvPKvS2_PKi31ggml_cuda_mm_fusion_args_devicePfj15HIP_vector_typeIjLj3EEjjjS8_jjjS8_jjjj
                                        ; -- End function
	.set _ZL13mul_mat_vec_qIL9ggml_type29ELi1ELb1ELb1EEvPKvS2_PKi31ggml_cuda_mm_fusion_args_devicePfj15HIP_vector_typeIjLj3EEjjjS8_jjjS8_jjjj.num_vgpr, 52
	.set _ZL13mul_mat_vec_qIL9ggml_type29ELi1ELb1ELb1EEvPKvS2_PKi31ggml_cuda_mm_fusion_args_devicePfj15HIP_vector_typeIjLj3EEjjjS8_jjjS8_jjjj.num_agpr, 0
	.set _ZL13mul_mat_vec_qIL9ggml_type29ELi1ELb1ELb1EEvPKvS2_PKi31ggml_cuda_mm_fusion_args_devicePfj15HIP_vector_typeIjLj3EEjjjS8_jjjS8_jjjj.numbered_sgpr, 38
	.set _ZL13mul_mat_vec_qIL9ggml_type29ELi1ELb1ELb1EEvPKvS2_PKi31ggml_cuda_mm_fusion_args_devicePfj15HIP_vector_typeIjLj3EEjjjS8_jjjS8_jjjj.num_named_barrier, 0
	.set _ZL13mul_mat_vec_qIL9ggml_type29ELi1ELb1ELb1EEvPKvS2_PKi31ggml_cuda_mm_fusion_args_devicePfj15HIP_vector_typeIjLj3EEjjjS8_jjjS8_jjjj.private_seg_size, 0
	.set _ZL13mul_mat_vec_qIL9ggml_type29ELi1ELb1ELb1EEvPKvS2_PKi31ggml_cuda_mm_fusion_args_devicePfj15HIP_vector_typeIjLj3EEjjjS8_jjjS8_jjjj.uses_vcc, 1
	.set _ZL13mul_mat_vec_qIL9ggml_type29ELi1ELb1ELb1EEvPKvS2_PKi31ggml_cuda_mm_fusion_args_devicePfj15HIP_vector_typeIjLj3EEjjjS8_jjjS8_jjjj.uses_flat_scratch, 0
	.set _ZL13mul_mat_vec_qIL9ggml_type29ELi1ELb1ELb1EEvPKvS2_PKi31ggml_cuda_mm_fusion_args_devicePfj15HIP_vector_typeIjLj3EEjjjS8_jjjS8_jjjj.has_dyn_sized_stack, 0
	.set _ZL13mul_mat_vec_qIL9ggml_type29ELi1ELb1ELb1EEvPKvS2_PKi31ggml_cuda_mm_fusion_args_devicePfj15HIP_vector_typeIjLj3EEjjjS8_jjjS8_jjjj.has_recursion, 0
	.set _ZL13mul_mat_vec_qIL9ggml_type29ELi1ELb1ELb1EEvPKvS2_PKi31ggml_cuda_mm_fusion_args_devicePfj15HIP_vector_typeIjLj3EEjjjS8_jjjS8_jjjj.has_indirect_call, 0
	.section	.AMDGPU.csdata,"",@progbits
; Kernel info:
; codeLenInByte = 4012
; TotalNumSgprs: 40
; NumVgprs: 52
; ScratchSize: 0
; MemoryBound: 0
; FloatMode: 240
; IeeeMode: 1
; LDSByteSize: 0 bytes/workgroup (compile time only)
; SGPRBlocks: 0
; VGPRBlocks: 6
; NumSGPRsForWavesPerEU: 40
; NumVGPRsForWavesPerEU: 52
; Occupancy: 16
; WaveLimiterHint : 0
; COMPUTE_PGM_RSRC2:SCRATCH_EN: 0
; COMPUTE_PGM_RSRC2:USER_SGPR: 2
; COMPUTE_PGM_RSRC2:TRAP_HANDLER: 0
; COMPUTE_PGM_RSRC2:TGID_X_EN: 1
; COMPUTE_PGM_RSRC2:TGID_Y_EN: 1
; COMPUTE_PGM_RSRC2:TGID_Z_EN: 1
; COMPUTE_PGM_RSRC2:TIDIG_COMP_CNT: 1
	.section	.text._ZL13mul_mat_vec_qIL9ggml_type29ELi1ELb0ELb1EEvPKvS2_PKi31ggml_cuda_mm_fusion_args_devicePfj15HIP_vector_typeIjLj3EEjjjS8_jjjS8_jjjj,"axG",@progbits,_ZL13mul_mat_vec_qIL9ggml_type29ELi1ELb0ELb1EEvPKvS2_PKi31ggml_cuda_mm_fusion_args_devicePfj15HIP_vector_typeIjLj3EEjjjS8_jjjS8_jjjj,comdat
	.globl	_ZL13mul_mat_vec_qIL9ggml_type29ELi1ELb0ELb1EEvPKvS2_PKi31ggml_cuda_mm_fusion_args_devicePfj15HIP_vector_typeIjLj3EEjjjS8_jjjS8_jjjj ; -- Begin function _ZL13mul_mat_vec_qIL9ggml_type29ELi1ELb0ELb1EEvPKvS2_PKi31ggml_cuda_mm_fusion_args_devicePfj15HIP_vector_typeIjLj3EEjjjS8_jjjS8_jjjj
	.p2align	8
	.type	_ZL13mul_mat_vec_qIL9ggml_type29ELi1ELb0ELb1EEvPKvS2_PKi31ggml_cuda_mm_fusion_args_devicePfj15HIP_vector_typeIjLj3EEjjjS8_jjjS8_jjjj,@function
_ZL13mul_mat_vec_qIL9ggml_type29ELi1ELb0ELb1EEvPKvS2_PKi31ggml_cuda_mm_fusion_args_devicePfj15HIP_vector_typeIjLj3EEjjjS8_jjjS8_jjjj: ; @_ZL13mul_mat_vec_qIL9ggml_type29ELi1ELb0ELb1EEvPKvS2_PKi31ggml_cuda_mm_fusion_args_devicePfj15HIP_vector_typeIjLj3EEjjjS8_jjjS8_jjjj
; %bb.0:
	s_clause 0x1
	s_load_b64 s[2:3], s[0:1], 0x10
	s_load_b128 s[8:11], s[0:1], 0x40
	s_and_b32 s15, ttmp7, 0xffff
	s_wait_kmcnt 0x0
	s_cmp_lg_u64 s[2:3], 0
	s_cselect_b32 s12, -1, 0
	s_cmp_eq_u64 s[2:3], 0
	s_cbranch_scc1 .LBB218_13
; %bb.1:
	s_lshl_b32 s4, s15, 2
	s_load_b32 s19, s[2:3], s4 offset:0x0
	s_clause 0x1
	s_load_b128 s[4:7], s[0:1], 0x68
	s_load_b32 s20, s[0:1], 0x50
	s_cbranch_execnz .LBB218_3
.LBB218_2:
	s_load_b64 s[2:3], s[0:1], 0x5c
	s_wait_kmcnt 0x0
	s_mul_hi_u32 s2, s2, s15
	s_delay_alu instid0(SALU_CYCLE_1) | instskip(NEXT) | instid1(SALU_CYCLE_1)
	s_add_co_i32 s2, s15, s2
	s_lshr_b32 s19, s2, s3
.LBB218_3:
	s_load_b32 s21, s[0:1], 0x78
	s_and_not1_b32 vcc_lo, exec_lo, s12
	s_mov_b32 s2, s15
	s_cbranch_vccnz .LBB218_5
; %bb.4:
	s_mul_hi_u32 s2, s9, s15
	s_delay_alu instid0(SALU_CYCLE_1) | instskip(NEXT) | instid1(SALU_CYCLE_1)
	s_add_co_i32 s2, s15, s2
	s_lshr_b32 s2, s2, s10
	s_delay_alu instid0(SALU_CYCLE_1) | instskip(NEXT) | instid1(SALU_CYCLE_1)
	s_mul_i32 s2, s2, s11
	s_sub_co_i32 s2, s15, s2
.LBB218_5:
	s_load_b96 s[12:14], s[0:1], 0x80
	v_bfe_u32 v3, v0, 10, 10
	v_and_b32_e32 v2, 0x3ff, v0
	v_mov_b32_e32 v4, 0
	s_lshr_b32 s18, s8, 8
	s_lshr_b32 s16, ttmp7, 16
	s_mov_b32 s17, exec_lo
	v_lshl_or_b32 v0, v3, 5, v2
	s_delay_alu instid0(VALU_DEP_1) | instskip(NEXT) | instid1(VALU_DEP_1)
	v_lshrrev_b32_e32 v5, 3, v0
	v_cmpx_gt_u32_e64 s18, v5
	s_cbranch_execz .LBB218_9
; %bb.6:
	v_lshrrev_b32_e32 v0, 3, v0
	s_wait_kmcnt 0x0
	s_mul_i32 s2, s2, s5
	s_mov_b32 s3, 0
	v_and_b32_e32 v8, 7, v2
	s_mul_u64 s[8:9], s[2:3], 36
	s_mul_i32 s2, s13, s16
	v_mad_co_u64_u32 v[0:1], null, 0x120, v0, s[8:9]
	s_load_b128 s[8:11], s[0:1], 0x0
	v_dual_mov_b32 v4, 0 :: v_dual_and_b32 v7, 1, v2
	v_bfe_u32 v9, v2, 1, 2
	s_mul_i32 s20, s20, ttmp9
	v_lshlrev_b32_e32 v6, 1, v8
	v_mad_co_u64_u32 v[0:1], null, s2, 36, v[0:1]
	v_cmp_eq_u32_e32 vcc_lo, 1, v7
	s_mul_hi_u32 s2, s7, s16
	v_lshlrev_b32_e32 v9, 1, v9
	s_wait_alu 0xfffe
	s_add_co_i32 s2, s16, s2
	s_mul_i32 s4, s19, s4
	v_cndmask_b32_e64 v7, 0, 6, vcc_lo
	v_mad_co_u64_u32 v[0:1], null, v8, 36, v[0:1]
	s_wait_alu 0xfffe
	s_lshr_b32 s2, s2, s21
	v_lshlrev_b32_e32 v8, 2, v8
	s_wait_alu 0xfffe
	s_mul_i32 s2, s2, s12
	s_mov_b32 s5, 0xbd000000
	s_wait_alu 0xfffe
	s_add_co_i32 s2, s2, s20
	s_wait_kmcnt 0x0
	v_add_co_u32 v0, vcc_lo, s10, v0
	s_wait_alu 0xfffd
	v_add_co_ci_u32_e64 v1, null, s11, v1, vcc_lo
	s_wait_alu 0xfffe
	s_add_co_i32 s4, s4, s2
	v_add_co_u32 v0, vcc_lo, v0, 32
	s_wait_alu 0xfffd
	v_add_co_ci_u32_e64 v1, null, 0, v1, vcc_lo
.LBB218_7:                              ; =>This Inner Loop Header: Depth=1
	v_add_nc_u32_e32 v10, s4, v5
	s_getpc_b64 s[10:11]
	s_wait_alu 0xfffe
	s_sext_i32_i16 s11, s11
	s_add_co_u32 s10, s10, _ZL13iq1s_grid_gpu@rel32@lo+12
	s_wait_alu 0xfffe
	s_add_co_ci_u32 s11, s11, _ZL13iq1s_grid_gpu@rel32@hi+24
	v_add_nc_u32_e32 v5, 4, v5
	v_mad_co_i64_i32 v[18:19], null, v10, 56, s[8:9]
	s_delay_alu instid0(VALU_DEP_2)
	v_cmp_le_u32_e64 s2, s18, v5
	s_or_b32 s3, s2, s3
	v_add_co_u32 v10, vcc_lo, v18, v8
	s_wait_alu 0xfffd
	v_add_co_ci_u32_e64 v11, null, 0, v19, vcc_lo
	v_add_co_u32 v12, vcc_lo, v18, v6
	s_wait_alu 0xfffd
	v_add_co_ci_u32_e64 v13, null, 0, v19, vcc_lo
	v_add_co_u32 v14, vcc_lo, v18, v9
	s_wait_alu 0xfffd
	v_add_co_ci_u32_e64 v15, null, 0, v19, vcc_lo
	s_clause 0x2
	global_load_b32 v20, v[10:11], off
	global_load_u16 v21, v[12:13], off offset:32
	global_load_u16 v22, v[14:15], off offset:48
	s_clause 0x1
	global_load_b128 v[10:13], v[0:1], off offset:-32
	global_load_b128 v[14:17], v[0:1], off offset:-16
	global_load_b64 v[18:19], v[18:19], off offset:48
	s_wait_loadcnt 0x5
	v_and_b32_e32 v23, 0xff, v20
	s_wait_loadcnt 0x4
	v_lshrrev_b16 v24, 8, v21
	v_lshlrev_b32_e32 v26, 8, v21
	s_wait_loadcnt 0x2
	v_cvt_f32_f16_e32 v10, v10
	v_dot4_i32_iu8 v30, v11, 0x1010101, 0 neg_lo:[1,1,0]
	v_bfe_u32 v33, v21, 4, 4
	v_and_b32_e32 v29, 0xffff, v24
	v_and_b32_e32 v24, 8, v24
	v_dot4_i32_iu8 v31, v13, 0x1010101, 0 neg_lo:[1,1,0]
	v_dot4_i32_iu8 v30, v12, 0x1010101, v30 neg_lo:[1,1,0]
	v_and_b32_e32 v33, 8, v33
	v_bfe_u32 v25, v20, 8, 8
	v_cvt_f32_ubyte0_e32 v24, v24
	v_lshlrev_b32_e32 v27, 4, v21
	v_and_b32_e32 v21, 8, v21
	v_and_or_b32 v23, 0x700, v26, v23
	v_lshrrev_b32_e32 v26, 4, v29
	s_wait_loadcnt 0x1
	v_dot4_i32_iu8 v31, v14, 0x1010101, v31 neg_lo:[1,1,0]
	v_cvt_f32_i32_e32 v30, v30
	v_cvt_f32_ubyte0_e32 v21, v21
	v_cvt_f32_ubyte0_e32 v33, v33
	v_bfe_u32 v28, v20, 16, 8
	v_fmaak_f32 v24, s5, v24, 0xbf600000
	v_and_or_b32 v25, 0x700, v27, v25
	v_fmaak_f32 v21, s5, v21, 0xbf600000
	v_lshlrev_b32_e32 v27, 8, v29
	v_lshlrev_b32_e32 v23, 2, v23
	v_alignbit_b32 v20, v26, v20, 24
	v_cvt_f32_i32_e32 v31, v31
	v_fma_f32 v21, v21, v30, 0
	v_fmaak_f32 v30, s5, v33, 0xbf600000
	v_and_or_b32 v27, 0x700, v27, v28
	v_lshlrev_b32_e32 v25, 2, v25
	s_clause 0x1
	global_load_b32 v23, v23, s[10:11]
	global_load_b32 v25, v25, s[10:11]
	v_dual_fmac_f32 v21, v30, v31 :: v_dual_and_b32 v20, 0x7ff, v20
	v_lshlrev_b32_e32 v27, 2, v27
	v_dot4_i32_iu8 v32, v17, 0x1010101, 0 neg_lo:[1,1,0]
	s_wait_loadcnt 0x2
	v_pk_lshrrev_b16 v18, 0x8000c, v18
	v_dot4_i32_iu8 v29, v15, 0x1010101, 0 neg_lo:[1,1,0]
	v_lshlrev_b32_e32 v20, 2, v20
	s_clause 0x1
	global_load_b32 v27, v27, s[10:11]
	global_load_b32 v20, v20, s[10:11]
	global_load_b32 v28, v[0:1], off
	v_lshrrev_b32_e32 v34, 16, v18
	v_dot4_i32_iu8 v29, v16, 0x1010101, v29 neg_lo:[1,1,0]
	v_pk_lshrrev_b16 v19, 4, v19
	v_and_b32_e32 v26, 8, v26
	v_lshrrev_b32_e32 v22, v7, v22
	v_add_co_u32 v0, vcc_lo, 0x480, v0
	v_cvt_f32_i32_e32 v29, v29
	v_and_b32_e32 v19, 0xf0000f00, v19
	s_delay_alu instid0(VALU_DEP_4)
	v_lshlrev_b32_e32 v35, 1, v22
	v_lshrrev_b32_e32 v22, 2, v22
	s_wait_alu 0xfffd
	v_add_co_ci_u32_e64 v1, null, 0, v1, vcc_lo
	v_lshrrev_b32_e32 v36, 16, v19
	v_and_b32_e32 v35, 14, v35
	v_and_b32_e32 v22, 14, v22
	s_delay_alu instid0(VALU_DEP_2) | instskip(NEXT) | instid1(VALU_DEP_2)
	v_or_b32_e32 v33, 1, v35
	v_or_b32_e32 v22, 1, v22
	s_wait_loadcnt 0x0
	v_dot4_i32_iu8 v32, v28, 0x1010101, v32 neg_lo:[1,1,0]
	s_delay_alu instid0(VALU_DEP_1) | instskip(SKIP_1) | instid1(VALU_DEP_1)
	v_cvt_f32_i32_e32 v32, v32
	v_and_b32_e32 v34, 0xf0, v34
	v_or_b32_e32 v18, v34, v18
	v_and_b32_e32 v34, 0xf0f0f0f, v25
	s_delay_alu instid0(VALU_DEP_2)
	v_or_b32_e32 v18, v18, v19
	v_fma_f32 v19, v24, v29, 0
	v_lshrrev_b32_e32 v29, 4, v27
	v_and_b32_e32 v27, 0xf0f0f0f, v27
	v_cvt_f32_ubyte0_e32 v24, v26
	v_and_b32_e32 v26, 0xf0f0f0f, v23
	v_lshrrev_b32_e32 v23, 4, v23
	v_and_b32_e32 v29, 0xf0f0f0f, v29
	v_dot4_i32_iu8 v15, v27, v15, 0 neg_lo:[1,1,0]
	s_delay_alu instid0(VALU_DEP_4) | instskip(NEXT) | instid1(VALU_DEP_4)
	v_dot4_i32_iu8 v11, v26, v11, 0 neg_lo:[1,1,0]
	v_and_b32_e32 v23, 0xf0f0f0f, v23
	v_and_b32_e32 v26, 0xf0f0f0f, v20
	v_lshrrev_b32_e32 v20, 4, v20
	v_dot4_i32_iu8 v15, v29, v16, v15 neg_lo:[1,1,0]
	v_lshrrev_b32_e32 v16, 4, v25
	v_dot4_i32_iu8 v11, v23, v12, v11 neg_lo:[1,1,0]
	s_delay_alu instid0(VALU_DEP_4) | instskip(NEXT) | instid1(VALU_DEP_4)
	v_and_b32_e32 v12, 0xf0f0f0f, v20
	v_dot4_i32_iu8 v15, v26, v17, v15 neg_lo:[1,1,0]
	v_fmaak_f32 v17, s5, v24, 0xbf600000
	v_and_b32_e32 v16, 0xf0f0f0f, v16
	v_dot4_i32_iu8 v11, v34, v13, v11 neg_lo:[1,1,0]
	v_cvt_f32_ubyte0_e32 v13, v22
	v_dot4_i32_iu8 v12, v12, v28, v15 neg_lo:[1,1,0]
	v_fmac_f32_e32 v19, v17, v32
	v_cvt_f32_ubyte0_e32 v15, v33
	v_dot4_i32_iu8 v11, v16, v14, v11 neg_lo:[1,1,0]
	v_or_b32_e32 v14, v18, v36
	v_cvt_f32_i32_e32 v12, v12
	s_delay_alu instid0(VALU_DEP_3) | instskip(NEXT) | instid1(VALU_DEP_3)
	v_cvt_f32_i32_e32 v11, v11
	v_cvt_f32_f16_e32 v14, v14
	s_delay_alu instid0(VALU_DEP_2) | instskip(NEXT) | instid1(VALU_DEP_2)
	v_dual_add_f32 v12, v19, v12 :: v_dual_add_f32 v11, v21, v11
	v_mul_f32_e32 v10, v10, v14
	s_delay_alu instid0(VALU_DEP_2) | instskip(NEXT) | instid1(VALU_DEP_1)
	v_mul_f32_e32 v12, v12, v13
	v_fmac_f32_e32 v12, v11, v15
	s_delay_alu instid0(VALU_DEP_1)
	v_fmac_f32_e32 v4, v10, v12
	s_wait_alu 0xfffe
	s_and_not1_b32 exec_lo, exec_lo, s3
	s_cbranch_execnz .LBB218_7
; %bb.8:
	s_or_b32 exec_lo, exec_lo, s3
.LBB218_9:
	s_delay_alu instid0(SALU_CYCLE_1)
	s_or_b32 exec_lo, exec_lo, s17
	; wave barrier
	global_inv scope:SCOPE_SE
	s_mov_b32 s2, exec_lo
	v_cmpx_eq_u32_e32 0, v3
	s_cbranch_execz .LBB218_12
; %bb.10:
	v_mbcnt_lo_u32_b32 v0, -1, 0
	s_delay_alu instid0(VALU_DEP_1) | instskip(SKIP_1) | instid1(VALU_DEP_2)
	v_xor_b32_e32 v1, 16, v0
	v_xor_b32_e32 v3, 8, v0
	v_cmp_gt_i32_e32 vcc_lo, 32, v1
	s_wait_alu 0xfffd
	v_cndmask_b32_e32 v1, v0, v1, vcc_lo
	s_delay_alu instid0(VALU_DEP_3) | instskip(NEXT) | instid1(VALU_DEP_2)
	v_cmp_gt_i32_e32 vcc_lo, 32, v3
	v_lshlrev_b32_e32 v1, 2, v1
	s_wait_alu 0xfffd
	v_cndmask_b32_e32 v3, v0, v3, vcc_lo
	ds_bpermute_b32 v1, v1, v4
	v_lshlrev_b32_e32 v3, 2, v3
	s_wait_dscnt 0x0
	v_add_f32_e32 v1, v4, v1
	v_xor_b32_e32 v4, 4, v0
	ds_bpermute_b32 v3, v3, v1
	v_cmp_gt_i32_e32 vcc_lo, 32, v4
	s_wait_alu 0xfffd
	v_cndmask_b32_e32 v4, v0, v4, vcc_lo
	s_wait_dscnt 0x0
	s_delay_alu instid0(VALU_DEP_1) | instskip(SKIP_2) | instid1(VALU_DEP_1)
	v_dual_add_f32 v1, v1, v3 :: v_dual_lshlrev_b32 v4, 2, v4
	ds_bpermute_b32 v3, v4, v1
	v_xor_b32_e32 v4, 2, v0
	v_cmp_gt_i32_e32 vcc_lo, 32, v4
	s_wait_alu 0xfffd
	v_cndmask_b32_e32 v4, v0, v4, vcc_lo
	s_wait_dscnt 0x0
	s_delay_alu instid0(VALU_DEP_1) | instskip(SKIP_2) | instid1(VALU_DEP_1)
	v_dual_add_f32 v1, v1, v3 :: v_dual_lshlrev_b32 v4, 2, v4
	ds_bpermute_b32 v3, v4, v1
	v_xor_b32_e32 v4, 1, v0
	v_cmp_gt_i32_e32 vcc_lo, 32, v4
	s_wait_alu 0xfffd
	v_cndmask_b32_e32 v0, v0, v4, vcc_lo
	v_cmp_eq_u32_e32 vcc_lo, 0, v2
	s_delay_alu instid0(VALU_DEP_2)
	v_lshlrev_b32_e32 v4, 2, v0
	s_wait_dscnt 0x0
	v_add_f32_e32 v0, v1, v3
	ds_bpermute_b32 v1, v4, v0
	s_and_b32 exec_lo, exec_lo, vcc_lo
	s_cbranch_execz .LBB218_12
; %bb.11:
	s_load_b64 s[0:1], s[0:1], 0x38
	s_wait_kmcnt 0x0
	s_mul_i32 s2, s6, s15
	s_mul_i32 s3, s14, s16
	s_wait_alu 0xfffe
	s_add_co_i32 s2, s2, ttmp9
	s_wait_dscnt 0x0
	v_dual_add_f32 v0, v0, v1 :: v_dual_mov_b32 v1, 0
	s_wait_alu 0xfffe
	s_add_co_i32 s2, s2, s3
	s_mov_b32 s3, 0
	s_wait_alu 0xfffe
	s_lshl_b64 s[2:3], s[2:3], 2
	s_wait_alu 0xfffe
	s_add_nc_u64 s[0:1], s[0:1], s[2:3]
	global_store_b32 v1, v0, s[0:1]
.LBB218_12:
	s_endpgm
.LBB218_13:
                                        ; implicit-def: $sgpr19
	s_clause 0x1
	s_load_b128 s[4:7], s[0:1], 0x68
	s_load_b32 s20, s[0:1], 0x50
	s_branch .LBB218_2
	.section	.rodata,"a",@progbits
	.p2align	6, 0x0
	.amdhsa_kernel _ZL13mul_mat_vec_qIL9ggml_type29ELi1ELb0ELb1EEvPKvS2_PKi31ggml_cuda_mm_fusion_args_devicePfj15HIP_vector_typeIjLj3EEjjjS8_jjjS8_jjjj
		.amdhsa_group_segment_fixed_size 0
		.amdhsa_private_segment_fixed_size 0
		.amdhsa_kernarg_size 144
		.amdhsa_user_sgpr_count 2
		.amdhsa_user_sgpr_dispatch_ptr 0
		.amdhsa_user_sgpr_queue_ptr 0
		.amdhsa_user_sgpr_kernarg_segment_ptr 1
		.amdhsa_user_sgpr_dispatch_id 0
		.amdhsa_user_sgpr_private_segment_size 0
		.amdhsa_wavefront_size32 1
		.amdhsa_uses_dynamic_stack 0
		.amdhsa_enable_private_segment 0
		.amdhsa_system_sgpr_workgroup_id_x 1
		.amdhsa_system_sgpr_workgroup_id_y 1
		.amdhsa_system_sgpr_workgroup_id_z 1
		.amdhsa_system_sgpr_workgroup_info 0
		.amdhsa_system_vgpr_workitem_id 1
		.amdhsa_next_free_vgpr 37
		.amdhsa_next_free_sgpr 22
		.amdhsa_reserve_vcc 1
		.amdhsa_float_round_mode_32 0
		.amdhsa_float_round_mode_16_64 0
		.amdhsa_float_denorm_mode_32 3
		.amdhsa_float_denorm_mode_16_64 3
		.amdhsa_fp16_overflow 0
		.amdhsa_workgroup_processor_mode 1
		.amdhsa_memory_ordered 1
		.amdhsa_forward_progress 1
		.amdhsa_inst_pref_size 14
		.amdhsa_round_robin_scheduling 0
		.amdhsa_exception_fp_ieee_invalid_op 0
		.amdhsa_exception_fp_denorm_src 0
		.amdhsa_exception_fp_ieee_div_zero 0
		.amdhsa_exception_fp_ieee_overflow 0
		.amdhsa_exception_fp_ieee_underflow 0
		.amdhsa_exception_fp_ieee_inexact 0
		.amdhsa_exception_int_div_zero 0
	.end_amdhsa_kernel
	.section	.text._ZL13mul_mat_vec_qIL9ggml_type29ELi1ELb0ELb1EEvPKvS2_PKi31ggml_cuda_mm_fusion_args_devicePfj15HIP_vector_typeIjLj3EEjjjS8_jjjS8_jjjj,"axG",@progbits,_ZL13mul_mat_vec_qIL9ggml_type29ELi1ELb0ELb1EEvPKvS2_PKi31ggml_cuda_mm_fusion_args_devicePfj15HIP_vector_typeIjLj3EEjjjS8_jjjS8_jjjj,comdat
.Lfunc_end218:
	.size	_ZL13mul_mat_vec_qIL9ggml_type29ELi1ELb0ELb1EEvPKvS2_PKi31ggml_cuda_mm_fusion_args_devicePfj15HIP_vector_typeIjLj3EEjjjS8_jjjS8_jjjj, .Lfunc_end218-_ZL13mul_mat_vec_qIL9ggml_type29ELi1ELb0ELb1EEvPKvS2_PKi31ggml_cuda_mm_fusion_args_devicePfj15HIP_vector_typeIjLj3EEjjjS8_jjjS8_jjjj
                                        ; -- End function
	.set _ZL13mul_mat_vec_qIL9ggml_type29ELi1ELb0ELb1EEvPKvS2_PKi31ggml_cuda_mm_fusion_args_devicePfj15HIP_vector_typeIjLj3EEjjjS8_jjjS8_jjjj.num_vgpr, 37
	.set _ZL13mul_mat_vec_qIL9ggml_type29ELi1ELb0ELb1EEvPKvS2_PKi31ggml_cuda_mm_fusion_args_devicePfj15HIP_vector_typeIjLj3EEjjjS8_jjjS8_jjjj.num_agpr, 0
	.set _ZL13mul_mat_vec_qIL9ggml_type29ELi1ELb0ELb1EEvPKvS2_PKi31ggml_cuda_mm_fusion_args_devicePfj15HIP_vector_typeIjLj3EEjjjS8_jjjS8_jjjj.numbered_sgpr, 22
	.set _ZL13mul_mat_vec_qIL9ggml_type29ELi1ELb0ELb1EEvPKvS2_PKi31ggml_cuda_mm_fusion_args_devicePfj15HIP_vector_typeIjLj3EEjjjS8_jjjS8_jjjj.num_named_barrier, 0
	.set _ZL13mul_mat_vec_qIL9ggml_type29ELi1ELb0ELb1EEvPKvS2_PKi31ggml_cuda_mm_fusion_args_devicePfj15HIP_vector_typeIjLj3EEjjjS8_jjjS8_jjjj.private_seg_size, 0
	.set _ZL13mul_mat_vec_qIL9ggml_type29ELi1ELb0ELb1EEvPKvS2_PKi31ggml_cuda_mm_fusion_args_devicePfj15HIP_vector_typeIjLj3EEjjjS8_jjjS8_jjjj.uses_vcc, 1
	.set _ZL13mul_mat_vec_qIL9ggml_type29ELi1ELb0ELb1EEvPKvS2_PKi31ggml_cuda_mm_fusion_args_devicePfj15HIP_vector_typeIjLj3EEjjjS8_jjjS8_jjjj.uses_flat_scratch, 0
	.set _ZL13mul_mat_vec_qIL9ggml_type29ELi1ELb0ELb1EEvPKvS2_PKi31ggml_cuda_mm_fusion_args_devicePfj15HIP_vector_typeIjLj3EEjjjS8_jjjS8_jjjj.has_dyn_sized_stack, 0
	.set _ZL13mul_mat_vec_qIL9ggml_type29ELi1ELb0ELb1EEvPKvS2_PKi31ggml_cuda_mm_fusion_args_devicePfj15HIP_vector_typeIjLj3EEjjjS8_jjjS8_jjjj.has_recursion, 0
	.set _ZL13mul_mat_vec_qIL9ggml_type29ELi1ELb0ELb1EEvPKvS2_PKi31ggml_cuda_mm_fusion_args_devicePfj15HIP_vector_typeIjLj3EEjjjS8_jjjS8_jjjj.has_indirect_call, 0
	.section	.AMDGPU.csdata,"",@progbits
; Kernel info:
; codeLenInByte = 1772
; TotalNumSgprs: 24
; NumVgprs: 37
; ScratchSize: 0
; MemoryBound: 0
; FloatMode: 240
; IeeeMode: 1
; LDSByteSize: 0 bytes/workgroup (compile time only)
; SGPRBlocks: 0
; VGPRBlocks: 4
; NumSGPRsForWavesPerEU: 24
; NumVGPRsForWavesPerEU: 37
; Occupancy: 16
; WaveLimiterHint : 0
; COMPUTE_PGM_RSRC2:SCRATCH_EN: 0
; COMPUTE_PGM_RSRC2:USER_SGPR: 2
; COMPUTE_PGM_RSRC2:TRAP_HANDLER: 0
; COMPUTE_PGM_RSRC2:TGID_X_EN: 1
; COMPUTE_PGM_RSRC2:TGID_Y_EN: 1
; COMPUTE_PGM_RSRC2:TGID_Z_EN: 1
; COMPUTE_PGM_RSRC2:TIDIG_COMP_CNT: 1
	.section	.text._ZL13mul_mat_vec_qIL9ggml_type29ELi1ELb1ELb0EEvPKvS2_PKi31ggml_cuda_mm_fusion_args_devicePfj15HIP_vector_typeIjLj3EEjjjS8_jjjS8_jjjj,"axG",@progbits,_ZL13mul_mat_vec_qIL9ggml_type29ELi1ELb1ELb0EEvPKvS2_PKi31ggml_cuda_mm_fusion_args_devicePfj15HIP_vector_typeIjLj3EEjjjS8_jjjS8_jjjj,comdat
	.globl	_ZL13mul_mat_vec_qIL9ggml_type29ELi1ELb1ELb0EEvPKvS2_PKi31ggml_cuda_mm_fusion_args_devicePfj15HIP_vector_typeIjLj3EEjjjS8_jjjS8_jjjj ; -- Begin function _ZL13mul_mat_vec_qIL9ggml_type29ELi1ELb1ELb0EEvPKvS2_PKi31ggml_cuda_mm_fusion_args_devicePfj15HIP_vector_typeIjLj3EEjjjS8_jjjS8_jjjj
	.p2align	8
	.type	_ZL13mul_mat_vec_qIL9ggml_type29ELi1ELb1ELb0EEvPKvS2_PKi31ggml_cuda_mm_fusion_args_devicePfj15HIP_vector_typeIjLj3EEjjjS8_jjjS8_jjjj,@function
_ZL13mul_mat_vec_qIL9ggml_type29ELi1ELb1ELb0EEvPKvS2_PKi31ggml_cuda_mm_fusion_args_devicePfj15HIP_vector_typeIjLj3EEjjjS8_jjjS8_jjjj: ; @_ZL13mul_mat_vec_qIL9ggml_type29ELi1ELb1ELb0EEvPKvS2_PKi31ggml_cuda_mm_fusion_args_devicePfj15HIP_vector_typeIjLj3EEjjjS8_jjjS8_jjjj
; %bb.0:
	s_clause 0x3
	s_load_b256 s[8:15], s[0:1], 0x0
	s_load_b128 s[16:19], s[0:1], 0x20
	s_load_b128 s[20:23], s[0:1], 0x40
	;; [unrolled: 1-line block ×3, first 2 shown]
	s_and_b32 s27, ttmp7, 0xffff
	s_wait_kmcnt 0x0
	s_cmp_lg_u64 s[12:13], 0
	s_cselect_b32 s2, -1, 0
	s_cmp_eq_u64 s[12:13], 0
	s_cbranch_scc1 .LBB219_24
; %bb.1:
	s_lshl_b32 s3, s27, 2
	s_load_b32 s29, s[12:13], s3 offset:0x0
	s_clause 0x1
	s_load_b32 s30, s[0:1], 0x50
	s_load_b32 s28, s[0:1], 0x78
	s_cbranch_execnz .LBB219_3
.LBB219_2:
	s_load_b64 s[12:13], s[0:1], 0x5c
	s_wait_kmcnt 0x0
	s_mul_hi_u32 s3, s12, s27
	s_delay_alu instid0(SALU_CYCLE_1) | instskip(NEXT) | instid1(SALU_CYCLE_1)
	s_add_co_i32 s3, s27, s3
	s_lshr_b32 s29, s3, s13
.LBB219_3:
	s_and_not1_b32 vcc_lo, exec_lo, s2
	s_mov_b32 s3, s27
	s_mov_b32 s31, s27
	s_cbranch_vccnz .LBB219_5
; %bb.4:
	s_mul_hi_u32 s2, s21, s27
	s_wait_kmcnt 0x0
	s_mov_b32 s3, s29
	s_add_co_i32 s2, s27, s2
	s_delay_alu instid0(SALU_CYCLE_1) | instskip(NEXT) | instid1(SALU_CYCLE_1)
	s_lshr_b32 s2, s2, s22
	s_mul_i32 s2, s2, s23
	s_delay_alu instid0(SALU_CYCLE_1)
	s_sub_co_i32 s31, s27, s2
.LBB219_5:
	s_load_b96 s[24:26], s[0:1], 0x80
	v_bfe_u32 v15, v0, 10, 10
	v_dual_mov_b32 v13, 0 :: v_dual_and_b32 v12, 0x3ff, v0
	s_lshr_b32 s21, ttmp7, 16
	s_cmp_lg_u64 s[14:15], 0
	v_mov_b32_e32 v14, 0
	s_delay_alu instid0(VALU_DEP_2) | instskip(SKIP_3) | instid1(VALU_DEP_1)
	v_or_b32_e32 v0, v12, v15
	s_cselect_b32 s2, -1, 0
	s_mov_b32 s23, 0
	s_mul_i32 s12, s3, s6
	v_cmp_eq_u32_e32 vcc_lo, 0, v0
	s_and_b32 s13, s2, vcc_lo
	s_delay_alu instid0(SALU_CYCLE_1)
	s_and_saveexec_b32 s3, s13
	s_cbranch_execz .LBB219_7
; %bb.6:
	s_wait_kmcnt 0x0
	s_mul_i32 s22, s26, s21
	s_mov_b32 s13, s23
	s_lshl_b64 s[22:23], s[22:23], 2
	s_mov_b32 s34, ttmp9
	s_lshl_b64 s[36:37], s[12:13], 2
	s_add_nc_u64 s[14:15], s[14:15], s[22:23]
	s_ashr_i32 s35, ttmp9, 31
	v_lshlrev_b32_e32 v0, 2, v12
	s_add_nc_u64 s[14:15], s[14:15], s[36:37]
	s_lshl_b64 s[22:23], s[34:35], 2
	s_delay_alu instid0(SALU_CYCLE_1)
	s_add_nc_u64 s[14:15], s[14:15], s[22:23]
	global_load_b32 v14, v0, s[14:15]
.LBB219_7:
	s_or_b32 exec_lo, exec_lo, s3
	s_cmp_lg_u64 s[16:17], 0
	s_cselect_b32 s14, -1, 0
	s_cmp_lg_u64 s[18:19], 0
	s_cselect_b32 s3, -1, 0
	s_delay_alu instid0(SALU_CYCLE_1) | instskip(NEXT) | instid1(SALU_CYCLE_1)
	s_and_b32 s13, s3, s14
	s_and_b32 s13, s13, vcc_lo
	s_delay_alu instid0(SALU_CYCLE_1)
	s_and_saveexec_b32 s15, s13
	s_cbranch_execz .LBB219_9
; %bb.8:
	s_wait_kmcnt 0x0
	s_mul_i32 s34, s26, s21
	s_mov_b32 s35, 0
	s_mov_b32 s22, ttmp9
	s_lshl_b64 s[36:37], s[34:35], 2
	s_mov_b32 s13, s35
	s_add_nc_u64 s[18:19], s[18:19], s[36:37]
	s_lshl_b64 s[12:13], s[12:13], 2
	s_ashr_i32 s23, ttmp9, 31
	v_lshlrev_b32_e32 v0, 2, v12
	s_add_nc_u64 s[12:13], s[18:19], s[12:13]
	s_lshl_b64 s[18:19], s[22:23], 2
	s_delay_alu instid0(SALU_CYCLE_1)
	s_add_nc_u64 s[12:13], s[12:13], s[18:19]
	global_load_b32 v13, v0, s[12:13]
.LBB219_9:
	s_or_b32 exec_lo, exec_lo, s15
	v_lshl_add_u32 v0, v15, 5, v12
	v_dual_mov_b32 v18, 0 :: v_dual_mov_b32 v17, 0
	v_cndmask_b32_e64 v16, 0, 1, s14
	s_lshr_b32 s15, s20, 8
	s_delay_alu instid0(VALU_DEP_3) | instskip(SKIP_2) | instid1(VALU_DEP_1)
	v_lshrrev_b32_e32 v19, 3, v0
	s_mov_b32 s18, exec_lo
	s_wait_alu 0xfffe
	v_cmpx_gt_u32_e64 s15, v19
	s_cbranch_execz .LBB219_15
; %bb.10:
	v_lshrrev_b32_e32 v0, 3, v0
	s_mul_i32 s12, s31, s5
	s_mov_b32 s13, 0
	s_mul_hi_u32 s5, s7, s21
	s_mul_u64 s[22:23], s[12:13], 36
	s_wait_kmcnt 0x0
	s_mul_i32 s7, s29, s4
	v_mad_co_u64_u32 v[0:1], null, 0x120, v0, s[22:23]
	s_mul_i32 s4, s25, s21
	v_dual_mov_b32 v17, 0 :: v_dual_and_b32 v2, 7, v12
	v_and_b32_e32 v4, 1, v12
	v_bfe_u32 v3, v12, 1, 2
	s_mul_i32 s30, s30, ttmp9
	v_mad_co_u64_u32 v[0:1], null, s4, 36, v[0:1]
	s_delay_alu instid0(VALU_DEP_3)
	v_cmp_eq_u32_e32 vcc_lo, 1, v4
	s_add_co_i32 s4, s21, s5
	v_dual_mov_b32 v18, 0 :: v_dual_lshlrev_b32 v23, 1, v3
	s_wait_alu 0xfffe
	s_lshr_b32 s4, s4, s28
	v_cndmask_b32_e64 v21, 0, 6, vcc_lo
	s_delay_alu instid0(VALU_DEP_4)
	v_mad_co_u64_u32 v[0:1], null, v2, 36, v[0:1]
	s_wait_alu 0xfffe
	s_mul_i32 s4, s4, s24
	v_lshlrev_b32_e32 v20, 1, v2
	v_lshlrev_b32_e32 v22, 2, v2
	s_wait_alu 0xfffe
	s_add_co_i32 s4, s4, s30
	s_wait_alu 0xfffe
	s_add_co_i32 s7, s7, s4
	v_add_co_u32 v0, vcc_lo, s10, v0
	s_wait_alu 0xfffd
	v_add_co_ci_u32_e64 v1, null, s11, v1, vcc_lo
	s_mov_b32 s10, 0xbd000000
	v_add_co_u32 v8, vcc_lo, v0, 32
	s_wait_alu 0xfffd
	v_add_co_ci_u32_e64 v9, null, 0, v1, vcc_lo
	s_branch .LBB219_12
.LBB219_11:                             ;   in Loop: Header=BB219_12 Depth=1
	s_wait_loadcnt 0x3
	v_and_b32_e32 v38, 0xf0f0f0f, v35
	v_lshrrev_b32_e32 v35, 4, v35
	s_wait_loadcnt 0x2
	v_and_b32_e32 v40, 0xf0f0f0f, v34
	v_lshrrev_b32_e32 v34, 4, v34
	v_pk_lshrrev_b16 v10, 0x8000c, v10
	v_dot4_i32_iu8 v5, v38, v5, 0 neg_lo:[1,1,0]
	v_and_b32_e32 v35, 0xf0f0f0f, v35
	v_pk_lshrrev_b16 v11, 4, v11
	v_and_b32_e32 v34, 0xf0f0f0f, v34
	v_lshrrev_b32_e32 v39, 16, v10
	s_wait_loadcnt 0x1
	v_and_b32_e32 v41, 0xf0f0f0f, v33
	v_dot4_i32_iu8 v5, v35, v6, v5 neg_lo:[1,1,0]
	v_lshrrev_b32_e32 v33, 4, v33
	v_and_b32_e32 v11, 0xf0000f00, v11
	v_bfe_u32 v37, v25, 4, 4
	v_dot4_i32_iu8 v1, v41, v1, 0 neg_lo:[1,1,0]
	v_dot4_i32_iu8 v5, v40, v7, v5 neg_lo:[1,1,0]
	v_add_nc_u32_e32 v19, 4, v19
	v_lshrrev_b32_e32 v6, 16, v11
	v_add_co_u32 v8, s4, 0x480, v8
	s_delay_alu instid0(VALU_DEP_4) | instskip(NEXT) | instid1(VALU_DEP_4)
	v_dot4_i32_iu8 v0, v34, v0, v5 neg_lo:[1,1,0]
	v_cmp_le_u32_e32 vcc_lo, s15, v19
	s_wait_alu 0xf1ff
	v_add_co_ci_u32_e64 v9, null, 0, v9, s4
	s_delay_alu instid0(VALU_DEP_3) | instskip(SKIP_2) | instid1(VALU_DEP_1)
	v_cvt_f32_i32_e32 v0, v0
	v_and_b32_e32 v39, 0xf0, v39
	s_or_b32 s13, vcc_lo, s13
	v_or_b32_e32 v10, v39, v10
	s_delay_alu instid0(VALU_DEP_1) | instskip(SKIP_1) | instid1(VALU_DEP_2)
	v_or_b32_e32 v10, v10, v11
	v_and_b32_e32 v11, 0xf0f0f0f, v33
	v_or_b32_e32 v6, v10, v6
	s_delay_alu instid0(VALU_DEP_2) | instskip(SKIP_4) | instid1(VALU_DEP_2)
	v_dot4_i32_iu8 v1, v11, v2, v1 neg_lo:[1,1,0]
	v_and_b32_e32 v2, 8, v26
	s_wait_loadcnt 0x0
	v_and_b32_e32 v11, 0xf0f0f0f, v32
	v_and_b32_e32 v26, 8, v27
	v_dot4_i32_iu8 v1, v11, v3, v1 neg_lo:[1,1,0]
	s_delay_alu instid0(VALU_DEP_2) | instskip(NEXT) | instid1(VALU_DEP_1)
	v_cvt_f32_ubyte0_e32 v3, v26
	v_dual_fmaak_f32 v3, s10, v3, 0xbf600000 :: v_dual_and_b32 v10, 8, v25
	s_delay_alu instid0(VALU_DEP_1) | instskip(SKIP_1) | instid1(VALU_DEP_2)
	v_cvt_f32_ubyte0_e32 v5, v10
	v_lshrrev_b32_e32 v10, 4, v32
	v_fmaak_f32 v5, s10, v5, 0xbf600000
	v_cvt_f32_ubyte0_e32 v2, v2
	v_and_b32_e32 v27, 8, v37
	s_delay_alu instid0(VALU_DEP_4) | instskip(NEXT) | instid1(VALU_DEP_4)
	v_and_b32_e32 v10, 0xf0f0f0f, v10
	v_fma_f32 v5, v5, v29, 0
	s_delay_alu instid0(VALU_DEP_4) | instskip(NEXT) | instid1(VALU_DEP_4)
	v_fmaak_f32 v2, s10, v2, 0xbf600000
	v_cvt_f32_ubyte0_e32 v11, v27
	s_delay_alu instid0(VALU_DEP_4) | instskip(NEXT) | instid1(VALU_DEP_3)
	v_dot4_i32_iu8 v1, v10, v24, v1 neg_lo:[1,1,0]
	v_fma_f32 v2, v2, v31, 0
	s_delay_alu instid0(VALU_DEP_3) | instskip(NEXT) | instid1(VALU_DEP_3)
	v_fmaak_f32 v10, s10, v11, 0xbf600000
	v_cvt_f32_i32_e32 v1, v1
	s_delay_alu instid0(VALU_DEP_3) | instskip(SKIP_1) | instid1(VALU_DEP_4)
	v_fmac_f32_e32 v2, v3, v30
	v_and_b32_e32 v36, 0xffff, v36
	v_fmac_f32_e32 v5, v10, v28
	s_delay_alu instid0(VALU_DEP_3) | instskip(NEXT) | instid1(VALU_DEP_3)
	v_add_f32_e32 v1, v2, v1
	v_lshrrev_b32_e32 v36, v21, v36
	s_delay_alu instid0(VALU_DEP_3) | instskip(NEXT) | instid1(VALU_DEP_2)
	v_add_f32_e32 v0, v5, v0
	v_lshrrev_b32_e32 v25, 2, v36
	v_lshlrev_b32_e32 v7, 1, v36
	s_delay_alu instid0(VALU_DEP_2) | instskip(NEXT) | instid1(VALU_DEP_2)
	v_and_b32_e32 v11, 14, v25
	v_and_b32_e32 v7, 14, v7
	s_delay_alu instid0(VALU_DEP_2) | instskip(NEXT) | instid1(VALU_DEP_2)
	v_or_b32_e32 v3, 1, v11
	v_or_b32_e32 v7, 1, v7
	s_delay_alu instid0(VALU_DEP_2) | instskip(SKIP_1) | instid1(VALU_DEP_3)
	v_cvt_f32_ubyte0_e32 v2, v3
	v_cvt_f32_f16_e32 v3, v6
	v_cvt_f32_ubyte0_e32 v5, v7
	s_delay_alu instid0(VALU_DEP_2) | instskip(NEXT) | instid1(VALU_DEP_1)
	v_dual_mul_f32 v1, v1, v2 :: v_dual_mul_f32 v2, v4, v3
	v_fmac_f32_e32 v1, v0, v5
	s_delay_alu instid0(VALU_DEP_1)
	v_fmac_f32_e32 v18, v2, v1
	s_and_not1_b32 exec_lo, exec_lo, s13
	s_cbranch_execz .LBB219_14
.LBB219_12:                             ; =>This Inner Loop Header: Depth=1
	v_add_nc_u32_e32 v37, s7, v19
	s_getpc_b64 s[4:5]
	s_wait_alu 0xfffe
	s_sext_i32_i16 s5, s5
	s_add_co_u32 s4, s4, _ZL13iq1s_grid_gpu@rel32@lo+12
	s_wait_alu 0xfffe
	s_add_co_ci_u32 s5, s5, _ZL13iq1s_grid_gpu@rel32@hi+24
	v_mad_co_i64_i32 v[28:29], null, v37, 56, s[8:9]
	s_delay_alu instid0(VALU_DEP_1) | instskip(SKIP_1) | instid1(VALU_DEP_2)
	v_add_co_u32 v0, vcc_lo, v28, v20
	s_wait_alu 0xfffd
	v_add_co_ci_u32_e64 v1, null, 0, v29, vcc_lo
	global_load_u16 v25, v[0:1], off offset:32
	v_add_co_u32 v0, vcc_lo, v28, v22
	s_wait_alu 0xfffd
	v_add_co_ci_u32_e64 v1, null, 0, v29, vcc_lo
	global_load_b32 v30, v[0:1], off
	s_clause 0x2
	global_load_b32 v24, v[8:9], off
	global_load_b128 v[4:7], v[8:9], off offset:-32
	global_load_b128 v[0:3], v[8:9], off offset:-16
	global_load_b64 v[10:11], v[28:29], off offset:48
	v_add_co_u32 v28, vcc_lo, v28, v23
	s_wait_alu 0xfffd
	v_add_co_ci_u32_e64 v29, null, 0, v29, vcc_lo
	s_and_not1_b32 vcc_lo, exec_lo, s14
	s_wait_loadcnt 0x5
	v_lshrrev_b16 v26, 8, v25
	v_lshlrev_b32_e32 v33, 8, v25
	v_lshlrev_b32_e32 v36, 4, v25
	s_delay_alu instid0(VALU_DEP_3) | instskip(SKIP_3) | instid1(VALU_DEP_3)
	v_and_b32_e32 v31, 0xffff, v26
	s_wait_loadcnt 0x2
	v_cvt_f32_f16_e32 v4, v4
	v_and_b32_e32 v32, 0xff, v30
	v_lshrrev_b32_e32 v27, 4, v31
	v_bfe_u32 v34, v30, 8, 8
	v_bfe_u32 v35, v30, 16, 8
	v_lshlrev_b32_e32 v31, 8, v31
	v_and_or_b32 v32, 0x700, v33, v32
	v_alignbit_b32 v30, v27, v30, 24
	v_and_or_b32 v33, 0x700, v36, v34
	s_delay_alu instid0(VALU_DEP_4) | instskip(NEXT) | instid1(VALU_DEP_4)
	v_and_or_b32 v31, 0x700, v31, v35
	v_lshlrev_b32_e32 v32, 2, v32
	s_delay_alu instid0(VALU_DEP_4) | instskip(NEXT) | instid1(VALU_DEP_4)
	v_and_b32_e32 v30, 0x7ff, v30
	v_lshlrev_b32_e32 v33, 2, v33
	s_delay_alu instid0(VALU_DEP_4) | instskip(NEXT) | instid1(VALU_DEP_3)
	v_lshlrev_b32_e32 v31, 2, v31
	v_lshlrev_b32_e32 v30, 2, v30
	global_load_u16 v36, v[28:29], off offset:48
	s_clause 0x3
	global_load_b32 v35, v32, s[4:5]
	global_load_b32 v34, v33, s[4:5]
	;; [unrolled: 1-line block ×4, first 2 shown]
	s_wait_loadcnt 0x6
	v_dot4_i32_iu8 v28, v1, 0x1010101, 0 neg_lo:[1,1,0]
	v_dot4_i32_iu8 v29, v5, 0x1010101, 0 neg_lo:[1,1,0]
	;; [unrolled: 1-line block ×4, first 2 shown]
	s_delay_alu instid0(VALU_DEP_4) | instskip(NEXT) | instid1(VALU_DEP_4)
	v_dot4_i32_iu8 v28, v2, 0x1010101, v28 neg_lo:[1,1,0]
	v_dot4_i32_iu8 v29, v6, 0x1010101, v29 neg_lo:[1,1,0]
	s_delay_alu instid0(VALU_DEP_4) | instskip(NEXT) | instid1(VALU_DEP_4)
	v_dot4_i32_iu8 v30, v24, 0x1010101, v30 neg_lo:[1,1,0]
	v_dot4_i32_iu8 v38, v0, 0x1010101, v31 neg_lo:[1,1,0]
	s_delay_alu instid0(VALU_DEP_4) | instskip(NEXT) | instid1(VALU_DEP_4)
	v_cvt_f32_i32_e32 v31, v28
	v_cvt_f32_i32_e32 v29, v29
	s_delay_alu instid0(VALU_DEP_4) | instskip(NEXT) | instid1(VALU_DEP_4)
	v_cvt_f32_i32_e32 v30, v30
	v_cvt_f32_i32_e32 v28, v38
	s_wait_alu 0xfffe
	s_cbranch_vccnz .LBB219_11
; %bb.13:                               ;   in Loop: Header=BB219_12 Depth=1
	v_mad_co_i64_i32 v[37:38], null, v37, 56, s[16:17]
	s_delay_alu instid0(VALU_DEP_1) | instskip(SKIP_1) | instid1(VALU_DEP_2)
	v_add_co_u32 v39, vcc_lo, v37, v20
	s_wait_alu 0xfffd
	v_add_co_ci_u32_e64 v40, null, 0, v38, vcc_lo
	global_load_u16 v41, v[39:40], off offset:32
	v_add_co_u32 v39, vcc_lo, v37, v22
	s_wait_alu 0xfffd
	v_add_co_ci_u32_e64 v40, null, 0, v38, vcc_lo
	s_clause 0x1
	global_load_b32 v42, v[39:40], off
	global_load_b64 v[39:40], v[37:38], off offset:48
	v_add_co_u32 v37, vcc_lo, v37, v23
	s_wait_alu 0xfffd
	v_add_co_ci_u32_e64 v38, null, 0, v38, vcc_lo
	global_load_u16 v37, v[37:38], off offset:48
	s_wait_loadcnt 0x3
	v_lshrrev_b16 v43, 8, v41
	v_lshlrev_b32_e32 v47, 8, v41
	v_bfe_u32 v48, v41, 4, 4
	s_delay_alu instid0(VALU_DEP_3)
	v_and_b32_e32 v38, 0xffff, v43
	v_and_b32_e32 v43, 8, v43
	s_wait_loadcnt 0x2
	v_bfe_u32 v44, v42, 16, 8
	s_wait_loadcnt 0x1
	v_pk_lshrrev_b16 v39, 0x8000c, v39
	v_pk_lshrrev_b16 v40, 4, v40
	v_and_b32_e32 v48, 8, v48
	v_cvt_f32_ubyte0_e32 v43, v43
	v_lshlrev_b32_e32 v45, 8, v38
	v_lshrrev_b32_e32 v38, 4, v38
	v_and_b32_e32 v40, 0xf0000f00, v40
	s_wait_loadcnt 0x0
	v_lshrrev_b32_e32 v37, v21, v37
	v_and_or_b32 v44, 0x700, v45, v44
	s_delay_alu instid0(VALU_DEP_3) | instskip(NEXT) | instid1(VALU_DEP_3)
	v_lshrrev_b32_e32 v49, 16, v40
	v_lshlrev_b32_e32 v50, 1, v37
	v_lshrrev_b32_e32 v37, 2, v37
	s_delay_alu instid0(VALU_DEP_1) | instskip(NEXT) | instid1(VALU_DEP_1)
	v_and_b32_e32 v37, 14, v37
	v_or_b32_e32 v37, 1, v37
	s_delay_alu instid0(VALU_DEP_1) | instskip(SKIP_1) | instid1(VALU_DEP_1)
	v_cvt_f32_ubyte0_e32 v37, v37
	v_and_b32_e32 v46, 0xff, v42
	v_and_or_b32 v45, 0x700, v47, v46
	v_bfe_u32 v46, v42, 8, 8
	v_alignbit_b32 v42, v38, v42, 24
	v_and_b32_e32 v38, 8, v38
	s_delay_alu instid0(VALU_DEP_1) | instskip(NEXT) | instid1(VALU_DEP_1)
	v_cvt_f32_ubyte0_e32 v38, v38
	v_dual_fmaak_f32 v38, s10, v38, 0xbf600000 :: v_dual_lshlrev_b32 v47, 4, v41
	v_and_b32_e32 v41, 8, v41
	s_delay_alu instid0(VALU_DEP_2) | instskip(SKIP_1) | instid1(VALU_DEP_3)
	v_and_or_b32 v46, 0x700, v47, v46
	v_lshrrev_b32_e32 v47, 16, v39
	v_cvt_f32_ubyte0_e32 v41, v41
	v_lshlrev_b32_e32 v44, 2, v44
	s_delay_alu instid0(VALU_DEP_4) | instskip(NEXT) | instid1(VALU_DEP_4)
	v_lshlrev_b32_e32 v46, 2, v46
	v_and_b32_e32 v47, 0xf0, v47
	s_delay_alu instid0(VALU_DEP_4)
	v_fmaak_f32 v41, s10, v41, 0xbf600000
	global_load_b32 v44, v44, s[4:5]
	v_or_b32_e32 v39, v47, v39
	v_cvt_f32_ubyte0_e32 v47, v48
	v_and_b32_e32 v48, 14, v50
	v_fma_f32 v41, v41, v29, 0
	s_delay_alu instid0(VALU_DEP_4) | instskip(SKIP_1) | instid1(VALU_DEP_2)
	v_or_b32_e32 v39, v39, v40
	v_fmaak_f32 v40, s10, v43, 0xbf600000
	v_or_b32_e32 v39, v39, v49
	s_delay_alu instid0(VALU_DEP_2) | instskip(NEXT) | instid1(VALU_DEP_2)
	v_fma_f32 v40, v40, v31, 0
	v_cvt_f32_f16_e32 v39, v39
	s_delay_alu instid0(VALU_DEP_2) | instskip(NEXT) | instid1(VALU_DEP_2)
	v_dual_fmac_f32 v40, v38, v30 :: v_dual_lshlrev_b32 v45, 2, v45
	v_dual_mul_f32 v39, v4, v39 :: v_dual_and_b32 v42, 0x7ff, v42
	global_load_b32 v45, v45, s[4:5]
	v_lshlrev_b32_e32 v42, 2, v42
	s_clause 0x1
	global_load_b32 v42, v42, s[4:5]
	global_load_b32 v46, v46, s[4:5]
	s_wait_loadcnt 0x3
	v_lshrrev_b32_e32 v43, 4, v44
	v_and_b32_e32 v44, 0xf0f0f0f, v44
	s_delay_alu instid0(VALU_DEP_2) | instskip(NEXT) | instid1(VALU_DEP_2)
	v_and_b32_e32 v43, 0xf0f0f0f, v43
	v_dot4_i32_iu8 v44, v44, v1, 0 neg_lo:[1,1,0]
	s_delay_alu instid0(VALU_DEP_1) | instskip(SKIP_3) | instid1(VALU_DEP_2)
	v_dot4_i32_iu8 v43, v43, v2, v44 neg_lo:[1,1,0]
	s_wait_loadcnt 0x2
	v_lshrrev_b32_e32 v50, 4, v45
	v_and_b32_e32 v45, 0xf0f0f0f, v45
	v_and_b32_e32 v50, 0xf0f0f0f, v50
	s_delay_alu instid0(VALU_DEP_2)
	v_dot4_i32_iu8 v45, v45, v5, 0 neg_lo:[1,1,0]
	s_wait_loadcnt 0x1
	v_and_b32_e32 v51, 0xf0f0f0f, v42
	v_lshrrev_b32_e32 v42, 4, v42
	s_wait_loadcnt 0x0
	v_and_b32_e32 v44, 0xf0f0f0f, v46
	v_lshrrev_b32_e32 v46, 4, v46
	v_dot4_i32_iu8 v45, v50, v6, v45 neg_lo:[1,1,0]
	v_dot4_i32_iu8 v43, v51, v3, v43 neg_lo:[1,1,0]
	v_and_b32_e32 v42, 0xf0f0f0f, v42
	s_delay_alu instid0(VALU_DEP_4) | instskip(NEXT) | instid1(VALU_DEP_4)
	v_and_b32_e32 v46, 0xf0f0f0f, v46
	v_dot4_i32_iu8 v44, v44, v7, v45 neg_lo:[1,1,0]
	s_delay_alu instid0(VALU_DEP_3) | instskip(SKIP_1) | instid1(VALU_DEP_3)
	v_dot4_i32_iu8 v42, v42, v24, v43 neg_lo:[1,1,0]
	v_fmaak_f32 v43, s10, v47, 0xbf600000
	v_dot4_i32_iu8 v38, v46, v0, v44 neg_lo:[1,1,0]
	v_or_b32_e32 v44, 1, v48
	s_delay_alu instid0(VALU_DEP_4) | instskip(NEXT) | instid1(VALU_DEP_4)
	v_cvt_f32_i32_e32 v42, v42
	v_fmac_f32_e32 v41, v43, v28
	s_delay_alu instid0(VALU_DEP_4) | instskip(NEXT) | instid1(VALU_DEP_3)
	v_cvt_f32_i32_e32 v38, v38
	v_add_f32_e32 v40, v40, v42
	s_delay_alu instid0(VALU_DEP_2) | instskip(SKIP_1) | instid1(VALU_DEP_3)
	v_add_f32_e32 v38, v41, v38
	v_cvt_f32_ubyte0_e32 v41, v44
	v_mul_f32_e32 v37, v40, v37
	s_delay_alu instid0(VALU_DEP_1) | instskip(NEXT) | instid1(VALU_DEP_1)
	v_fmac_f32_e32 v37, v38, v41
	v_fmac_f32_e32 v17, v39, v37
	s_branch .LBB219_11
.LBB219_14:
	s_or_b32 exec_lo, exec_lo, s13
.LBB219_15:
	s_delay_alu instid0(SALU_CYCLE_1)
	s_or_b32 exec_lo, exec_lo, s18
	s_load_b32 s4, s[0:1], 0x30
	s_wait_loadcnt 0x0
	; wave barrier
	global_inv scope:SCOPE_SE
	s_mov_b32 s5, exec_lo
	v_cmpx_eq_u32_e32 0, v15
	s_cbranch_execz .LBB219_43
; %bb.16:
	v_mbcnt_lo_u32_b32 v1, -1, 0
	s_delay_alu instid0(VALU_DEP_1) | instskip(SKIP_2) | instid1(VALU_DEP_3)
	v_xor_b32_e32 v0, 16, v1
	v_xor_b32_e32 v3, 8, v1
	;; [unrolled: 1-line block ×3, first 2 shown]
	v_cmp_gt_i32_e32 vcc_lo, 32, v0
	s_wait_alu 0xfffd
	v_cndmask_b32_e32 v0, v1, v0, vcc_lo
	v_cmp_gt_i32_e32 vcc_lo, 32, v3
	s_wait_alu 0xfffd
	v_cndmask_b32_e32 v3, v1, v3, vcc_lo
	v_cmp_gt_i32_e32 vcc_lo, 32, v4
	s_delay_alu instid0(VALU_DEP_2)
	v_lshlrev_b32_e32 v3, 2, v3
	v_lshlrev_b32_e32 v0, 2, v0
	s_wait_alu 0xfffd
	v_cndmask_b32_e32 v4, v1, v4, vcc_lo
	ds_bpermute_b32 v2, v0, v18
	s_wait_dscnt 0x0
	v_add_f32_e32 v2, v18, v2
	ds_bpermute_b32 v5, v3, v2
	s_wait_dscnt 0x0
	v_add_f32_e32 v2, v2, v5
	v_xor_b32_e32 v5, 2, v1
	s_delay_alu instid0(VALU_DEP_1) | instskip(SKIP_2) | instid1(VALU_DEP_1)
	v_cmp_gt_i32_e32 vcc_lo, 32, v5
	s_wait_alu 0xfffd
	v_cndmask_b32_e32 v5, v1, v5, vcc_lo
	v_lshlrev_b32_e32 v5, 2, v5
	v_lshlrev_b32_e32 v4, 2, v4
	ds_bpermute_b32 v6, v4, v2
	s_wait_dscnt 0x0
	v_add_f32_e32 v2, v2, v6
	v_xor_b32_e32 v6, 1, v1
	ds_bpermute_b32 v7, v5, v2
	v_cmp_gt_i32_e32 vcc_lo, 32, v6
	s_wait_alu 0xfffd
	v_cndmask_b32_e32 v1, v1, v6, vcc_lo
	v_cmp_ne_u32_e32 vcc_lo, 1, v16
	s_delay_alu instid0(VALU_DEP_2)
	v_lshlrev_b32_e32 v6, 2, v1
	s_wait_dscnt 0x0
	v_add_f32_e32 v1, v2, v7
	ds_bpermute_b32 v2, v6, v1
	s_cbranch_vccnz .LBB219_18
; %bb.17:
	ds_bpermute_b32 v0, v0, v17
	s_wait_dscnt 0x0
	v_add_f32_e32 v0, v17, v0
	ds_bpermute_b32 v3, v3, v0
	s_wait_dscnt 0x0
	v_add_f32_e32 v0, v0, v3
	ds_bpermute_b32 v3, v4, v0
	s_wait_dscnt 0x0
	v_add_f32_e32 v0, v0, v3
	ds_bpermute_b32 v3, v5, v0
	s_wait_dscnt 0x0
	v_add_f32_e32 v0, v0, v3
	ds_bpermute_b32 v3, v6, v0
	s_wait_dscnt 0x0
	v_add_f32_e32 v17, v0, v3
.LBB219_18:
	v_cmp_eq_u32_e32 vcc_lo, 0, v12
	s_and_b32 exec_lo, exec_lo, vcc_lo
	s_cbranch_execz .LBB219_43
; %bb.19:
	s_wait_dscnt 0x0
	v_add_f32_e32 v0, v1, v2
	v_cmp_ne_u32_e32 vcc_lo, 1, v16
	s_delay_alu instid0(VALU_DEP_2) | instskip(NEXT) | instid1(VALU_DEP_1)
	v_add_f32_e32 v1, v14, v0
	v_cndmask_b32_e64 v0, v0, v1, s2
	s_cbranch_vccnz .LBB219_42
; %bb.20:
	v_add_f32_e32 v1, v13, v17
	s_wait_kmcnt 0x0
	s_cmp_lt_i32 s4, 2
	s_mov_b32 s2, 0
	s_delay_alu instid0(VALU_DEP_1)
	v_cndmask_b32_e64 v1, v17, v1, s3
	s_cbranch_scc1 .LBB219_25
; %bb.21:
	s_cmp_gt_i32 s4, 2
	s_cbranch_scc0 .LBB219_26
; %bb.22:
	s_cmp_eq_u32 s4, 3
	s_cbranch_scc0 .LBB219_27
; %bb.23:
	v_max_num_f32_e32 v2, v1, v1
	s_mov_b32 s3, 0xc0e00000
	s_delay_alu instid0(VALU_DEP_1) | instskip(NEXT) | instid1(VALU_DEP_1)
	v_min_num_f32_e32 v2, 0x40e00000, v2
	v_mul_f32_e32 v3, 0xbfd9db23, v2
	s_delay_alu instid0(VALU_DEP_1) | instskip(NEXT) | instid1(VALU_DEP_1)
	v_mul_f32_e32 v4, 0x3fb8aa3b, v3
	v_fma_f32 v5, 0x3fb8aa3b, v3, -v4
	v_rndne_f32_e32 v6, v4
	s_delay_alu instid0(VALU_DEP_1) | instskip(NEXT) | instid1(VALU_DEP_1)
	v_dual_fmamk_f32 v5, v3, 0x32a5705f, v5 :: v_dual_sub_f32 v4, v4, v6
	v_add_f32_e32 v4, v4, v5
	v_cvt_i32_f32_e32 v5, v6
	v_cmp_ngt_f32_e32 vcc_lo, 0xc2ce8ed0, v3
	s_delay_alu instid0(VALU_DEP_3) | instskip(NEXT) | instid1(TRANS32_DEP_1)
	v_exp_f32_e32 v4, v4
	v_ldexp_f32 v4, v4, v5
	s_wait_alu 0xfffd
	s_delay_alu instid0(VALU_DEP_1) | instskip(SKIP_2) | instid1(VALU_DEP_2)
	v_cndmask_b32_e32 v4, 0, v4, vcc_lo
	v_cmp_nlt_f32_e32 vcc_lo, 0x42b17218, v3
	s_wait_alu 0xfffd
	v_cndmask_b32_e32 v3, 0x7f800000, v4, vcc_lo
	s_delay_alu instid0(VALU_DEP_1) | instskip(NEXT) | instid1(VALU_DEP_1)
	v_add_f32_e32 v3, 1.0, v3
	v_div_scale_f32 v4, null, v3, v3, v2
	v_div_scale_f32 v7, vcc_lo, v2, v3, v2
	s_delay_alu instid0(VALU_DEP_2) | instskip(NEXT) | instid1(TRANS32_DEP_1)
	v_rcp_f32_e32 v5, v4
	v_fma_f32 v6, -v4, v5, 1.0
	s_delay_alu instid0(VALU_DEP_1) | instskip(NEXT) | instid1(VALU_DEP_1)
	v_fmac_f32_e32 v5, v6, v5
	v_mul_f32_e32 v6, v7, v5
	s_delay_alu instid0(VALU_DEP_1) | instskip(NEXT) | instid1(VALU_DEP_1)
	v_fma_f32 v8, -v4, v6, v7
	v_fmac_f32_e32 v6, v8, v5
	s_delay_alu instid0(VALU_DEP_1) | instskip(SKIP_1) | instid1(VALU_DEP_1)
	v_fma_f32 v4, -v4, v6, v7
	s_wait_alu 0xfffd
	v_div_fmas_f32 v4, v4, v5, v6
	s_delay_alu instid0(VALU_DEP_1) | instskip(SKIP_2) | instid1(VALU_DEP_1)
	v_div_fixup_f32 v2, v4, v3, v2
	v_max_num_f32_e32 v7, v0, v0
	s_wait_alu 0xfffe
	v_minmax_num_f32 v5, v7, 0x40e00000, s3
	s_mov_b32 s3, 0
	s_delay_alu instid0(VALU_DEP_1) | instskip(NEXT) | instid1(VALU_DEP_1)
	v_add_f32_e32 v3, 1.0, v5
	v_mul_f32_e32 v2, v3, v2
	s_branch .LBB219_28
.LBB219_24:
                                        ; implicit-def: $sgpr29
	s_clause 0x1
	s_load_b32 s30, s[0:1], 0x50
	s_load_b32 s28, s[0:1], 0x78
	s_branch .LBB219_2
.LBB219_25:
	s_mov_b32 s3, 0
                                        ; implicit-def: $vgpr2
	s_cbranch_execnz .LBB219_32
	s_branch .LBB219_33
.LBB219_26:
	s_mov_b32 s5, -1
	s_mov_b32 s3, 0
                                        ; implicit-def: $vgpr2
	s_branch .LBB219_29
.LBB219_27:
	s_mov_b32 s3, -1
                                        ; implicit-def: $vgpr2
.LBB219_28:
	s_mov_b32 s5, 0
.LBB219_29:
	s_wait_alu 0xfffe
	s_and_b32 vcc_lo, exec_lo, s5
	s_wait_alu 0xfffe
	s_cbranch_vccz .LBB219_31
; %bb.30:
	v_mul_f32_e32 v2, 0xbfb8aa3b, v1
	v_cmp_nlt_f32_e32 vcc_lo, 0x42ce8ed0, v1
	s_delay_alu instid0(VALU_DEP_2) | instskip(SKIP_1) | instid1(VALU_DEP_2)
	v_rndne_f32_e32 v3, v2
	v_fma_f32 v4, 0xbfb8aa3b, v1, -v2
	v_sub_f32_e32 v2, v2, v3
	s_delay_alu instid0(VALU_DEP_2) | instskip(SKIP_1) | instid1(VALU_DEP_2)
	v_fmamk_f32 v4, v1, 0xb2a5705f, v4
	v_cvt_i32_f32_e32 v3, v3
	v_add_f32_e32 v2, v2, v4
	s_delay_alu instid0(VALU_DEP_1) | instskip(NEXT) | instid1(TRANS32_DEP_1)
	v_exp_f32_e32 v2, v2
	v_ldexp_f32 v2, v2, v3
	s_wait_alu 0xfffd
	s_delay_alu instid0(VALU_DEP_1) | instskip(SKIP_2) | instid1(VALU_DEP_2)
	v_cndmask_b32_e32 v2, 0, v2, vcc_lo
	v_cmp_ngt_f32_e32 vcc_lo, 0xc2b17218, v1
	s_wait_alu 0xfffd
	v_cndmask_b32_e32 v2, 0x7f800000, v2, vcc_lo
	s_delay_alu instid0(VALU_DEP_1) | instskip(NEXT) | instid1(VALU_DEP_1)
	v_add_f32_e32 v2, 1.0, v2
	v_div_scale_f32 v3, null, v2, v2, v1
	s_delay_alu instid0(VALU_DEP_1) | instskip(NEXT) | instid1(TRANS32_DEP_1)
	v_rcp_f32_e32 v4, v3
	v_fma_f32 v5, -v3, v4, 1.0
	s_delay_alu instid0(VALU_DEP_1) | instskip(SKIP_1) | instid1(VALU_DEP_1)
	v_fmac_f32_e32 v4, v5, v4
	v_div_scale_f32 v5, vcc_lo, v1, v2, v1
	v_mul_f32_e32 v6, v5, v4
	s_delay_alu instid0(VALU_DEP_1) | instskip(NEXT) | instid1(VALU_DEP_1)
	v_fma_f32 v7, -v3, v6, v5
	v_fmac_f32_e32 v6, v7, v4
	s_delay_alu instid0(VALU_DEP_1) | instskip(SKIP_1) | instid1(VALU_DEP_1)
	v_fma_f32 v3, -v3, v6, v5
	s_wait_alu 0xfffd
	v_div_fmas_f32 v3, v3, v4, v6
	s_delay_alu instid0(VALU_DEP_1) | instskip(NEXT) | instid1(VALU_DEP_1)
	v_div_fixup_f32 v2, v3, v2, v1
	v_mul_f32_e32 v2, v0, v2
.LBB219_31:
	s_branch .LBB219_33
.LBB219_32:
	s_cmp_lg_u32 s4, 1
	s_mov_b32 s2, -1
	s_cselect_b32 s3, -1, 0
.LBB219_33:
	s_wait_alu 0xfffe
	s_and_not1_b32 vcc_lo, exec_lo, s3
	s_wait_alu 0xfffe
	s_cbranch_vccz .LBB219_35
; %bb.34:
	s_and_not1_b32 vcc_lo, exec_lo, s2
	s_wait_alu 0xfffe
	s_cbranch_vccz .LBB219_36
	s_branch .LBB219_41
.LBB219_35:
	v_mul_f32_e32 v2, v1, v0
	s_cbranch_execnz .LBB219_41
.LBB219_36:
	v_mul_f32_e32 v2, 0x3d372713, v1
	v_mul_f32_e32 v3, 0x3f4c422a, v1
	s_delay_alu instid0(VALU_DEP_2) | instskip(NEXT) | instid1(VALU_DEP_1)
	v_fma_f32 v2, v1, v2, 1.0
	v_mul_f32_e32 v2, v3, v2
                                        ; implicit-def: $vgpr3
	s_delay_alu instid0(VALU_DEP_1)
	v_cmp_ngt_f32_e64 s2, 0x3f200000, |v2|
	s_and_saveexec_b32 s3, s2
	s_wait_alu 0xfffe
	s_xor_b32 s2, exec_lo, s3
	s_cbranch_execz .LBB219_38
; %bb.37:
	v_add_f32_e64 v3, |v2|, |v2|
	s_delay_alu instid0(VALU_DEP_1) | instskip(SKIP_1) | instid1(VALU_DEP_2)
	v_mul_f32_e32 v4, 0x3fb8aa3b, v3
	v_cmp_ngt_f32_e32 vcc_lo, 0xc2ce8ed0, v3
	v_rndne_f32_e32 v5, v4
	v_fma_f32 v6, 0x3fb8aa3b, v3, -v4
	s_delay_alu instid0(VALU_DEP_2) | instskip(NEXT) | instid1(VALU_DEP_2)
	v_sub_f32_e32 v4, v4, v5
	v_fmamk_f32 v6, v3, 0x32a5705f, v6
	v_cvt_i32_f32_e32 v5, v5
	s_delay_alu instid0(VALU_DEP_2) | instskip(NEXT) | instid1(VALU_DEP_1)
	v_add_f32_e32 v4, v4, v6
	v_exp_f32_e32 v4, v4
	s_delay_alu instid0(TRANS32_DEP_1) | instskip(SKIP_1) | instid1(VALU_DEP_1)
	v_ldexp_f32 v4, v4, v5
	s_wait_alu 0xfffd
	v_cndmask_b32_e32 v4, 0, v4, vcc_lo
	v_cmp_nlt_f32_e32 vcc_lo, 0x42b17218, v3
	s_wait_alu 0xfffd
	s_delay_alu instid0(VALU_DEP_2) | instskip(NEXT) | instid1(VALU_DEP_1)
	v_cndmask_b32_e32 v3, 0x7f800000, v4, vcc_lo
	v_add_f32_e32 v3, 1.0, v3
	s_delay_alu instid0(VALU_DEP_1) | instskip(NEXT) | instid1(TRANS32_DEP_1)
	v_rcp_f32_e32 v3, v3
	v_fma_f32 v3, v3, -2.0, 1.0
.LBB219_38:
	s_wait_alu 0xfffe
	s_and_not1_saveexec_b32 s2, s2
	s_cbranch_execz .LBB219_40
; %bb.39:
	v_mul_f32_e32 v3, v2, v2
	s_mov_b32 s3, 0xbbbac73d
	s_wait_alu 0xfffe
	s_delay_alu instid0(VALU_DEP_1) | instskip(NEXT) | instid1(VALU_DEP_1)
	v_fmaak_f32 v4, s3, v3, 0x3ca908c9
	v_fmaak_f32 v4, v3, v4, 0xbd5c1c4e
	s_delay_alu instid0(VALU_DEP_1) | instskip(NEXT) | instid1(VALU_DEP_1)
	v_fmaak_f32 v4, v3, v4, 0x3e088382
	v_fmaak_f32 v4, v3, v4, 0xbeaaaa99
	s_delay_alu instid0(VALU_DEP_1) | instskip(NEXT) | instid1(VALU_DEP_1)
	v_mul_f32_e64 v4, |v2|, v4
	v_fma_f32 v3, v3, v4, |v2|
.LBB219_40:
	s_wait_alu 0xfffe
	s_or_b32 exec_lo, exec_lo, s2
	s_delay_alu instid0(VALU_DEP_1) | instskip(NEXT) | instid1(VALU_DEP_1)
	v_bfi_b32 v2, 0x7fffffff, v3, v2
	v_dual_mul_f32 v1, 0.5, v1 :: v_dual_add_f32 v2, 1.0, v2
	s_delay_alu instid0(VALU_DEP_1) | instskip(NEXT) | instid1(VALU_DEP_1)
	v_mul_f32_e32 v1, v1, v2
	v_mul_f32_e32 v2, v0, v1
.LBB219_41:
	s_delay_alu instid0(VALU_DEP_1)
	v_mov_b32_e32 v0, v2
.LBB219_42:
	s_load_b64 s[0:1], s[0:1], 0x38
	s_mul_i32 s2, s6, s27
	s_wait_kmcnt 0x0
	s_mul_i32 s3, s26, s21
	s_wait_alu 0xfffe
	s_add_co_i32 s2, s2, ttmp9
	v_lshlrev_b32_e32 v1, 2, v12
	s_wait_alu 0xfffe
	s_add_co_i32 s2, s2, s3
	s_mov_b32 s3, 0
	s_wait_alu 0xfffe
	s_lshl_b64 s[2:3], s[2:3], 2
	s_wait_alu 0xfffe
	s_add_nc_u64 s[0:1], s[0:1], s[2:3]
	global_store_b32 v1, v0, s[0:1]
.LBB219_43:
	s_endpgm
	.section	.rodata,"a",@progbits
	.p2align	6, 0x0
	.amdhsa_kernel _ZL13mul_mat_vec_qIL9ggml_type29ELi1ELb1ELb0EEvPKvS2_PKi31ggml_cuda_mm_fusion_args_devicePfj15HIP_vector_typeIjLj3EEjjjS8_jjjS8_jjjj
		.amdhsa_group_segment_fixed_size 0
		.amdhsa_private_segment_fixed_size 0
		.amdhsa_kernarg_size 144
		.amdhsa_user_sgpr_count 2
		.amdhsa_user_sgpr_dispatch_ptr 0
		.amdhsa_user_sgpr_queue_ptr 0
		.amdhsa_user_sgpr_kernarg_segment_ptr 1
		.amdhsa_user_sgpr_dispatch_id 0
		.amdhsa_user_sgpr_private_segment_size 0
		.amdhsa_wavefront_size32 1
		.amdhsa_uses_dynamic_stack 0
		.amdhsa_enable_private_segment 0
		.amdhsa_system_sgpr_workgroup_id_x 1
		.amdhsa_system_sgpr_workgroup_id_y 1
		.amdhsa_system_sgpr_workgroup_id_z 1
		.amdhsa_system_sgpr_workgroup_info 0
		.amdhsa_system_vgpr_workitem_id 1
		.amdhsa_next_free_vgpr 52
		.amdhsa_next_free_sgpr 38
		.amdhsa_reserve_vcc 1
		.amdhsa_float_round_mode_32 0
		.amdhsa_float_round_mode_16_64 0
		.amdhsa_float_denorm_mode_32 3
		.amdhsa_float_denorm_mode_16_64 3
		.amdhsa_fp16_overflow 0
		.amdhsa_workgroup_processor_mode 1
		.amdhsa_memory_ordered 1
		.amdhsa_forward_progress 1
		.amdhsa_inst_pref_size 32
		.amdhsa_round_robin_scheduling 0
		.amdhsa_exception_fp_ieee_invalid_op 0
		.amdhsa_exception_fp_denorm_src 0
		.amdhsa_exception_fp_ieee_div_zero 0
		.amdhsa_exception_fp_ieee_overflow 0
		.amdhsa_exception_fp_ieee_underflow 0
		.amdhsa_exception_fp_ieee_inexact 0
		.amdhsa_exception_int_div_zero 0
	.end_amdhsa_kernel
	.section	.text._ZL13mul_mat_vec_qIL9ggml_type29ELi1ELb1ELb0EEvPKvS2_PKi31ggml_cuda_mm_fusion_args_devicePfj15HIP_vector_typeIjLj3EEjjjS8_jjjS8_jjjj,"axG",@progbits,_ZL13mul_mat_vec_qIL9ggml_type29ELi1ELb1ELb0EEvPKvS2_PKi31ggml_cuda_mm_fusion_args_devicePfj15HIP_vector_typeIjLj3EEjjjS8_jjjS8_jjjj,comdat
.Lfunc_end219:
	.size	_ZL13mul_mat_vec_qIL9ggml_type29ELi1ELb1ELb0EEvPKvS2_PKi31ggml_cuda_mm_fusion_args_devicePfj15HIP_vector_typeIjLj3EEjjjS8_jjjS8_jjjj, .Lfunc_end219-_ZL13mul_mat_vec_qIL9ggml_type29ELi1ELb1ELb0EEvPKvS2_PKi31ggml_cuda_mm_fusion_args_devicePfj15HIP_vector_typeIjLj3EEjjjS8_jjjS8_jjjj
                                        ; -- End function
	.set _ZL13mul_mat_vec_qIL9ggml_type29ELi1ELb1ELb0EEvPKvS2_PKi31ggml_cuda_mm_fusion_args_devicePfj15HIP_vector_typeIjLj3EEjjjS8_jjjS8_jjjj.num_vgpr, 52
	.set _ZL13mul_mat_vec_qIL9ggml_type29ELi1ELb1ELb0EEvPKvS2_PKi31ggml_cuda_mm_fusion_args_devicePfj15HIP_vector_typeIjLj3EEjjjS8_jjjS8_jjjj.num_agpr, 0
	.set _ZL13mul_mat_vec_qIL9ggml_type29ELi1ELb1ELb0EEvPKvS2_PKi31ggml_cuda_mm_fusion_args_devicePfj15HIP_vector_typeIjLj3EEjjjS8_jjjS8_jjjj.numbered_sgpr, 38
	.set _ZL13mul_mat_vec_qIL9ggml_type29ELi1ELb1ELb0EEvPKvS2_PKi31ggml_cuda_mm_fusion_args_devicePfj15HIP_vector_typeIjLj3EEjjjS8_jjjS8_jjjj.num_named_barrier, 0
	.set _ZL13mul_mat_vec_qIL9ggml_type29ELi1ELb1ELb0EEvPKvS2_PKi31ggml_cuda_mm_fusion_args_devicePfj15HIP_vector_typeIjLj3EEjjjS8_jjjS8_jjjj.private_seg_size, 0
	.set _ZL13mul_mat_vec_qIL9ggml_type29ELi1ELb1ELb0EEvPKvS2_PKi31ggml_cuda_mm_fusion_args_devicePfj15HIP_vector_typeIjLj3EEjjjS8_jjjS8_jjjj.uses_vcc, 1
	.set _ZL13mul_mat_vec_qIL9ggml_type29ELi1ELb1ELb0EEvPKvS2_PKi31ggml_cuda_mm_fusion_args_devicePfj15HIP_vector_typeIjLj3EEjjjS8_jjjS8_jjjj.uses_flat_scratch, 0
	.set _ZL13mul_mat_vec_qIL9ggml_type29ELi1ELb1ELb0EEvPKvS2_PKi31ggml_cuda_mm_fusion_args_devicePfj15HIP_vector_typeIjLj3EEjjjS8_jjjS8_jjjj.has_dyn_sized_stack, 0
	.set _ZL13mul_mat_vec_qIL9ggml_type29ELi1ELb1ELb0EEvPKvS2_PKi31ggml_cuda_mm_fusion_args_devicePfj15HIP_vector_typeIjLj3EEjjjS8_jjjS8_jjjj.has_recursion, 0
	.set _ZL13mul_mat_vec_qIL9ggml_type29ELi1ELb1ELb0EEvPKvS2_PKi31ggml_cuda_mm_fusion_args_devicePfj15HIP_vector_typeIjLj3EEjjjS8_jjjS8_jjjj.has_indirect_call, 0
	.section	.AMDGPU.csdata,"",@progbits
; Kernel info:
; codeLenInByte = 4012
; TotalNumSgprs: 40
; NumVgprs: 52
; ScratchSize: 0
; MemoryBound: 0
; FloatMode: 240
; IeeeMode: 1
; LDSByteSize: 0 bytes/workgroup (compile time only)
; SGPRBlocks: 0
; VGPRBlocks: 6
; NumSGPRsForWavesPerEU: 40
; NumVGPRsForWavesPerEU: 52
; Occupancy: 16
; WaveLimiterHint : 0
; COMPUTE_PGM_RSRC2:SCRATCH_EN: 0
; COMPUTE_PGM_RSRC2:USER_SGPR: 2
; COMPUTE_PGM_RSRC2:TRAP_HANDLER: 0
; COMPUTE_PGM_RSRC2:TGID_X_EN: 1
; COMPUTE_PGM_RSRC2:TGID_Y_EN: 1
; COMPUTE_PGM_RSRC2:TGID_Z_EN: 1
; COMPUTE_PGM_RSRC2:TIDIG_COMP_CNT: 1
	.section	.text._ZL13mul_mat_vec_qIL9ggml_type29ELi1ELb0ELb0EEvPKvS2_PKi31ggml_cuda_mm_fusion_args_devicePfj15HIP_vector_typeIjLj3EEjjjS8_jjjS8_jjjj,"axG",@progbits,_ZL13mul_mat_vec_qIL9ggml_type29ELi1ELb0ELb0EEvPKvS2_PKi31ggml_cuda_mm_fusion_args_devicePfj15HIP_vector_typeIjLj3EEjjjS8_jjjS8_jjjj,comdat
	.globl	_ZL13mul_mat_vec_qIL9ggml_type29ELi1ELb0ELb0EEvPKvS2_PKi31ggml_cuda_mm_fusion_args_devicePfj15HIP_vector_typeIjLj3EEjjjS8_jjjS8_jjjj ; -- Begin function _ZL13mul_mat_vec_qIL9ggml_type29ELi1ELb0ELb0EEvPKvS2_PKi31ggml_cuda_mm_fusion_args_devicePfj15HIP_vector_typeIjLj3EEjjjS8_jjjS8_jjjj
	.p2align	8
	.type	_ZL13mul_mat_vec_qIL9ggml_type29ELi1ELb0ELb0EEvPKvS2_PKi31ggml_cuda_mm_fusion_args_devicePfj15HIP_vector_typeIjLj3EEjjjS8_jjjS8_jjjj,@function
_ZL13mul_mat_vec_qIL9ggml_type29ELi1ELb0ELb0EEvPKvS2_PKi31ggml_cuda_mm_fusion_args_devicePfj15HIP_vector_typeIjLj3EEjjjS8_jjjS8_jjjj: ; @_ZL13mul_mat_vec_qIL9ggml_type29ELi1ELb0ELb0EEvPKvS2_PKi31ggml_cuda_mm_fusion_args_devicePfj15HIP_vector_typeIjLj3EEjjjS8_jjjS8_jjjj
; %bb.0:
	s_clause 0x1
	s_load_b64 s[2:3], s[0:1], 0x10
	s_load_b128 s[8:11], s[0:1], 0x40
	s_and_b32 s15, ttmp7, 0xffff
	s_wait_kmcnt 0x0
	s_cmp_lg_u64 s[2:3], 0
	s_cselect_b32 s12, -1, 0
	s_cmp_eq_u64 s[2:3], 0
	s_cbranch_scc1 .LBB220_13
; %bb.1:
	s_lshl_b32 s4, s15, 2
	s_load_b32 s19, s[2:3], s4 offset:0x0
	s_clause 0x1
	s_load_b128 s[4:7], s[0:1], 0x68
	s_load_b32 s20, s[0:1], 0x50
	s_cbranch_execnz .LBB220_3
.LBB220_2:
	s_load_b64 s[2:3], s[0:1], 0x5c
	s_wait_kmcnt 0x0
	s_mul_hi_u32 s2, s2, s15
	s_delay_alu instid0(SALU_CYCLE_1) | instskip(NEXT) | instid1(SALU_CYCLE_1)
	s_add_co_i32 s2, s15, s2
	s_lshr_b32 s19, s2, s3
.LBB220_3:
	s_load_b32 s21, s[0:1], 0x78
	s_and_not1_b32 vcc_lo, exec_lo, s12
	s_mov_b32 s2, s15
	s_cbranch_vccnz .LBB220_5
; %bb.4:
	s_mul_hi_u32 s2, s9, s15
	s_delay_alu instid0(SALU_CYCLE_1) | instskip(NEXT) | instid1(SALU_CYCLE_1)
	s_add_co_i32 s2, s15, s2
	s_lshr_b32 s2, s2, s10
	s_delay_alu instid0(SALU_CYCLE_1) | instskip(NEXT) | instid1(SALU_CYCLE_1)
	s_mul_i32 s2, s2, s11
	s_sub_co_i32 s2, s15, s2
.LBB220_5:
	s_load_b96 s[12:14], s[0:1], 0x80
	v_bfe_u32 v3, v0, 10, 10
	v_and_b32_e32 v2, 0x3ff, v0
	v_mov_b32_e32 v4, 0
	s_lshr_b32 s18, s8, 8
	s_lshr_b32 s16, ttmp7, 16
	s_mov_b32 s17, exec_lo
	v_lshl_or_b32 v0, v3, 5, v2
	s_delay_alu instid0(VALU_DEP_1) | instskip(NEXT) | instid1(VALU_DEP_1)
	v_lshrrev_b32_e32 v5, 3, v0
	v_cmpx_gt_u32_e64 s18, v5
	s_cbranch_execz .LBB220_9
; %bb.6:
	v_lshrrev_b32_e32 v0, 3, v0
	s_wait_kmcnt 0x0
	s_mul_i32 s2, s2, s5
	s_mov_b32 s3, 0
	v_and_b32_e32 v8, 7, v2
	s_mul_u64 s[8:9], s[2:3], 36
	s_mul_i32 s2, s13, s16
	v_mad_co_u64_u32 v[0:1], null, 0x120, v0, s[8:9]
	s_load_b128 s[8:11], s[0:1], 0x0
	v_dual_mov_b32 v4, 0 :: v_dual_and_b32 v7, 1, v2
	v_bfe_u32 v9, v2, 1, 2
	s_mul_i32 s20, s20, ttmp9
	v_lshlrev_b32_e32 v6, 1, v8
	v_mad_co_u64_u32 v[0:1], null, s2, 36, v[0:1]
	v_cmp_eq_u32_e32 vcc_lo, 1, v7
	s_mul_hi_u32 s2, s7, s16
	v_lshlrev_b32_e32 v9, 1, v9
	s_wait_alu 0xfffe
	s_add_co_i32 s2, s16, s2
	s_mul_i32 s4, s19, s4
	v_cndmask_b32_e64 v7, 0, 6, vcc_lo
	v_mad_co_u64_u32 v[0:1], null, v8, 36, v[0:1]
	s_wait_alu 0xfffe
	s_lshr_b32 s2, s2, s21
	v_lshlrev_b32_e32 v8, 2, v8
	s_wait_alu 0xfffe
	s_mul_i32 s2, s2, s12
	s_mov_b32 s5, 0xbd000000
	s_wait_alu 0xfffe
	s_add_co_i32 s2, s2, s20
	s_wait_kmcnt 0x0
	v_add_co_u32 v0, vcc_lo, s10, v0
	s_wait_alu 0xfffd
	v_add_co_ci_u32_e64 v1, null, s11, v1, vcc_lo
	s_wait_alu 0xfffe
	s_add_co_i32 s4, s4, s2
	v_add_co_u32 v0, vcc_lo, v0, 32
	s_wait_alu 0xfffd
	v_add_co_ci_u32_e64 v1, null, 0, v1, vcc_lo
.LBB220_7:                              ; =>This Inner Loop Header: Depth=1
	v_add_nc_u32_e32 v10, s4, v5
	s_getpc_b64 s[10:11]
	s_wait_alu 0xfffe
	s_sext_i32_i16 s11, s11
	s_add_co_u32 s10, s10, _ZL13iq1s_grid_gpu@rel32@lo+12
	s_wait_alu 0xfffe
	s_add_co_ci_u32 s11, s11, _ZL13iq1s_grid_gpu@rel32@hi+24
	v_add_nc_u32_e32 v5, 4, v5
	v_mad_co_i64_i32 v[18:19], null, v10, 56, s[8:9]
	s_delay_alu instid0(VALU_DEP_2)
	v_cmp_le_u32_e64 s2, s18, v5
	s_or_b32 s3, s2, s3
	v_add_co_u32 v10, vcc_lo, v18, v8
	s_wait_alu 0xfffd
	v_add_co_ci_u32_e64 v11, null, 0, v19, vcc_lo
	v_add_co_u32 v12, vcc_lo, v18, v6
	s_wait_alu 0xfffd
	v_add_co_ci_u32_e64 v13, null, 0, v19, vcc_lo
	;; [unrolled: 3-line block ×3, first 2 shown]
	s_clause 0x2
	global_load_b32 v20, v[10:11], off
	global_load_u16 v21, v[12:13], off offset:32
	global_load_u16 v22, v[14:15], off offset:48
	s_clause 0x1
	global_load_b128 v[10:13], v[0:1], off offset:-32
	global_load_b128 v[14:17], v[0:1], off offset:-16
	global_load_b64 v[18:19], v[18:19], off offset:48
	s_wait_loadcnt 0x5
	v_and_b32_e32 v23, 0xff, v20
	s_wait_loadcnt 0x4
	v_lshrrev_b16 v24, 8, v21
	v_lshlrev_b32_e32 v26, 8, v21
	s_wait_loadcnt 0x2
	v_cvt_f32_f16_e32 v10, v10
	v_dot4_i32_iu8 v30, v11, 0x1010101, 0 neg_lo:[1,1,0]
	v_bfe_u32 v33, v21, 4, 4
	v_and_b32_e32 v29, 0xffff, v24
	v_and_b32_e32 v24, 8, v24
	v_dot4_i32_iu8 v31, v13, 0x1010101, 0 neg_lo:[1,1,0]
	v_dot4_i32_iu8 v30, v12, 0x1010101, v30 neg_lo:[1,1,0]
	v_and_b32_e32 v33, 8, v33
	v_bfe_u32 v25, v20, 8, 8
	v_cvt_f32_ubyte0_e32 v24, v24
	v_lshlrev_b32_e32 v27, 4, v21
	v_and_b32_e32 v21, 8, v21
	v_and_or_b32 v23, 0x700, v26, v23
	v_lshrrev_b32_e32 v26, 4, v29
	s_wait_loadcnt 0x1
	v_dot4_i32_iu8 v31, v14, 0x1010101, v31 neg_lo:[1,1,0]
	v_cvt_f32_i32_e32 v30, v30
	v_cvt_f32_ubyte0_e32 v21, v21
	v_cvt_f32_ubyte0_e32 v33, v33
	v_bfe_u32 v28, v20, 16, 8
	v_fmaak_f32 v24, s5, v24, 0xbf600000
	v_and_or_b32 v25, 0x700, v27, v25
	v_fmaak_f32 v21, s5, v21, 0xbf600000
	v_lshlrev_b32_e32 v27, 8, v29
	v_lshlrev_b32_e32 v23, 2, v23
	v_alignbit_b32 v20, v26, v20, 24
	v_cvt_f32_i32_e32 v31, v31
	v_fma_f32 v21, v21, v30, 0
	v_fmaak_f32 v30, s5, v33, 0xbf600000
	v_and_or_b32 v27, 0x700, v27, v28
	v_lshlrev_b32_e32 v25, 2, v25
	s_clause 0x1
	global_load_b32 v23, v23, s[10:11]
	global_load_b32 v25, v25, s[10:11]
	v_dual_fmac_f32 v21, v30, v31 :: v_dual_and_b32 v20, 0x7ff, v20
	v_lshlrev_b32_e32 v27, 2, v27
	v_dot4_i32_iu8 v32, v17, 0x1010101, 0 neg_lo:[1,1,0]
	s_wait_loadcnt 0x2
	v_pk_lshrrev_b16 v18, 0x8000c, v18
	v_dot4_i32_iu8 v29, v15, 0x1010101, 0 neg_lo:[1,1,0]
	v_lshlrev_b32_e32 v20, 2, v20
	s_clause 0x1
	global_load_b32 v27, v27, s[10:11]
	global_load_b32 v20, v20, s[10:11]
	global_load_b32 v28, v[0:1], off
	v_lshrrev_b32_e32 v34, 16, v18
	v_dot4_i32_iu8 v29, v16, 0x1010101, v29 neg_lo:[1,1,0]
	v_pk_lshrrev_b16 v19, 4, v19
	v_and_b32_e32 v26, 8, v26
	v_lshrrev_b32_e32 v22, v7, v22
	v_add_co_u32 v0, vcc_lo, 0x480, v0
	v_cvt_f32_i32_e32 v29, v29
	v_and_b32_e32 v19, 0xf0000f00, v19
	s_delay_alu instid0(VALU_DEP_4)
	v_lshlrev_b32_e32 v35, 1, v22
	v_lshrrev_b32_e32 v22, 2, v22
	s_wait_alu 0xfffd
	v_add_co_ci_u32_e64 v1, null, 0, v1, vcc_lo
	v_lshrrev_b32_e32 v36, 16, v19
	v_and_b32_e32 v35, 14, v35
	v_and_b32_e32 v22, 14, v22
	s_delay_alu instid0(VALU_DEP_2) | instskip(NEXT) | instid1(VALU_DEP_2)
	v_or_b32_e32 v33, 1, v35
	v_or_b32_e32 v22, 1, v22
	s_wait_loadcnt 0x0
	v_dot4_i32_iu8 v32, v28, 0x1010101, v32 neg_lo:[1,1,0]
	s_delay_alu instid0(VALU_DEP_1) | instskip(SKIP_1) | instid1(VALU_DEP_1)
	v_cvt_f32_i32_e32 v32, v32
	v_and_b32_e32 v34, 0xf0, v34
	v_or_b32_e32 v18, v34, v18
	v_and_b32_e32 v34, 0xf0f0f0f, v25
	s_delay_alu instid0(VALU_DEP_2)
	v_or_b32_e32 v18, v18, v19
	v_fma_f32 v19, v24, v29, 0
	v_lshrrev_b32_e32 v29, 4, v27
	v_and_b32_e32 v27, 0xf0f0f0f, v27
	v_cvt_f32_ubyte0_e32 v24, v26
	v_and_b32_e32 v26, 0xf0f0f0f, v23
	v_lshrrev_b32_e32 v23, 4, v23
	v_and_b32_e32 v29, 0xf0f0f0f, v29
	v_dot4_i32_iu8 v15, v27, v15, 0 neg_lo:[1,1,0]
	s_delay_alu instid0(VALU_DEP_4) | instskip(NEXT) | instid1(VALU_DEP_4)
	v_dot4_i32_iu8 v11, v26, v11, 0 neg_lo:[1,1,0]
	v_and_b32_e32 v23, 0xf0f0f0f, v23
	v_and_b32_e32 v26, 0xf0f0f0f, v20
	v_lshrrev_b32_e32 v20, 4, v20
	v_dot4_i32_iu8 v15, v29, v16, v15 neg_lo:[1,1,0]
	v_lshrrev_b32_e32 v16, 4, v25
	v_dot4_i32_iu8 v11, v23, v12, v11 neg_lo:[1,1,0]
	s_delay_alu instid0(VALU_DEP_4) | instskip(NEXT) | instid1(VALU_DEP_4)
	v_and_b32_e32 v12, 0xf0f0f0f, v20
	v_dot4_i32_iu8 v15, v26, v17, v15 neg_lo:[1,1,0]
	v_fmaak_f32 v17, s5, v24, 0xbf600000
	v_and_b32_e32 v16, 0xf0f0f0f, v16
	v_dot4_i32_iu8 v11, v34, v13, v11 neg_lo:[1,1,0]
	v_cvt_f32_ubyte0_e32 v13, v22
	v_dot4_i32_iu8 v12, v12, v28, v15 neg_lo:[1,1,0]
	v_fmac_f32_e32 v19, v17, v32
	v_cvt_f32_ubyte0_e32 v15, v33
	v_dot4_i32_iu8 v11, v16, v14, v11 neg_lo:[1,1,0]
	v_or_b32_e32 v14, v18, v36
	v_cvt_f32_i32_e32 v12, v12
	s_delay_alu instid0(VALU_DEP_3) | instskip(NEXT) | instid1(VALU_DEP_3)
	v_cvt_f32_i32_e32 v11, v11
	v_cvt_f32_f16_e32 v14, v14
	s_delay_alu instid0(VALU_DEP_2) | instskip(NEXT) | instid1(VALU_DEP_2)
	v_dual_add_f32 v12, v19, v12 :: v_dual_add_f32 v11, v21, v11
	v_mul_f32_e32 v10, v10, v14
	s_delay_alu instid0(VALU_DEP_2) | instskip(NEXT) | instid1(VALU_DEP_1)
	v_mul_f32_e32 v12, v12, v13
	v_fmac_f32_e32 v12, v11, v15
	s_delay_alu instid0(VALU_DEP_1)
	v_fmac_f32_e32 v4, v10, v12
	s_wait_alu 0xfffe
	s_and_not1_b32 exec_lo, exec_lo, s3
	s_cbranch_execnz .LBB220_7
; %bb.8:
	s_or_b32 exec_lo, exec_lo, s3
.LBB220_9:
	s_delay_alu instid0(SALU_CYCLE_1)
	s_or_b32 exec_lo, exec_lo, s17
	; wave barrier
	global_inv scope:SCOPE_SE
	s_mov_b32 s2, exec_lo
	v_cmpx_eq_u32_e32 0, v3
	s_cbranch_execz .LBB220_12
; %bb.10:
	v_mbcnt_lo_u32_b32 v0, -1, 0
	s_delay_alu instid0(VALU_DEP_1) | instskip(SKIP_1) | instid1(VALU_DEP_2)
	v_xor_b32_e32 v1, 16, v0
	v_xor_b32_e32 v3, 8, v0
	v_cmp_gt_i32_e32 vcc_lo, 32, v1
	s_wait_alu 0xfffd
	v_cndmask_b32_e32 v1, v0, v1, vcc_lo
	s_delay_alu instid0(VALU_DEP_3) | instskip(NEXT) | instid1(VALU_DEP_2)
	v_cmp_gt_i32_e32 vcc_lo, 32, v3
	v_lshlrev_b32_e32 v1, 2, v1
	s_wait_alu 0xfffd
	v_cndmask_b32_e32 v3, v0, v3, vcc_lo
	ds_bpermute_b32 v1, v1, v4
	v_lshlrev_b32_e32 v3, 2, v3
	s_wait_dscnt 0x0
	v_add_f32_e32 v1, v4, v1
	v_xor_b32_e32 v4, 4, v0
	ds_bpermute_b32 v3, v3, v1
	v_cmp_gt_i32_e32 vcc_lo, 32, v4
	s_wait_alu 0xfffd
	v_cndmask_b32_e32 v4, v0, v4, vcc_lo
	s_wait_dscnt 0x0
	s_delay_alu instid0(VALU_DEP_1) | instskip(SKIP_2) | instid1(VALU_DEP_1)
	v_dual_add_f32 v1, v1, v3 :: v_dual_lshlrev_b32 v4, 2, v4
	ds_bpermute_b32 v3, v4, v1
	v_xor_b32_e32 v4, 2, v0
	v_cmp_gt_i32_e32 vcc_lo, 32, v4
	s_wait_alu 0xfffd
	v_cndmask_b32_e32 v4, v0, v4, vcc_lo
	s_wait_dscnt 0x0
	s_delay_alu instid0(VALU_DEP_1) | instskip(SKIP_2) | instid1(VALU_DEP_1)
	v_dual_add_f32 v1, v1, v3 :: v_dual_lshlrev_b32 v4, 2, v4
	ds_bpermute_b32 v3, v4, v1
	v_xor_b32_e32 v4, 1, v0
	v_cmp_gt_i32_e32 vcc_lo, 32, v4
	s_wait_alu 0xfffd
	v_cndmask_b32_e32 v0, v0, v4, vcc_lo
	v_cmp_eq_u32_e32 vcc_lo, 0, v2
	s_delay_alu instid0(VALU_DEP_2)
	v_lshlrev_b32_e32 v4, 2, v0
	s_wait_dscnt 0x0
	v_add_f32_e32 v0, v1, v3
	ds_bpermute_b32 v1, v4, v0
	s_and_b32 exec_lo, exec_lo, vcc_lo
	s_cbranch_execz .LBB220_12
; %bb.11:
	s_load_b64 s[0:1], s[0:1], 0x38
	s_wait_kmcnt 0x0
	s_mul_i32 s2, s6, s15
	s_mul_i32 s3, s14, s16
	s_wait_alu 0xfffe
	s_add_co_i32 s2, s2, ttmp9
	s_wait_dscnt 0x0
	v_dual_add_f32 v0, v0, v1 :: v_dual_mov_b32 v1, 0
	s_wait_alu 0xfffe
	s_add_co_i32 s2, s2, s3
	s_mov_b32 s3, 0
	s_wait_alu 0xfffe
	s_lshl_b64 s[2:3], s[2:3], 2
	s_wait_alu 0xfffe
	s_add_nc_u64 s[0:1], s[0:1], s[2:3]
	global_store_b32 v1, v0, s[0:1]
.LBB220_12:
	s_endpgm
.LBB220_13:
                                        ; implicit-def: $sgpr19
	s_clause 0x1
	s_load_b128 s[4:7], s[0:1], 0x68
	s_load_b32 s20, s[0:1], 0x50
	s_branch .LBB220_2
	.section	.rodata,"a",@progbits
	.p2align	6, 0x0
	.amdhsa_kernel _ZL13mul_mat_vec_qIL9ggml_type29ELi1ELb0ELb0EEvPKvS2_PKi31ggml_cuda_mm_fusion_args_devicePfj15HIP_vector_typeIjLj3EEjjjS8_jjjS8_jjjj
		.amdhsa_group_segment_fixed_size 0
		.amdhsa_private_segment_fixed_size 0
		.amdhsa_kernarg_size 144
		.amdhsa_user_sgpr_count 2
		.amdhsa_user_sgpr_dispatch_ptr 0
		.amdhsa_user_sgpr_queue_ptr 0
		.amdhsa_user_sgpr_kernarg_segment_ptr 1
		.amdhsa_user_sgpr_dispatch_id 0
		.amdhsa_user_sgpr_private_segment_size 0
		.amdhsa_wavefront_size32 1
		.amdhsa_uses_dynamic_stack 0
		.amdhsa_enable_private_segment 0
		.amdhsa_system_sgpr_workgroup_id_x 1
		.amdhsa_system_sgpr_workgroup_id_y 1
		.amdhsa_system_sgpr_workgroup_id_z 1
		.amdhsa_system_sgpr_workgroup_info 0
		.amdhsa_system_vgpr_workitem_id 1
		.amdhsa_next_free_vgpr 37
		.amdhsa_next_free_sgpr 22
		.amdhsa_reserve_vcc 1
		.amdhsa_float_round_mode_32 0
		.amdhsa_float_round_mode_16_64 0
		.amdhsa_float_denorm_mode_32 3
		.amdhsa_float_denorm_mode_16_64 3
		.amdhsa_fp16_overflow 0
		.amdhsa_workgroup_processor_mode 1
		.amdhsa_memory_ordered 1
		.amdhsa_forward_progress 1
		.amdhsa_inst_pref_size 14
		.amdhsa_round_robin_scheduling 0
		.amdhsa_exception_fp_ieee_invalid_op 0
		.amdhsa_exception_fp_denorm_src 0
		.amdhsa_exception_fp_ieee_div_zero 0
		.amdhsa_exception_fp_ieee_overflow 0
		.amdhsa_exception_fp_ieee_underflow 0
		.amdhsa_exception_fp_ieee_inexact 0
		.amdhsa_exception_int_div_zero 0
	.end_amdhsa_kernel
	.section	.text._ZL13mul_mat_vec_qIL9ggml_type29ELi1ELb0ELb0EEvPKvS2_PKi31ggml_cuda_mm_fusion_args_devicePfj15HIP_vector_typeIjLj3EEjjjS8_jjjS8_jjjj,"axG",@progbits,_ZL13mul_mat_vec_qIL9ggml_type29ELi1ELb0ELb0EEvPKvS2_PKi31ggml_cuda_mm_fusion_args_devicePfj15HIP_vector_typeIjLj3EEjjjS8_jjjS8_jjjj,comdat
.Lfunc_end220:
	.size	_ZL13mul_mat_vec_qIL9ggml_type29ELi1ELb0ELb0EEvPKvS2_PKi31ggml_cuda_mm_fusion_args_devicePfj15HIP_vector_typeIjLj3EEjjjS8_jjjS8_jjjj, .Lfunc_end220-_ZL13mul_mat_vec_qIL9ggml_type29ELi1ELb0ELb0EEvPKvS2_PKi31ggml_cuda_mm_fusion_args_devicePfj15HIP_vector_typeIjLj3EEjjjS8_jjjS8_jjjj
                                        ; -- End function
	.set _ZL13mul_mat_vec_qIL9ggml_type29ELi1ELb0ELb0EEvPKvS2_PKi31ggml_cuda_mm_fusion_args_devicePfj15HIP_vector_typeIjLj3EEjjjS8_jjjS8_jjjj.num_vgpr, 37
	.set _ZL13mul_mat_vec_qIL9ggml_type29ELi1ELb0ELb0EEvPKvS2_PKi31ggml_cuda_mm_fusion_args_devicePfj15HIP_vector_typeIjLj3EEjjjS8_jjjS8_jjjj.num_agpr, 0
	.set _ZL13mul_mat_vec_qIL9ggml_type29ELi1ELb0ELb0EEvPKvS2_PKi31ggml_cuda_mm_fusion_args_devicePfj15HIP_vector_typeIjLj3EEjjjS8_jjjS8_jjjj.numbered_sgpr, 22
	.set _ZL13mul_mat_vec_qIL9ggml_type29ELi1ELb0ELb0EEvPKvS2_PKi31ggml_cuda_mm_fusion_args_devicePfj15HIP_vector_typeIjLj3EEjjjS8_jjjS8_jjjj.num_named_barrier, 0
	.set _ZL13mul_mat_vec_qIL9ggml_type29ELi1ELb0ELb0EEvPKvS2_PKi31ggml_cuda_mm_fusion_args_devicePfj15HIP_vector_typeIjLj3EEjjjS8_jjjS8_jjjj.private_seg_size, 0
	.set _ZL13mul_mat_vec_qIL9ggml_type29ELi1ELb0ELb0EEvPKvS2_PKi31ggml_cuda_mm_fusion_args_devicePfj15HIP_vector_typeIjLj3EEjjjS8_jjjS8_jjjj.uses_vcc, 1
	.set _ZL13mul_mat_vec_qIL9ggml_type29ELi1ELb0ELb0EEvPKvS2_PKi31ggml_cuda_mm_fusion_args_devicePfj15HIP_vector_typeIjLj3EEjjjS8_jjjS8_jjjj.uses_flat_scratch, 0
	.set _ZL13mul_mat_vec_qIL9ggml_type29ELi1ELb0ELb0EEvPKvS2_PKi31ggml_cuda_mm_fusion_args_devicePfj15HIP_vector_typeIjLj3EEjjjS8_jjjS8_jjjj.has_dyn_sized_stack, 0
	.set _ZL13mul_mat_vec_qIL9ggml_type29ELi1ELb0ELb0EEvPKvS2_PKi31ggml_cuda_mm_fusion_args_devicePfj15HIP_vector_typeIjLj3EEjjjS8_jjjS8_jjjj.has_recursion, 0
	.set _ZL13mul_mat_vec_qIL9ggml_type29ELi1ELb0ELb0EEvPKvS2_PKi31ggml_cuda_mm_fusion_args_devicePfj15HIP_vector_typeIjLj3EEjjjS8_jjjS8_jjjj.has_indirect_call, 0
	.section	.AMDGPU.csdata,"",@progbits
; Kernel info:
; codeLenInByte = 1772
; TotalNumSgprs: 24
; NumVgprs: 37
; ScratchSize: 0
; MemoryBound: 0
; FloatMode: 240
; IeeeMode: 1
; LDSByteSize: 0 bytes/workgroup (compile time only)
; SGPRBlocks: 0
; VGPRBlocks: 4
; NumSGPRsForWavesPerEU: 24
; NumVGPRsForWavesPerEU: 37
; Occupancy: 16
; WaveLimiterHint : 0
; COMPUTE_PGM_RSRC2:SCRATCH_EN: 0
; COMPUTE_PGM_RSRC2:USER_SGPR: 2
; COMPUTE_PGM_RSRC2:TRAP_HANDLER: 0
; COMPUTE_PGM_RSRC2:TGID_X_EN: 1
; COMPUTE_PGM_RSRC2:TGID_Y_EN: 1
; COMPUTE_PGM_RSRC2:TGID_Z_EN: 1
; COMPUTE_PGM_RSRC2:TIDIG_COMP_CNT: 1
	.section	.text._ZL13mul_mat_vec_qIL9ggml_type29ELi2ELb0ELb0EEvPKvS2_PKi31ggml_cuda_mm_fusion_args_devicePfj15HIP_vector_typeIjLj3EEjjjS8_jjjS8_jjjj,"axG",@progbits,_ZL13mul_mat_vec_qIL9ggml_type29ELi2ELb0ELb0EEvPKvS2_PKi31ggml_cuda_mm_fusion_args_devicePfj15HIP_vector_typeIjLj3EEjjjS8_jjjS8_jjjj,comdat
	.globl	_ZL13mul_mat_vec_qIL9ggml_type29ELi2ELb0ELb0EEvPKvS2_PKi31ggml_cuda_mm_fusion_args_devicePfj15HIP_vector_typeIjLj3EEjjjS8_jjjS8_jjjj ; -- Begin function _ZL13mul_mat_vec_qIL9ggml_type29ELi2ELb0ELb0EEvPKvS2_PKi31ggml_cuda_mm_fusion_args_devicePfj15HIP_vector_typeIjLj3EEjjjS8_jjjS8_jjjj
	.p2align	8
	.type	_ZL13mul_mat_vec_qIL9ggml_type29ELi2ELb0ELb0EEvPKvS2_PKi31ggml_cuda_mm_fusion_args_devicePfj15HIP_vector_typeIjLj3EEjjjS8_jjjS8_jjjj,@function
_ZL13mul_mat_vec_qIL9ggml_type29ELi2ELb0ELb0EEvPKvS2_PKi31ggml_cuda_mm_fusion_args_devicePfj15HIP_vector_typeIjLj3EEjjjS8_jjjS8_jjjj: ; @_ZL13mul_mat_vec_qIL9ggml_type29ELi2ELb0ELb0EEvPKvS2_PKi31ggml_cuda_mm_fusion_args_devicePfj15HIP_vector_typeIjLj3EEjjjS8_jjjS8_jjjj
; %bb.0:
	s_clause 0x5
	s_load_b96 s[16:18], s[0:1], 0x80
	s_load_b32 s2, s[0:1], 0x40
	s_load_b128 s[4:7], s[0:1], 0x50
	s_load_b32 s23, s[0:1], 0x60
	s_load_b128 s[8:11], s[0:1], 0x68
	s_load_b32 s24, s[0:1], 0x78
	v_bfe_u32 v5, v0, 10, 10
	v_and_b32_e32 v4, 0x3ff, v0
	v_mov_b32_e32 v6, 0
	v_mov_b32_e32 v8, 0
	s_and_b32 s19, ttmp7, 0xffff
	s_lshr_b32 s20, ttmp7, 16
	v_lshl_or_b32 v0, v5, 5, v4
	s_mov_b32 s22, exec_lo
	s_delay_alu instid0(VALU_DEP_1)
	v_lshrrev_b32_e32 v7, 3, v0
	s_wait_kmcnt 0x0
	s_lshr_b32 s21, s2, 8
	s_delay_alu instid0(VALU_DEP_1) | instid1(SALU_CYCLE_1)
	v_cmpx_gt_u32_e64 s21, v7
	s_cbranch_execz .LBB221_4
; %bb.1:
	v_lshl_add_u32 v0, v5, 5, v4
	s_mov_b32 s3, 0
	s_mul_i32 s26, s9, s19
	s_mov_b32 s27, s3
	s_load_b128 s[12:15], s[0:1], 0x0
	v_lshrrev_b32_e32 v0, 3, v0
	s_mul_u64 s[26:27], s[26:27], 36
	s_mul_i32 s2, s17, s20
	v_and_b32_e32 v6, 7, v4
	v_and_b32_e32 v10, 1, v4
	v_mad_co_u64_u32 v[0:1], null, 0x120, v0, s[26:27]
	s_mul_hi_u32 s7, s7, s19
	s_mul_hi_u32 s9, s11, s20
	v_cmp_eq_u32_e32 vcc_lo, 1, v10
	s_add_co_i32 s7, s19, s7
	s_mul_u64 s[28:29], s[2:3], 36
	s_add_co_i32 s9, s20, s9
	v_mad_co_u64_u32 v[0:1], null, s2, 36, v[0:1]
	s_lshr_b32 s7, s7, s23
	s_lshr_b32 s11, s9, s24
	s_mul_i32 s7, s7, s8
	v_cndmask_b32_e64 v10, 0, 6, vcc_lo
	s_wait_kmcnt 0x0
	s_add_nc_u64 s[8:9], s[14:15], s[28:29]
	v_bfe_u32 v13, v4, 1, 2
	v_mad_co_u64_u32 v[2:3], null, v6, 36, v[0:1]
	s_add_nc_u64 s[8:9], s[8:9], s[26:27]
	s_mul_i32 s4, s4, ttmp9
	v_mad_co_u64_u32 v[0:1], null, v6, 36, s[8:9]
	v_dual_mov_b32 v8, 0 :: v_dual_lshlrev_b32 v9, 1, v6
	v_add_co_u32 v2, vcc_lo, s14, v2
	s_wait_alu 0xfffd
	v_add_co_ci_u32_e64 v3, null, s15, v3, vcc_lo
	v_lshl_add_u32 v11, v7, 3, s5
	s_delay_alu instid0(VALU_DEP_3) | instskip(SKIP_1) | instid1(VALU_DEP_3)
	v_add_co_u32 v2, vcc_lo, v2, 32
	s_wait_alu 0xfffd
	v_add_co_ci_u32_e64 v3, null, 0, v3, vcc_lo
	v_lshlrev_b32_e32 v12, 2, v6
	v_dual_mov_b32 v6, 0 :: v_dual_lshlrev_b32 v13, 1, v13
	s_mul_i32 s2, s11, s16
	s_add_co_i32 s7, s7, s4
	s_mov_b32 s5, 0xbd000000
	s_wait_alu 0xfffe
	s_add_co_i32 s4, s2, s7
.LBB221_2:                              ; =>This Inner Loop Header: Depth=1
	s_wait_alu 0xfffe
	v_add_nc_u32_e32 v14, s4, v7
	v_mad_co_u64_u32 v[32:33], null, v11, 36, v[0:1]
	s_getpc_b64 s[8:9]
	s_wait_alu 0xfffe
	s_sext_i32_i16 s9, s9
	s_add_co_u32 s8, s8, _ZL13iq1s_grid_gpu@rel32@lo+12
	s_wait_alu 0xfffe
	s_add_co_ci_u32 s9, s9, _ZL13iq1s_grid_gpu@rel32@hi+24
	v_mad_co_i64_i32 v[30:31], null, v14, 56, s[12:13]
	s_delay_alu instid0(VALU_DEP_1) | instskip(SKIP_1) | instid1(VALU_DEP_2)
	v_add_co_u32 v14, vcc_lo, v30, v12
	s_wait_alu 0xfffd
	v_add_co_ci_u32_e64 v15, null, 0, v31, vcc_lo
	v_add_co_u32 v16, vcc_lo, v30, v9
	s_wait_alu 0xfffd
	v_add_co_ci_u32_e64 v17, null, 0, v31, vcc_lo
	;; [unrolled: 3-line block ×3, first 2 shown]
	s_clause 0x1
	global_load_b32 v36, v[14:15], off
	global_load_u16 v37, v[16:17], off offset:32
	s_clause 0x2
	global_load_b32 v38, v[2:3], off
	global_load_b128 v[14:17], v[2:3], off offset:-32
	global_load_b128 v[18:21], v[2:3], off offset:-16
	s_clause 0x1
	global_load_b128 v[22:25], v[32:33], off
	global_load_b128 v[26:29], v[32:33], off offset:16
	s_clause 0x1
	global_load_u16 v34, v[34:35], off offset:48
	global_load_b64 v[30:31], v[30:31], off offset:48
	v_add_co_u32 v2, vcc_lo, 0x480, v2
	s_wait_alu 0xfffd
	v_add_co_ci_u32_e64 v3, null, 0, v3, vcc_lo
	s_wait_loadcnt 0x5
	v_cvt_f32_f16_e32 v14, v14
	s_wait_loadcnt 0x4
	v_dot4_i32_iu8 v44, v21, 0x1010101, 0 neg_lo:[1,1,0]
	v_lshrrev_b16 v39, 8, v37
	v_lshlrev_b32_e32 v41, 8, v37
	v_lshlrev_b32_e32 v43, 4, v37
	v_and_b32_e32 v49, 8, v37
	v_bfe_u32 v37, v37, 4, 4
	s_wait_loadcnt 0x0
	v_pk_lshrrev_b16 v30, 0x8000c, v30
	v_lshrrev_b32_e32 v34, v10, v34
	v_dot4_i32_iu8 v44, v38, 0x1010101, v44 neg_lo:[1,1,0]
	v_and_b32_e32 v39, 0xffff, v39
	v_and_b32_e32 v37, 8, v37
	v_lshrrev_b32_e32 v50, 16, v30
	v_lshlrev_b32_e32 v51, 1, v34
	v_lshrrev_b32_e32 v34, 2, v34
	v_cvt_f32_i32_e32 v44, v44
	v_pk_lshrrev_b16 v31, 4, v31
	v_and_b32_e32 v50, 0xf0, v50
	v_cvt_f32_ubyte0_e32 v37, v37
	v_and_b32_e32 v34, 14, v34
	v_bfe_u32 v42, v36, 8, 8
	v_and_b32_e32 v31, 0xf0000f00, v31
	s_delay_alu instid0(VALU_DEP_4)
	v_dual_fmaak_f32 v37, s5, v37, 0xbf600000 :: v_dual_and_b32 v52, 8, v39
	v_and_b32_e32 v40, 0xff, v36
	v_or_b32_e32 v30, v50, v30
	v_or_b32_e32 v34, 1, v34
	v_lshrrev_b32_e32 v35, 24, v36
	v_bfe_u32 v36, v36, 16, 8
	v_and_or_b32 v40, 0x700, v41, v40
	v_and_or_b32 v41, 0x700, v43, v42
	v_cvt_f32_ubyte0_e32 v49, v49
	v_lshlrev_b32_e32 v42, 8, v39
	v_lshrrev_b32_e32 v53, 16, v31
	v_or_b32_e32 v30, v30, v31
	v_cvt_f32_ubyte0_e32 v34, v34
	v_lshlrev_b32_e32 v43, 4, v39
	v_lshrrev_b32_e32 v39, 4, v39
	v_fmaak_f32 v49, s5, v49, 0xbf600000
	v_and_or_b32 v36, 0x700, v42, v36
	v_or_b32_e32 v30, v30, v53
	v_and_or_b32 v35, 0x700, v43, v35
	v_and_b32_e32 v39, 8, v39
	v_cvt_f32_ubyte0_e32 v50, v52
	v_lshlrev_b32_e32 v40, 2, v40
	v_cvt_f32_f16_e32 v30, v30
	v_lshlrev_b32_e32 v41, 2, v41
	v_cvt_f32_ubyte0_e32 v39, v39
	v_lshlrev_b32_e32 v36, 2, v36
	v_lshlrev_b32_e32 v35, 2, v35
	v_fmaak_f32 v31, s5, v50, 0xbf600000
	v_mul_f32_e32 v14, v30, v14
	s_clause 0x3
	global_load_b32 v40, v40, s[8:9]
	global_load_b32 v41, v41, s[8:9]
	global_load_b32 v36, v36, s[8:9]
	global_load_b32 v35, v35, s[8:9]
	global_load_b32 v32, v[32:33], off offset:32
	v_dot4_i32_iu8 v33, v15, 0x1010101, 0 neg_lo:[1,1,0]
	v_dot4_i32_iu8 v45, v23, 0x1010101, 0 neg_lo:[1,1,0]
	;; [unrolled: 1-line block ×11, first 2 shown]
	v_cvt_f32_i32_e32 v33, v33
	v_dot4_i32_iu8 v46, v26, 0x1010101, v46 neg_lo:[1,1,0]
	v_dot4_i32_iu8 v47, v28, 0x1010101, v47 neg_lo:[1,1,0]
	v_cvt_f32_i32_e32 v45, v45
	v_cvt_f32_i32_e32 v43, v43
	;; [unrolled: 1-line block ×5, first 2 shown]
	v_fma_f32 v45, v49, v45, 0
	v_fma_f32 v33, v49, v33, 0
	v_cvt_f32_f16_e32 v22, v22
	v_and_b32_e32 v51, 14, v51
	s_delay_alu instid0(VALU_DEP_4) | instskip(NEXT) | instid1(VALU_DEP_4)
	v_fmac_f32_e32 v45, v37, v46
	v_fmac_f32_e32 v33, v37, v42
	v_fmaak_f32 v37, s5, v39, 0xbf600000
	v_fma_f32 v39, v31, v43, 0
	v_fma_f32 v31, v31, v47, 0
	v_or_b32_e32 v51, 1, v51
	s_delay_alu instid0(VALU_DEP_3) | instskip(NEXT) | instid1(VALU_DEP_2)
	v_fmac_f32_e32 v39, v37, v44
	v_cvt_f32_ubyte0_e32 v49, v51
	s_wait_loadcnt 0x1
	v_and_b32_e32 v43, 0xf0f0f0f, v35
	s_wait_loadcnt 0x0
	v_dot4_i32_iu8 v48, v32, 0x1010101, v48 neg_lo:[1,1,0]
	v_lshrrev_b32_e32 v42, 4, v41
	v_and_b32_e32 v41, 0xf0f0f0f, v41
	v_lshrrev_b32_e32 v35, 4, v35
	s_delay_alu instid0(VALU_DEP_4) | instskip(NEXT) | instid1(VALU_DEP_1)
	v_cvt_f32_i32_e32 v48, v48
	v_fmac_f32_e32 v31, v37, v48
	v_lshrrev_b32_e32 v37, 4, v40
	v_and_b32_e32 v40, 0xf0f0f0f, v40
	v_and_b32_e32 v42, 0xf0f0f0f, v42
	s_delay_alu instid0(VALU_DEP_3) | instskip(NEXT) | instid1(VALU_DEP_3)
	v_and_b32_e32 v37, 0xf0f0f0f, v37
	v_dot4_i32_iu8 v15, v40, v15, 0 neg_lo:[1,1,0]
	s_delay_alu instid0(VALU_DEP_1) | instskip(NEXT) | instid1(VALU_DEP_1)
	v_dot4_i32_iu8 v15, v37, v16, v15 neg_lo:[1,1,0]
	v_dot4_i32_iu8 v15, v41, v17, v15 neg_lo:[1,1,0]
	s_delay_alu instid0(VALU_DEP_1) | instskip(NEXT) | instid1(VALU_DEP_1)
	v_dot4_i32_iu8 v15, v42, v18, v15 neg_lo:[1,1,0]
	v_cvt_f32_i32_e32 v15, v15
	s_delay_alu instid0(VALU_DEP_1) | instskip(SKIP_3) | instid1(VALU_DEP_3)
	v_add_f32_e32 v15, v33, v15
	v_dot4_i32_iu8 v23, v40, v23, 0 neg_lo:[1,1,0]
	v_lshrrev_b32_e32 v40, 4, v36
	v_and_b32_e32 v36, 0xf0f0f0f, v36
	v_dot4_i32_iu8 v16, v37, v24, v23 neg_lo:[1,1,0]
	s_delay_alu instid0(VALU_DEP_3) | instskip(NEXT) | instid1(VALU_DEP_3)
	v_and_b32_e32 v40, 0xf0f0f0f, v40
	v_dot4_i32_iu8 v19, v36, v19, 0 neg_lo:[1,1,0]
	s_delay_alu instid0(VALU_DEP_3) | instskip(NEXT) | instid1(VALU_DEP_2)
	v_dot4_i32_iu8 v16, v41, v25, v16 neg_lo:[1,1,0]
	v_dot4_i32_iu8 v19, v40, v20, v19 neg_lo:[1,1,0]
	v_and_b32_e32 v20, 0xf0f0f0f, v35
	s_delay_alu instid0(VALU_DEP_2) | instskip(NEXT) | instid1(VALU_DEP_1)
	v_dot4_i32_iu8 v19, v43, v21, v19 neg_lo:[1,1,0]
	v_dot4_i32_iu8 v19, v20, v38, v19 neg_lo:[1,1,0]
	s_delay_alu instid0(VALU_DEP_1) | instskip(SKIP_2) | instid1(VALU_DEP_3)
	v_cvt_f32_i32_e32 v18, v19
	v_mul_f32_e32 v19, v30, v22
	v_dot4_i32_iu8 v23, v36, v27, 0 neg_lo:[1,1,0]
	v_add_f32_e32 v18, v39, v18
	s_delay_alu instid0(VALU_DEP_2) | instskip(NEXT) | instid1(VALU_DEP_2)
	v_dot4_i32_iu8 v23, v40, v28, v23 neg_lo:[1,1,0]
	v_dual_mul_f32 v18, v18, v34 :: v_dual_add_nc_u32 v7, 4, v7
	s_delay_alu instid0(VALU_DEP_2) | instskip(NEXT) | instid1(VALU_DEP_2)
	v_dot4_i32_iu8 v17, v43, v29, v23 neg_lo:[1,1,0]
	v_fmac_f32_e32 v18, v15, v49
	s_delay_alu instid0(VALU_DEP_3) | instskip(NEXT) | instid1(VALU_DEP_3)
	v_cmp_le_u32_e64 s2, s21, v7
	v_dot4_i32_iu8 v17, v20, v32, v17 neg_lo:[1,1,0]
	s_delay_alu instid0(VALU_DEP_3) | instskip(SKIP_1) | instid1(VALU_DEP_2)
	v_fmac_f32_e32 v8, v14, v18
	s_or_b32 s3, s2, s3
	v_cvt_f32_i32_e32 v17, v17
	s_delay_alu instid0(VALU_DEP_1) | instskip(SKIP_1) | instid1(VALU_DEP_1)
	v_add_f32_e32 v17, v31, v17
	v_dot4_i32_iu8 v16, v42, v26, v16 neg_lo:[1,1,0]
	v_cvt_f32_i32_e32 v16, v16
	s_delay_alu instid0(VALU_DEP_1) | instskip(NEXT) | instid1(VALU_DEP_1)
	v_add_f32_e32 v16, v45, v16
	v_mul_f32_e32 v16, v16, v49
	s_delay_alu instid0(VALU_DEP_1) | instskip(NEXT) | instid1(VALU_DEP_1)
	v_dual_fmac_f32 v16, v17, v34 :: v_dual_add_nc_u32 v11, 32, v11
	v_fmac_f32_e32 v6, v19, v16
	s_wait_alu 0xfffe
	s_and_not1_b32 exec_lo, exec_lo, s3
	s_cbranch_execnz .LBB221_2
; %bb.3:
	s_or_b32 exec_lo, exec_lo, s3
.LBB221_4:
	s_delay_alu instid0(SALU_CYCLE_1)
	s_or_b32 exec_lo, exec_lo, s22
	s_mov_b32 s3, 0
	; wave barrier
	global_inv scope:SCOPE_SE
	s_mov_b32 s2, exec_lo
	v_cmpx_eq_u32_e32 0, v5
	s_cbranch_execz .LBB221_9
; %bb.5:
	v_mbcnt_lo_u32_b32 v5, -1, 0
	s_load_b64 s[0:1], s[0:1], 0x38
	s_mul_i32 s2, s10, s19
	s_mul_i32 s4, s18, s20
	s_wait_alu 0xfffe
	s_add_co_i32 s2, s2, ttmp9
	v_xor_b32_e32 v0, 16, v5
	v_xor_b32_e32 v1, 8, v5
	;; [unrolled: 1-line block ×3, first 2 shown]
	s_wait_alu 0xfffe
	s_add_co_i32 s2, s2, s4
	s_wait_alu 0xfffe
	s_lshl_b64 s[2:3], s[2:3], 2
	v_cmp_gt_i32_e32 vcc_lo, 32, v0
	s_wait_alu 0xfffd
	v_cndmask_b32_e32 v0, v5, v0, vcc_lo
	v_cmp_gt_i32_e32 vcc_lo, 32, v1
	s_wait_kmcnt 0x0
	s_wait_alu 0xfffe
	s_add_nc_u64 s[0:1], s[0:1], s[2:3]
	s_wait_alu 0xfffd
	v_cndmask_b32_e32 v1, v5, v1, vcc_lo
	s_delay_alu instid0(VALU_DEP_1)
	v_lshlrev_b32_e32 v1, 2, v1
	v_lshlrev_b32_e32 v0, 2, v0
	ds_bpermute_b32 v2, v0, v8
	s_wait_dscnt 0x0
	v_add_f32_e32 v3, v8, v2
	v_xor_b32_e32 v2, 4, v5
	ds_bpermute_b32 v7, v1, v3
	v_cmp_gt_i32_e32 vcc_lo, 32, v2
	s_wait_dscnt 0x0
	s_wait_alu 0xfffd
	v_dual_cndmask_b32 v2, v5, v2 :: v_dual_add_f32 v7, v3, v7
	s_delay_alu instid0(VALU_DEP_1)
	v_lshlrev_b32_e32 v2, 2, v2
	v_xor_b32_e32 v3, 2, v5
	ds_bpermute_b32 v8, v2, v7
	v_cmp_gt_i32_e32 vcc_lo, 32, v3
	s_wait_alu 0xfffd
	v_cndmask_b32_e32 v3, v5, v3, vcc_lo
	v_cmp_gt_i32_e32 vcc_lo, 32, v9
	s_delay_alu instid0(VALU_DEP_2) | instskip(SKIP_3) | instid1(VALU_DEP_2)
	v_lshlrev_b32_e32 v3, 2, v3
	s_wait_alu 0xfffd
	v_cndmask_b32_e32 v5, v5, v9, vcc_lo
	v_cmp_eq_u32_e32 vcc_lo, 0, v4
	v_lshlrev_b32_e32 v5, 2, v5
	s_wait_dscnt 0x0
	v_add_f32_e32 v7, v7, v8
	ds_bpermute_b32 v8, v3, v7
	s_wait_dscnt 0x0
	v_add_f32_e32 v7, v7, v8
	ds_bpermute_b32 v8, v5, v7
	s_and_saveexec_b32 s2, vcc_lo
	s_cbranch_execz .LBB221_7
; %bb.6:
	s_wait_dscnt 0x0
	v_dual_add_f32 v4, v7, v8 :: v_dual_mov_b32 v7, 0
	global_store_b32 v7, v4, s[0:1]
.LBB221_7:
	s_wait_alu 0xfffe
	s_or_b32 exec_lo, exec_lo, s2
	ds_bpermute_b32 v0, v0, v6
	s_wait_dscnt 0x0
	v_add_f32_e32 v0, v6, v0
	ds_bpermute_b32 v1, v1, v0
	s_wait_dscnt 0x0
	v_add_f32_e32 v0, v0, v1
	;; [unrolled: 3-line block ×4, first 2 shown]
	ds_bpermute_b32 v1, v5, v0
	s_and_b32 exec_lo, exec_lo, vcc_lo
	s_cbranch_execz .LBB221_9
; %bb.8:
	s_mov_b32 s7, 0
	s_wait_dscnt 0x0
	v_dual_add_f32 v0, v0, v1 :: v_dual_mov_b32 v1, 0
	s_lshl_b64 s[2:3], s[6:7], 2
	s_wait_alu 0xfffe
	s_add_nc_u64 s[0:1], s[0:1], s[2:3]
	global_store_b32 v1, v0, s[0:1]
.LBB221_9:
	s_endpgm
	.section	.rodata,"a",@progbits
	.p2align	6, 0x0
	.amdhsa_kernel _ZL13mul_mat_vec_qIL9ggml_type29ELi2ELb0ELb0EEvPKvS2_PKi31ggml_cuda_mm_fusion_args_devicePfj15HIP_vector_typeIjLj3EEjjjS8_jjjS8_jjjj
		.amdhsa_group_segment_fixed_size 0
		.amdhsa_private_segment_fixed_size 0
		.amdhsa_kernarg_size 144
		.amdhsa_user_sgpr_count 2
		.amdhsa_user_sgpr_dispatch_ptr 0
		.amdhsa_user_sgpr_queue_ptr 0
		.amdhsa_user_sgpr_kernarg_segment_ptr 1
		.amdhsa_user_sgpr_dispatch_id 0
		.amdhsa_user_sgpr_private_segment_size 0
		.amdhsa_wavefront_size32 1
		.amdhsa_uses_dynamic_stack 0
		.amdhsa_enable_private_segment 0
		.amdhsa_system_sgpr_workgroup_id_x 1
		.amdhsa_system_sgpr_workgroup_id_y 1
		.amdhsa_system_sgpr_workgroup_id_z 1
		.amdhsa_system_sgpr_workgroup_info 0
		.amdhsa_system_vgpr_workitem_id 1
		.amdhsa_next_free_vgpr 54
		.amdhsa_next_free_sgpr 30
		.amdhsa_reserve_vcc 1
		.amdhsa_float_round_mode_32 0
		.amdhsa_float_round_mode_16_64 0
		.amdhsa_float_denorm_mode_32 3
		.amdhsa_float_denorm_mode_16_64 3
		.amdhsa_fp16_overflow 0
		.amdhsa_workgroup_processor_mode 1
		.amdhsa_memory_ordered 1
		.amdhsa_forward_progress 1
		.amdhsa_inst_pref_size 17
		.amdhsa_round_robin_scheduling 0
		.amdhsa_exception_fp_ieee_invalid_op 0
		.amdhsa_exception_fp_denorm_src 0
		.amdhsa_exception_fp_ieee_div_zero 0
		.amdhsa_exception_fp_ieee_overflow 0
		.amdhsa_exception_fp_ieee_underflow 0
		.amdhsa_exception_fp_ieee_inexact 0
		.amdhsa_exception_int_div_zero 0
	.end_amdhsa_kernel
	.section	.text._ZL13mul_mat_vec_qIL9ggml_type29ELi2ELb0ELb0EEvPKvS2_PKi31ggml_cuda_mm_fusion_args_devicePfj15HIP_vector_typeIjLj3EEjjjS8_jjjS8_jjjj,"axG",@progbits,_ZL13mul_mat_vec_qIL9ggml_type29ELi2ELb0ELb0EEvPKvS2_PKi31ggml_cuda_mm_fusion_args_devicePfj15HIP_vector_typeIjLj3EEjjjS8_jjjS8_jjjj,comdat
.Lfunc_end221:
	.size	_ZL13mul_mat_vec_qIL9ggml_type29ELi2ELb0ELb0EEvPKvS2_PKi31ggml_cuda_mm_fusion_args_devicePfj15HIP_vector_typeIjLj3EEjjjS8_jjjS8_jjjj, .Lfunc_end221-_ZL13mul_mat_vec_qIL9ggml_type29ELi2ELb0ELb0EEvPKvS2_PKi31ggml_cuda_mm_fusion_args_devicePfj15HIP_vector_typeIjLj3EEjjjS8_jjjS8_jjjj
                                        ; -- End function
	.set _ZL13mul_mat_vec_qIL9ggml_type29ELi2ELb0ELb0EEvPKvS2_PKi31ggml_cuda_mm_fusion_args_devicePfj15HIP_vector_typeIjLj3EEjjjS8_jjjS8_jjjj.num_vgpr, 54
	.set _ZL13mul_mat_vec_qIL9ggml_type29ELi2ELb0ELb0EEvPKvS2_PKi31ggml_cuda_mm_fusion_args_devicePfj15HIP_vector_typeIjLj3EEjjjS8_jjjS8_jjjj.num_agpr, 0
	.set _ZL13mul_mat_vec_qIL9ggml_type29ELi2ELb0ELb0EEvPKvS2_PKi31ggml_cuda_mm_fusion_args_devicePfj15HIP_vector_typeIjLj3EEjjjS8_jjjS8_jjjj.numbered_sgpr, 30
	.set _ZL13mul_mat_vec_qIL9ggml_type29ELi2ELb0ELb0EEvPKvS2_PKi31ggml_cuda_mm_fusion_args_devicePfj15HIP_vector_typeIjLj3EEjjjS8_jjjS8_jjjj.num_named_barrier, 0
	.set _ZL13mul_mat_vec_qIL9ggml_type29ELi2ELb0ELb0EEvPKvS2_PKi31ggml_cuda_mm_fusion_args_devicePfj15HIP_vector_typeIjLj3EEjjjS8_jjjS8_jjjj.private_seg_size, 0
	.set _ZL13mul_mat_vec_qIL9ggml_type29ELi2ELb0ELb0EEvPKvS2_PKi31ggml_cuda_mm_fusion_args_devicePfj15HIP_vector_typeIjLj3EEjjjS8_jjjS8_jjjj.uses_vcc, 1
	.set _ZL13mul_mat_vec_qIL9ggml_type29ELi2ELb0ELb0EEvPKvS2_PKi31ggml_cuda_mm_fusion_args_devicePfj15HIP_vector_typeIjLj3EEjjjS8_jjjS8_jjjj.uses_flat_scratch, 0
	.set _ZL13mul_mat_vec_qIL9ggml_type29ELi2ELb0ELb0EEvPKvS2_PKi31ggml_cuda_mm_fusion_args_devicePfj15HIP_vector_typeIjLj3EEjjjS8_jjjS8_jjjj.has_dyn_sized_stack, 0
	.set _ZL13mul_mat_vec_qIL9ggml_type29ELi2ELb0ELb0EEvPKvS2_PKi31ggml_cuda_mm_fusion_args_devicePfj15HIP_vector_typeIjLj3EEjjjS8_jjjS8_jjjj.has_recursion, 0
	.set _ZL13mul_mat_vec_qIL9ggml_type29ELi2ELb0ELb0EEvPKvS2_PKi31ggml_cuda_mm_fusion_args_devicePfj15HIP_vector_typeIjLj3EEjjjS8_jjjS8_jjjj.has_indirect_call, 0
	.section	.AMDGPU.csdata,"",@progbits
; Kernel info:
; codeLenInByte = 2140
; TotalNumSgprs: 32
; NumVgprs: 54
; ScratchSize: 0
; MemoryBound: 0
; FloatMode: 240
; IeeeMode: 1
; LDSByteSize: 0 bytes/workgroup (compile time only)
; SGPRBlocks: 0
; VGPRBlocks: 6
; NumSGPRsForWavesPerEU: 32
; NumVGPRsForWavesPerEU: 54
; Occupancy: 16
; WaveLimiterHint : 0
; COMPUTE_PGM_RSRC2:SCRATCH_EN: 0
; COMPUTE_PGM_RSRC2:USER_SGPR: 2
; COMPUTE_PGM_RSRC2:TRAP_HANDLER: 0
; COMPUTE_PGM_RSRC2:TGID_X_EN: 1
; COMPUTE_PGM_RSRC2:TGID_Y_EN: 1
; COMPUTE_PGM_RSRC2:TGID_Z_EN: 1
; COMPUTE_PGM_RSRC2:TIDIG_COMP_CNT: 1
	.section	.text._ZL13mul_mat_vec_qIL9ggml_type29ELi3ELb0ELb0EEvPKvS2_PKi31ggml_cuda_mm_fusion_args_devicePfj15HIP_vector_typeIjLj3EEjjjS8_jjjS8_jjjj,"axG",@progbits,_ZL13mul_mat_vec_qIL9ggml_type29ELi3ELb0ELb0EEvPKvS2_PKi31ggml_cuda_mm_fusion_args_devicePfj15HIP_vector_typeIjLj3EEjjjS8_jjjS8_jjjj,comdat
	.globl	_ZL13mul_mat_vec_qIL9ggml_type29ELi3ELb0ELb0EEvPKvS2_PKi31ggml_cuda_mm_fusion_args_devicePfj15HIP_vector_typeIjLj3EEjjjS8_jjjS8_jjjj ; -- Begin function _ZL13mul_mat_vec_qIL9ggml_type29ELi3ELb0ELb0EEvPKvS2_PKi31ggml_cuda_mm_fusion_args_devicePfj15HIP_vector_typeIjLj3EEjjjS8_jjjS8_jjjj
	.p2align	8
	.type	_ZL13mul_mat_vec_qIL9ggml_type29ELi3ELb0ELb0EEvPKvS2_PKi31ggml_cuda_mm_fusion_args_devicePfj15HIP_vector_typeIjLj3EEjjjS8_jjjS8_jjjj,@function
_ZL13mul_mat_vec_qIL9ggml_type29ELi3ELb0ELb0EEvPKvS2_PKi31ggml_cuda_mm_fusion_args_devicePfj15HIP_vector_typeIjLj3EEjjjS8_jjjS8_jjjj: ; @_ZL13mul_mat_vec_qIL9ggml_type29ELi3ELb0ELb0EEvPKvS2_PKi31ggml_cuda_mm_fusion_args_devicePfj15HIP_vector_typeIjLj3EEjjjS8_jjjS8_jjjj
; %bb.0:
	s_clause 0x5
	s_load_b96 s[16:18], s[0:1], 0x80
	s_load_b32 s2, s[0:1], 0x40
	s_load_b128 s[4:7], s[0:1], 0x50
	s_load_b32 s23, s[0:1], 0x60
	s_load_b128 s[8:11], s[0:1], 0x68
	s_load_b32 s24, s[0:1], 0x78
	v_bfe_u32 v6, v0, 10, 10
	v_dual_mov_b32 v5, 0 :: v_dual_and_b32 v4, 0x3ff, v0
	v_mov_b32_e32 v7, 0
	v_mov_b32_e32 v9, 0
	s_and_b32 s19, ttmp7, 0xffff
	s_delay_alu instid0(VALU_DEP_3) | instskip(SKIP_2) | instid1(VALU_DEP_1)
	v_lshl_or_b32 v0, v6, 5, v4
	s_lshr_b32 s20, ttmp7, 16
	s_mov_b32 s21, exec_lo
	v_lshrrev_b32_e32 v8, 3, v0
	s_wait_kmcnt 0x0
	s_lshr_b32 s22, s2, 8
	s_delay_alu instid0(VALU_DEP_1) | instid1(SALU_CYCLE_1)
	v_cmpx_gt_u32_e64 s22, v8
	s_cbranch_execz .LBB222_4
; %bb.1:
	v_lshl_add_u32 v0, v6, 5, v4
	s_mov_b32 s3, 0
	s_mul_i32 s26, s9, s19
	s_mov_b32 s27, s3
	s_load_b128 s[12:15], s[0:1], 0x0
	v_lshrrev_b32_e32 v0, 3, v0
	s_mul_u64 s[26:27], s[26:27], 36
	s_mul_i32 s2, s17, s20
	v_and_b32_e32 v5, 7, v4
	v_and_b32_e32 v7, 1, v4
	v_mad_co_u64_u32 v[0:1], null, 0x120, v0, s[26:27]
	s_mul_hi_u32 s7, s7, s19
	s_mul_hi_u32 s11, s11, s20
	v_cmp_eq_u32_e32 vcc_lo, 1, v7
	s_add_co_i32 s7, s19, s7
	s_add_co_i32 s9, s20, s11
	s_mul_u64 s[28:29], s[2:3], 36
	v_mad_co_u64_u32 v[0:1], null, s2, 36, v[0:1]
	s_lshr_b32 s7, s7, s23
	s_lshr_b32 s9, s9, s24
	s_mul_i32 s7, s7, s8
	s_mul_i32 s11, s9, s16
	s_wait_kmcnt 0x0
	s_add_nc_u64 s[8:9], s[14:15], s[28:29]
	v_cndmask_b32_e64 v11, 0, 6, vcc_lo
	v_mad_co_u64_u32 v[2:3], null, v5, 36, v[0:1]
	s_add_nc_u64 s[8:9], s[8:9], s[26:27]
	v_lshlrev_b32_e32 v13, 3, v8
	v_bfe_u32 v15, v4, 1, 2
	v_mad_co_u64_u32 v[0:1], null, v5, 36, s[8:9]
	s_mul_i32 s4, s4, ttmp9
	v_add_co_u32 v2, vcc_lo, s14, v2
	s_wait_alu 0xfffd
	v_add_co_ci_u32_e64 v3, null, s15, v3, vcc_lo
	v_dual_mov_b32 v9, 0 :: v_dual_lshlrev_b32 v10, 1, v5
	s_delay_alu instid0(VALU_DEP_3)
	v_add_co_u32 v2, vcc_lo, v2, 16
	v_dual_mov_b32 v7, 0 :: v_dual_add_nc_u32 v12, s5, v13
	v_lshl_add_u32 v13, s5, 1, v13
	s_wait_alu 0xfffd
	v_add_co_ci_u32_e64 v3, null, 0, v3, vcc_lo
	v_dual_mov_b32 v5, 0 :: v_dual_lshlrev_b32 v14, 2, v5
	v_lshlrev_b32_e32 v15, 1, v15
	s_add_co_i32 s7, s7, s4
	s_mov_b32 s4, 0xbd000000
	s_add_co_i32 s2, s11, s7
.LBB222_2:                              ; =>This Inner Loop Header: Depth=1
	s_wait_alu 0xfffe
	v_add_nc_u32_e32 v16, s2, v8
	v_mad_co_u64_u32 v[32:33], null, v12, 36, v[0:1]
	v_mad_co_u64_u32 v[36:37], null, v13, 36, v[0:1]
	s_delay_alu instid0(VALU_DEP_3)
	v_mad_co_i64_i32 v[40:41], null, v16, 56, s[12:13]
	s_getpc_b64 s[8:9]
	s_wait_alu 0xfffe
	s_sext_i32_i16 s9, s9
	s_add_co_u32 s8, s8, _ZL13iq1s_grid_gpu@rel32@lo+12
	s_wait_alu 0xfffe
	s_add_co_ci_u32 s9, s9, _ZL13iq1s_grid_gpu@rel32@hi+24
	v_add_co_u32 v16, vcc_lo, v40, v14
	s_wait_alu 0xfffd
	v_add_co_ci_u32_e64 v17, null, 0, v41, vcc_lo
	v_add_co_u32 v18, vcc_lo, v40, v10
	s_wait_alu 0xfffd
	v_add_co_ci_u32_e64 v19, null, 0, v41, vcc_lo
	;; [unrolled: 3-line block ×3, first 2 shown]
	s_clause 0x1
	global_load_b32 v44, v[16:17], off
	global_load_u16 v45, v[18:19], off offset:32
	s_clause 0x1
	global_load_b128 v[16:19], v[2:3], off offset:-16
	global_load_b128 v[20:23], v[2:3], off
	s_clause 0x5
	global_load_b128 v[24:27], v[32:33], off
	global_load_b128 v[28:31], v[32:33], off offset:16
	global_load_b32 v46, v[32:33], off offset:32
	global_load_b128 v[32:35], v[36:37], off
	global_load_b32 v47, v[36:37], off offset:32
	global_load_b128 v[36:39], v[36:37], off offset:16
	s_clause 0x1
	global_load_u16 v42, v[42:43], off offset:48
	global_load_b64 v[40:41], v[40:41], off offset:48
	s_wait_loadcnt 0x9
	v_cvt_f32_f16_e32 v16, v16
	v_dot4_i32_iu8 v53, v19, 0x1010101, 0 neg_lo:[1,1,0]
	s_wait_loadcnt 0x7
	v_cvt_f32_f16_e32 v24, v24
	v_dot4_i32_iu8 v56, v25, 0x1010101, 0 neg_lo:[1,1,0]
	v_dot4_i32_iu8 v54, v21, 0x1010101, 0 neg_lo:[1,1,0]
	s_wait_loadcnt 0x4
	v_cvt_f32_f16_e32 v32, v32
	v_lshrrev_b16 v48, 8, v45
	s_wait_loadcnt 0x2
	v_dot4_i32_iu8 v63, v39, 0x1010101, 0 neg_lo:[1,1,0]
	v_lshlrev_b32_e32 v50, 8, v45
	s_wait_loadcnt 0x0
	v_pk_lshrrev_b16 v40, 0x8000c, v40
	v_pk_lshrrev_b16 v41, 4, v41
	v_dot4_i32_iu8 v53, v20, 0x1010101, v53 neg_lo:[1,1,0]
	v_dot4_i32_iu8 v63, v47, 0x1010101, v63 neg_lo:[1,1,0]
	;; [unrolled: 1-line block ×3, first 2 shown]
	v_lshrrev_b32_e32 v65, 16, v40
	v_and_b32_e32 v41, 0xf0000f00, v41
	v_cvt_f32_i32_e32 v53, v53
	v_cvt_f32_i32_e32 v63, v63
	v_lshlrev_b32_e32 v52, 4, v45
	v_and_b32_e32 v65, 0xf0, v65
	v_lshrrev_b32_e32 v68, 16, v41
	v_dot4_i32_iu8 v61, v35, 0x1010101, 0 neg_lo:[1,1,0]
	v_dot4_i32_iu8 v60, v34, 0x1010101, v60 neg_lo:[1,1,0]
	v_bfe_u32 v51, v44, 8, 8
	v_or_b32_e32 v40, v65, v40
	v_and_b32_e32 v48, 0xffff, v48
	v_dot4_i32_iu8 v61, v36, 0x1010101, v61 neg_lo:[1,1,0]
	v_cvt_f32_i32_e32 v60, v60
	v_lshrrev_b32_e32 v43, 24, v44
	v_or_b32_e32 v40, v40, v41
	v_dot4_i32_iu8 v57, v27, 0x1010101, 0 neg_lo:[1,1,0]
	v_cvt_f32_i32_e32 v61, v61
	v_dot4_i32_iu8 v58, v29, 0x1010101, 0 neg_lo:[1,1,0]
	v_dot4_i32_iu8 v62, v37, 0x1010101, 0 neg_lo:[1,1,0]
	v_or_b32_e32 v40, v40, v68
	v_dot4_i32_iu8 v56, v26, 0x1010101, v56 neg_lo:[1,1,0]
	v_dot4_i32_iu8 v54, v22, 0x1010101, v54 neg_lo:[1,1,0]
	;; [unrolled: 1-line block ×4, first 2 shown]
	v_cvt_f32_f16_e32 v40, v40
	v_and_b32_e32 v64, 8, v45
	v_bfe_u32 v45, v45, 4, 4
	v_dot4_i32_iu8 v62, v38, 0x1010101, v62 neg_lo:[1,1,0]
	v_cvt_f32_i32_e32 v56, v56
	v_mul_f32_e32 v32, v40, v32
	v_cvt_f32_ubyte0_e32 v64, v64
	v_and_b32_e32 v45, 8, v45
	v_cvt_f32_i32_e32 v54, v54
	v_cvt_f32_i32_e32 v58, v58
	v_cvt_f32_i32_e32 v62, v62
	v_cvt_f32_i32_e32 v57, v57
	v_cvt_f32_ubyte0_e32 v45, v45
	v_add_nc_u32_e32 v8, 4, v8
	v_dot4_i32_iu8 v55, v23, 0x1010101, 0 neg_lo:[1,1,0]
	v_dot4_i32_iu8 v59, v31, 0x1010101, 0 neg_lo:[1,1,0]
	v_lshrrev_b32_e32 v42, v11, v42
	v_fmaak_f32 v45, s4, v45, 0xbf600000
	v_and_b32_e32 v49, 0xff, v44
	v_bfe_u32 v44, v44, 16, 8
	v_dot4_i32_iu8 v59, v46, 0x1010101, v59 neg_lo:[1,1,0]
	v_fmaak_f32 v64, s4, v64, 0xbf600000
	v_mul_f32_e32 v16, v16, v40
	v_and_or_b32 v49, 0x700, v50, v49
	v_and_or_b32 v50, 0x700, v52, v51
	v_cvt_f32_i32_e32 v59, v59
	v_fma_f32 v60, v64, v60, 0
	v_lshlrev_b32_e32 v51, 8, v48
	v_lshlrev_b32_e32 v49, 2, v49
	v_fma_f32 v56, v64, v56, 0
	v_lshlrev_b32_e32 v50, 2, v50
	v_dual_fmac_f32 v60, v45, v61 :: v_dual_and_b32 v67, 8, v48
	v_and_or_b32 v44, 0x700, v51, v44
	s_clause 0x1
	global_load_b32 v49, v49, s[8:9]
	global_load_b32 v50, v50, s[8:9]
	v_fmac_f32_e32 v56, v45, v57
	v_cvt_f32_ubyte0_e32 v65, v67
	v_lshlrev_b32_e32 v52, 4, v48
	v_lshrrev_b32_e32 v48, 4, v48
	s_delay_alu instid0(VALU_DEP_3) | instskip(NEXT) | instid1(VALU_DEP_3)
	v_fmaak_f32 v41, s4, v65, 0xbf600000
	v_and_or_b32 v43, 0x700, v52, v43
	v_dot4_i32_iu8 v52, v17, 0x1010101, 0 neg_lo:[1,1,0]
	s_delay_alu instid0(VALU_DEP_4) | instskip(NEXT) | instid1(VALU_DEP_3)
	v_and_b32_e32 v48, 8, v48
	v_lshlrev_b32_e32 v43, 2, v43
	s_delay_alu instid0(VALU_DEP_3) | instskip(NEXT) | instid1(VALU_DEP_3)
	v_dot4_i32_iu8 v52, v18, 0x1010101, v52 neg_lo:[1,1,0]
	v_cvt_f32_ubyte0_e32 v48, v48
	s_delay_alu instid0(VALU_DEP_2) | instskip(NEXT) | instid1(VALU_DEP_1)
	v_cvt_f32_i32_e32 v52, v52
	v_fma_f32 v52, v64, v52, 0
	s_delay_alu instid0(VALU_DEP_1) | instskip(SKIP_3) | instid1(VALU_DEP_2)
	v_dual_fmac_f32 v52, v45, v53 :: v_dual_fmaak_f32 v45, s4, v48, 0xbf600000
	v_fma_f32 v48, v41, v54, 0
	v_fma_f32 v53, v41, v58, 0
	;; [unrolled: 1-line block ×3, first 2 shown]
	v_fmac_f32_e32 v53, v45, v59
	s_delay_alu instid0(VALU_DEP_2)
	v_dual_fmac_f32 v41, v45, v63 :: v_dual_lshlrev_b32 v44, 2, v44
	s_clause 0x1
	global_load_b32 v44, v44, s[8:9]
	global_load_b32 v43, v43, s[8:9]
	global_load_b32 v51, v[2:3], off offset:16
	v_add_co_u32 v2, vcc_lo, 0x480, v2
	s_wait_alu 0xfffd
	v_add_co_ci_u32_e64 v3, null, 0, v3, vcc_lo
	v_cmp_le_u32_e32 vcc_lo, s22, v8
	s_or_b32 s3, vcc_lo, s3
	s_wait_loadcnt 0x3
	v_lshrrev_b32_e32 v54, 4, v50
	v_and_b32_e32 v50, 0xf0f0f0f, v50
	s_delay_alu instid0(VALU_DEP_2) | instskip(SKIP_2) | instid1(VALU_DEP_1)
	v_and_b32_e32 v54, 0xf0f0f0f, v54
	s_wait_loadcnt 0x0
	v_dot4_i32_iu8 v55, v51, 0x1010101, v55 neg_lo:[1,1,0]
	v_cvt_f32_i32_e32 v55, v55
	s_delay_alu instid0(VALU_DEP_1) | instskip(SKIP_2) | instid1(VALU_DEP_2)
	v_dual_fmac_f32 v48, v45, v55 :: v_dual_add_nc_u32 v13, 32, v13
	v_lshrrev_b32_e32 v45, 4, v49
	v_and_b32_e32 v49, 0xf0f0f0f, v49
	v_and_b32_e32 v45, 0xf0f0f0f, v45
	s_delay_alu instid0(VALU_DEP_2) | instskip(SKIP_2) | instid1(VALU_DEP_3)
	v_dot4_i32_iu8 v17, v49, v17, 0 neg_lo:[1,1,0]
	v_dot4_i32_iu8 v25, v49, v25, 0 neg_lo:[1,1,0]
	;; [unrolled: 1-line block ×4, first 2 shown]
	s_delay_alu instid0(VALU_DEP_3) | instskip(NEXT) | instid1(VALU_DEP_3)
	v_dot4_i32_iu8 v18, v45, v26, v25 neg_lo:[1,1,0]
	v_dot4_i32_iu8 v25, v45, v34, v33 neg_lo:[1,1,0]
	s_delay_alu instid0(VALU_DEP_3) | instskip(NEXT) | instid1(VALU_DEP_3)
	v_dot4_i32_iu8 v17, v50, v19, v17 neg_lo:[1,1,0]
	v_dot4_i32_iu8 v18, v50, v27, v18 neg_lo:[1,1,0]
	;; [unrolled: 3-line block ×3, first 2 shown]
	s_delay_alu instid0(VALU_DEP_3) | instskip(NEXT) | instid1(VALU_DEP_2)
	v_dot4_i32_iu8 v18, v54, v28, v18 neg_lo:[1,1,0]
	v_cvt_f32_i32_e32 v17, v17
	s_delay_alu instid0(VALU_DEP_2) | instskip(NEXT) | instid1(VALU_DEP_2)
	v_cvt_f32_i32_e32 v18, v18
	v_dual_add_f32 v17, v52, v17 :: v_dual_lshlrev_b32 v66, 1, v42
	v_lshrrev_b32_e32 v42, 2, v42
	s_delay_alu instid0(VALU_DEP_3) | instskip(NEXT) | instid1(VALU_DEP_2)
	v_add_f32_e32 v18, v56, v18
	v_and_b32_e32 v42, 14, v42
	s_delay_alu instid0(VALU_DEP_1) | instskip(NEXT) | instid1(VALU_DEP_1)
	v_or_b32_e32 v42, 1, v42
	v_cvt_f32_ubyte0_e32 v42, v42
	v_and_b32_e32 v49, 0xf0f0f0f, v44
	v_lshrrev_b32_e32 v44, 4, v44
	v_and_b32_e32 v55, 0xf0f0f0f, v43
	v_lshrrev_b32_e32 v43, 4, v43
	s_delay_alu instid0(VALU_DEP_4) | instskip(NEXT) | instid1(VALU_DEP_4)
	v_dot4_i32_iu8 v19, v49, v21, 0 neg_lo:[1,1,0]
	v_and_b32_e32 v26, 0xf0f0f0f, v44
	v_dot4_i32_iu8 v21, v49, v29, 0 neg_lo:[1,1,0]
	s_delay_alu instid0(VALU_DEP_2) | instskip(NEXT) | instid1(VALU_DEP_2)
	v_dot4_i32_iu8 v19, v26, v22, v19 neg_lo:[1,1,0]
	v_dot4_i32_iu8 v20, v26, v30, v21 neg_lo:[1,1,0]
	;; [unrolled: 1-line block ×3, first 2 shown]
	s_delay_alu instid0(VALU_DEP_3) | instskip(SKIP_1) | instid1(VALU_DEP_4)
	v_dot4_i32_iu8 v19, v55, v23, v19 neg_lo:[1,1,0]
	v_dual_mul_f32 v23, v40, v24 :: v_dual_and_b32 v66, 14, v66
	v_dot4_i32_iu8 v20, v55, v31, v20 neg_lo:[1,1,0]
	s_delay_alu instid0(VALU_DEP_4) | instskip(NEXT) | instid1(VALU_DEP_3)
	v_cvt_f32_i32_e32 v22, v22
	v_or_b32_e32 v66, 1, v66
	s_delay_alu instid0(VALU_DEP_2) | instskip(NEXT) | instid1(VALU_DEP_2)
	v_add_f32_e32 v22, v60, v22
	v_cvt_f32_ubyte0_e32 v64, v66
	s_delay_alu instid0(VALU_DEP_1) | instskip(NEXT) | instid1(VALU_DEP_1)
	v_dual_mul_f32 v22, v22, v64 :: v_dual_and_b32 v33, 0xf0f0f0f, v43
	v_dot4_i32_iu8 v20, v33, v46, v20 neg_lo:[1,1,0]
	s_delay_alu instid0(VALU_DEP_1) | instskip(NEXT) | instid1(VALU_DEP_1)
	v_cvt_f32_i32_e32 v20, v20
	v_add_f32_e32 v20, v53, v20
	s_delay_alu instid0(VALU_DEP_1) | instskip(SKIP_1) | instid1(VALU_DEP_2)
	v_mul_f32_e32 v20, v20, v42
	v_dot4_i32_iu8 v27, v49, v37, 0 neg_lo:[1,1,0]
	v_fmac_f32_e32 v20, v18, v64
	s_delay_alu instid0(VALU_DEP_2) | instskip(SKIP_1) | instid1(VALU_DEP_3)
	v_dot4_i32_iu8 v21, v26, v38, v27 neg_lo:[1,1,0]
	v_dot4_i32_iu8 v19, v33, v51, v19 neg_lo:[1,1,0]
	v_fmac_f32_e32 v7, v23, v20
	s_delay_alu instid0(VALU_DEP_3) | instskip(NEXT) | instid1(VALU_DEP_3)
	v_dot4_i32_iu8 v21, v55, v39, v21 neg_lo:[1,1,0]
	v_cvt_f32_i32_e32 v19, v19
	s_delay_alu instid0(VALU_DEP_2) | instskip(NEXT) | instid1(VALU_DEP_2)
	v_dot4_i32_iu8 v21, v33, v47, v21 neg_lo:[1,1,0]
	v_dual_add_f32 v19, v48, v19 :: v_dual_add_nc_u32 v12, 32, v12
	s_delay_alu instid0(VALU_DEP_2) | instskip(NEXT) | instid1(VALU_DEP_2)
	v_cvt_f32_i32_e32 v21, v21
	v_mul_f32_e32 v19, v19, v42
	s_delay_alu instid0(VALU_DEP_2) | instskip(NEXT) | instid1(VALU_DEP_2)
	v_add_f32_e32 v21, v41, v21
	v_fmac_f32_e32 v19, v17, v64
	s_delay_alu instid0(VALU_DEP_1) | instskip(NEXT) | instid1(VALU_DEP_1)
	v_dual_fmac_f32 v22, v21, v42 :: v_dual_fmac_f32 v9, v16, v19
	v_fmac_f32_e32 v5, v32, v22
	s_wait_alu 0xfffe
	s_and_not1_b32 exec_lo, exec_lo, s3
	s_cbranch_execnz .LBB222_2
; %bb.3:
	s_or_b32 exec_lo, exec_lo, s3
.LBB222_4:
	s_delay_alu instid0(SALU_CYCLE_1)
	s_or_b32 exec_lo, exec_lo, s21
	s_mov_b32 s3, 0
	; wave barrier
	global_inv scope:SCOPE_SE
	s_mov_b32 s2, exec_lo
	v_cmpx_eq_u32_e32 0, v6
	s_cbranch_execz .LBB222_11
; %bb.5:
	v_mbcnt_lo_u32_b32 v6, -1, 0
	s_load_b64 s[0:1], s[0:1], 0x38
	s_mul_i32 s2, s10, s19
	s_mul_i32 s4, s18, s20
	s_wait_alu 0xfffe
	s_add_co_i32 s2, s2, ttmp9
	v_xor_b32_e32 v0, 16, v6
	v_xor_b32_e32 v1, 8, v6
	;; [unrolled: 1-line block ×3, first 2 shown]
	s_wait_alu 0xfffe
	s_add_co_i32 s2, s2, s4
	s_wait_alu 0xfffe
	s_lshl_b64 s[2:3], s[2:3], 2
	v_cmp_gt_i32_e32 vcc_lo, 32, v0
	s_wait_alu 0xfffd
	v_cndmask_b32_e32 v0, v6, v0, vcc_lo
	v_cmp_gt_i32_e32 vcc_lo, 32, v1
	s_wait_kmcnt 0x0
	s_wait_alu 0xfffe
	s_add_nc_u64 s[0:1], s[0:1], s[2:3]
	s_wait_alu 0xfffd
	v_cndmask_b32_e32 v1, v6, v1, vcc_lo
	s_delay_alu instid0(VALU_DEP_1)
	v_lshlrev_b32_e32 v1, 2, v1
	v_lshlrev_b32_e32 v0, 2, v0
	ds_bpermute_b32 v2, v0, v9
	s_wait_dscnt 0x0
	v_add_f32_e32 v3, v9, v2
	v_xor_b32_e32 v2, 4, v6
	ds_bpermute_b32 v8, v1, v3
	v_cmp_gt_i32_e32 vcc_lo, 32, v2
	s_wait_alu 0xfffd
	v_cndmask_b32_e32 v2, v6, v2, vcc_lo
	s_wait_dscnt 0x0
	v_add_f32_e32 v8, v3, v8
	v_xor_b32_e32 v3, 2, v6
	s_delay_alu instid0(VALU_DEP_1) | instskip(SKIP_3) | instid1(VALU_DEP_2)
	v_cmp_gt_i32_e32 vcc_lo, 32, v3
	s_wait_alu 0xfffd
	v_cndmask_b32_e32 v3, v6, v3, vcc_lo
	v_cmp_gt_i32_e32 vcc_lo, 32, v10
	v_lshlrev_b32_e32 v3, 2, v3
	v_lshlrev_b32_e32 v2, 2, v2
	s_wait_alu 0xfffd
	v_cndmask_b32_e32 v6, v6, v10, vcc_lo
	v_cmp_eq_u32_e32 vcc_lo, 0, v4
	ds_bpermute_b32 v9, v2, v8
	v_lshlrev_b32_e32 v6, 2, v6
	s_wait_dscnt 0x0
	v_add_f32_e32 v8, v8, v9
	ds_bpermute_b32 v9, v3, v8
	s_wait_dscnt 0x0
	v_add_f32_e32 v8, v8, v9
	ds_bpermute_b32 v9, v6, v8
	s_and_saveexec_b32 s2, vcc_lo
	s_cbranch_execz .LBB222_7
; %bb.6:
	s_wait_dscnt 0x0
	v_add_f32_e32 v4, v8, v9
	v_mov_b32_e32 v8, 0
	global_store_b32 v8, v4, s[0:1]
.LBB222_7:
	s_wait_alu 0xfffe
	s_or_b32 exec_lo, exec_lo, s2
	ds_bpermute_b32 v4, v0, v7
	s_wait_dscnt 0x0
	v_add_f32_e32 v4, v7, v4
	ds_bpermute_b32 v7, v1, v4
	s_wait_dscnt 0x0
	v_add_f32_e32 v4, v4, v7
	;; [unrolled: 3-line block ×4, first 2 shown]
	ds_bpermute_b32 v7, v6, v4
	s_and_saveexec_b32 s2, vcc_lo
	s_cbranch_execz .LBB222_9
; %bb.8:
	s_mov_b32 s7, 0
	s_wait_dscnt 0x0
	v_dual_add_f32 v4, v4, v7 :: v_dual_mov_b32 v7, 0
	s_lshl_b64 s[4:5], s[6:7], 2
	s_wait_alu 0xfffe
	s_add_nc_u64 s[4:5], s[0:1], s[4:5]
	global_store_b32 v7, v4, s[4:5]
.LBB222_9:
	s_wait_alu 0xfffe
	s_or_b32 exec_lo, exec_lo, s2
	ds_bpermute_b32 v0, v0, v5
	s_wait_dscnt 0x0
	v_add_f32_e32 v0, v5, v0
	ds_bpermute_b32 v1, v1, v0
	s_wait_dscnt 0x0
	v_add_f32_e32 v0, v0, v1
	;; [unrolled: 3-line block ×4, first 2 shown]
	ds_bpermute_b32 v1, v6, v0
	s_and_b32 exec_lo, exec_lo, vcc_lo
	s_cbranch_execz .LBB222_11
; %bb.10:
	s_lshl_b32 s2, s6, 1
	s_mov_b32 s3, 0
	s_wait_dscnt 0x0
	v_dual_add_f32 v0, v0, v1 :: v_dual_mov_b32 v1, 0
	s_wait_alu 0xfffe
	s_lshl_b64 s[2:3], s[2:3], 2
	s_wait_alu 0xfffe
	s_add_nc_u64 s[0:1], s[0:1], s[2:3]
	global_store_b32 v1, v0, s[0:1]
.LBB222_11:
	s_endpgm
	.section	.rodata,"a",@progbits
	.p2align	6, 0x0
	.amdhsa_kernel _ZL13mul_mat_vec_qIL9ggml_type29ELi3ELb0ELb0EEvPKvS2_PKi31ggml_cuda_mm_fusion_args_devicePfj15HIP_vector_typeIjLj3EEjjjS8_jjjS8_jjjj
		.amdhsa_group_segment_fixed_size 0
		.amdhsa_private_segment_fixed_size 0
		.amdhsa_kernarg_size 144
		.amdhsa_user_sgpr_count 2
		.amdhsa_user_sgpr_dispatch_ptr 0
		.amdhsa_user_sgpr_queue_ptr 0
		.amdhsa_user_sgpr_kernarg_segment_ptr 1
		.amdhsa_user_sgpr_dispatch_id 0
		.amdhsa_user_sgpr_private_segment_size 0
		.amdhsa_wavefront_size32 1
		.amdhsa_uses_dynamic_stack 0
		.amdhsa_enable_private_segment 0
		.amdhsa_system_sgpr_workgroup_id_x 1
		.amdhsa_system_sgpr_workgroup_id_y 1
		.amdhsa_system_sgpr_workgroup_id_z 1
		.amdhsa_system_sgpr_workgroup_info 0
		.amdhsa_system_vgpr_workitem_id 1
		.amdhsa_next_free_vgpr 69
		.amdhsa_next_free_sgpr 30
		.amdhsa_reserve_vcc 1
		.amdhsa_float_round_mode_32 0
		.amdhsa_float_round_mode_16_64 0
		.amdhsa_float_denorm_mode_32 3
		.amdhsa_float_denorm_mode_16_64 3
		.amdhsa_fp16_overflow 0
		.amdhsa_workgroup_processor_mode 1
		.amdhsa_memory_ordered 1
		.amdhsa_forward_progress 1
		.amdhsa_inst_pref_size 21
		.amdhsa_round_robin_scheduling 0
		.amdhsa_exception_fp_ieee_invalid_op 0
		.amdhsa_exception_fp_denorm_src 0
		.amdhsa_exception_fp_ieee_div_zero 0
		.amdhsa_exception_fp_ieee_overflow 0
		.amdhsa_exception_fp_ieee_underflow 0
		.amdhsa_exception_fp_ieee_inexact 0
		.amdhsa_exception_int_div_zero 0
	.end_amdhsa_kernel
	.section	.text._ZL13mul_mat_vec_qIL9ggml_type29ELi3ELb0ELb0EEvPKvS2_PKi31ggml_cuda_mm_fusion_args_devicePfj15HIP_vector_typeIjLj3EEjjjS8_jjjS8_jjjj,"axG",@progbits,_ZL13mul_mat_vec_qIL9ggml_type29ELi3ELb0ELb0EEvPKvS2_PKi31ggml_cuda_mm_fusion_args_devicePfj15HIP_vector_typeIjLj3EEjjjS8_jjjS8_jjjj,comdat
.Lfunc_end222:
	.size	_ZL13mul_mat_vec_qIL9ggml_type29ELi3ELb0ELb0EEvPKvS2_PKi31ggml_cuda_mm_fusion_args_devicePfj15HIP_vector_typeIjLj3EEjjjS8_jjjS8_jjjj, .Lfunc_end222-_ZL13mul_mat_vec_qIL9ggml_type29ELi3ELb0ELb0EEvPKvS2_PKi31ggml_cuda_mm_fusion_args_devicePfj15HIP_vector_typeIjLj3EEjjjS8_jjjS8_jjjj
                                        ; -- End function
	.set _ZL13mul_mat_vec_qIL9ggml_type29ELi3ELb0ELb0EEvPKvS2_PKi31ggml_cuda_mm_fusion_args_devicePfj15HIP_vector_typeIjLj3EEjjjS8_jjjS8_jjjj.num_vgpr, 69
	.set _ZL13mul_mat_vec_qIL9ggml_type29ELi3ELb0ELb0EEvPKvS2_PKi31ggml_cuda_mm_fusion_args_devicePfj15HIP_vector_typeIjLj3EEjjjS8_jjjS8_jjjj.num_agpr, 0
	.set _ZL13mul_mat_vec_qIL9ggml_type29ELi3ELb0ELb0EEvPKvS2_PKi31ggml_cuda_mm_fusion_args_devicePfj15HIP_vector_typeIjLj3EEjjjS8_jjjS8_jjjj.numbered_sgpr, 30
	.set _ZL13mul_mat_vec_qIL9ggml_type29ELi3ELb0ELb0EEvPKvS2_PKi31ggml_cuda_mm_fusion_args_devicePfj15HIP_vector_typeIjLj3EEjjjS8_jjjS8_jjjj.num_named_barrier, 0
	.set _ZL13mul_mat_vec_qIL9ggml_type29ELi3ELb0ELb0EEvPKvS2_PKi31ggml_cuda_mm_fusion_args_devicePfj15HIP_vector_typeIjLj3EEjjjS8_jjjS8_jjjj.private_seg_size, 0
	.set _ZL13mul_mat_vec_qIL9ggml_type29ELi3ELb0ELb0EEvPKvS2_PKi31ggml_cuda_mm_fusion_args_devicePfj15HIP_vector_typeIjLj3EEjjjS8_jjjS8_jjjj.uses_vcc, 1
	.set _ZL13mul_mat_vec_qIL9ggml_type29ELi3ELb0ELb0EEvPKvS2_PKi31ggml_cuda_mm_fusion_args_devicePfj15HIP_vector_typeIjLj3EEjjjS8_jjjS8_jjjj.uses_flat_scratch, 0
	.set _ZL13mul_mat_vec_qIL9ggml_type29ELi3ELb0ELb0EEvPKvS2_PKi31ggml_cuda_mm_fusion_args_devicePfj15HIP_vector_typeIjLj3EEjjjS8_jjjS8_jjjj.has_dyn_sized_stack, 0
	.set _ZL13mul_mat_vec_qIL9ggml_type29ELi3ELb0ELb0EEvPKvS2_PKi31ggml_cuda_mm_fusion_args_devicePfj15HIP_vector_typeIjLj3EEjjjS8_jjjS8_jjjj.has_recursion, 0
	.set _ZL13mul_mat_vec_qIL9ggml_type29ELi3ELb0ELb0EEvPKvS2_PKi31ggml_cuda_mm_fusion_args_devicePfj15HIP_vector_typeIjLj3EEjjjS8_jjjS8_jjjj.has_indirect_call, 0
	.section	.AMDGPU.csdata,"",@progbits
; Kernel info:
; codeLenInByte = 2620
; TotalNumSgprs: 32
; NumVgprs: 69
; ScratchSize: 0
; MemoryBound: 0
; FloatMode: 240
; IeeeMode: 1
; LDSByteSize: 0 bytes/workgroup (compile time only)
; SGPRBlocks: 0
; VGPRBlocks: 8
; NumSGPRsForWavesPerEU: 32
; NumVGPRsForWavesPerEU: 69
; Occupancy: 16
; WaveLimiterHint : 0
; COMPUTE_PGM_RSRC2:SCRATCH_EN: 0
; COMPUTE_PGM_RSRC2:USER_SGPR: 2
; COMPUTE_PGM_RSRC2:TRAP_HANDLER: 0
; COMPUTE_PGM_RSRC2:TGID_X_EN: 1
; COMPUTE_PGM_RSRC2:TGID_Y_EN: 1
; COMPUTE_PGM_RSRC2:TGID_Z_EN: 1
; COMPUTE_PGM_RSRC2:TIDIG_COMP_CNT: 1
	.section	.text._ZL13mul_mat_vec_qIL9ggml_type29ELi4ELb0ELb0EEvPKvS2_PKi31ggml_cuda_mm_fusion_args_devicePfj15HIP_vector_typeIjLj3EEjjjS8_jjjS8_jjjj,"axG",@progbits,_ZL13mul_mat_vec_qIL9ggml_type29ELi4ELb0ELb0EEvPKvS2_PKi31ggml_cuda_mm_fusion_args_devicePfj15HIP_vector_typeIjLj3EEjjjS8_jjjS8_jjjj,comdat
	.globl	_ZL13mul_mat_vec_qIL9ggml_type29ELi4ELb0ELb0EEvPKvS2_PKi31ggml_cuda_mm_fusion_args_devicePfj15HIP_vector_typeIjLj3EEjjjS8_jjjS8_jjjj ; -- Begin function _ZL13mul_mat_vec_qIL9ggml_type29ELi4ELb0ELb0EEvPKvS2_PKi31ggml_cuda_mm_fusion_args_devicePfj15HIP_vector_typeIjLj3EEjjjS8_jjjS8_jjjj
	.p2align	8
	.type	_ZL13mul_mat_vec_qIL9ggml_type29ELi4ELb0ELb0EEvPKvS2_PKi31ggml_cuda_mm_fusion_args_devicePfj15HIP_vector_typeIjLj3EEjjjS8_jjjS8_jjjj,@function
_ZL13mul_mat_vec_qIL9ggml_type29ELi4ELb0ELb0EEvPKvS2_PKi31ggml_cuda_mm_fusion_args_devicePfj15HIP_vector_typeIjLj3EEjjjS8_jjjS8_jjjj: ; @_ZL13mul_mat_vec_qIL9ggml_type29ELi4ELb0ELb0EEvPKvS2_PKi31ggml_cuda_mm_fusion_args_devicePfj15HIP_vector_typeIjLj3EEjjjS8_jjjS8_jjjj
; %bb.0:
	s_clause 0x5
	s_load_b96 s[16:18], s[0:1], 0x80
	s_load_b32 s2, s[0:1], 0x40
	s_load_b128 s[4:7], s[0:1], 0x50
	s_load_b32 s23, s[0:1], 0x60
	s_load_b128 s[8:11], s[0:1], 0x68
	s_load_b32 s24, s[0:1], 0x78
	v_bfe_u32 v8, v0, 10, 10
	v_dual_mov_b32 v6, 0 :: v_dual_and_b32 v5, 0x3ff, v0
	v_mov_b32_e32 v7, 0
	v_mov_b32_e32 v9, 0
	;; [unrolled: 1-line block ×3, first 2 shown]
	s_delay_alu instid0(VALU_DEP_4) | instskip(SKIP_3) | instid1(VALU_DEP_1)
	v_lshl_or_b32 v0, v8, 5, v5
	s_and_b32 s19, ttmp7, 0xffff
	s_lshr_b32 s20, ttmp7, 16
	s_mov_b32 s21, exec_lo
	v_lshrrev_b32_e32 v10, 3, v0
	s_wait_kmcnt 0x0
	s_lshr_b32 s22, s2, 8
	s_delay_alu instid0(VALU_DEP_1) | instid1(SALU_CYCLE_1)
	v_cmpx_gt_u32_e64 s22, v10
	s_cbranch_execz .LBB223_4
; %bb.1:
	v_lshl_add_u32 v0, v8, 5, v5
	s_mov_b32 s3, 0
	s_mul_i32 s26, s9, s19
	s_mov_b32 s27, s3
	s_load_b128 s[12:15], s[0:1], 0x0
	v_lshrrev_b32_e32 v0, 3, v0
	s_mul_u64 s[26:27], s[26:27], 36
	s_mul_i32 s2, s17, s20
	v_dual_mov_b32 v7, 0 :: v_dual_and_b32 v6, 7, v5
	s_delay_alu instid0(VALU_DEP_2)
	v_mad_co_u64_u32 v[0:1], null, 0x120, v0, s[26:27]
	v_and_b32_e32 v9, 1, v5
	s_mul_hi_u32 s7, s7, s19
	v_lshlrev_b32_e32 v4, 3, v10
	s_mul_hi_u32 s11, s11, s20
	s_add_co_i32 s7, s19, s7
	v_cmp_eq_u32_e32 vcc_lo, 1, v9
	s_delay_alu instid0(VALU_DEP_4)
	v_mad_co_u64_u32 v[2:3], null, s2, 36, v[0:1]
	s_add_co_i32 s9, s20, s11
	s_mul_u64 s[28:29], s[2:3], 36
	s_lshr_b32 s7, s7, s23
	s_lshr_b32 s11, s9, s24
	s_mul_i32 s7, s7, s8
	s_wait_kmcnt 0x0
	s_add_nc_u64 s[8:9], s[14:15], s[28:29]
	v_mad_co_u64_u32 v[15:16], null, v6, 36, v[2:3]
	v_mad_co_u64_u32 v[2:3], null, s5, 3, v[4:5]
	v_cndmask_b32_e64 v13, 0, 6, vcc_lo
	s_add_nc_u64 s[8:9], s[8:9], s[26:27]
	v_bfe_u32 v11, v5, 1, 2
	v_mad_co_u64_u32 v[0:1], null, v6, 36, s[8:9]
	v_add_co_u32 v3, vcc_lo, s14, v15
	s_wait_alu 0xfffd
	v_add_co_ci_u32_e64 v9, null, s15, v16, vcc_lo
	s_mul_i32 s4, s4, ttmp9
	v_add_co_u32 v3, vcc_lo, v3, 16
	v_lshlrev_b32_e32 v12, 1, v6
	v_add_nc_u32_e32 v14, s5, v4
	v_lshl_add_u32 v15, s5, 1, v4
	s_wait_alu 0xfffd
	v_add_co_ci_u32_e64 v4, null, 0, v9, vcc_lo
	v_lshlrev_b32_e32 v16, 2, v6
	v_dual_mov_b32 v6, 0 :: v_dual_lshlrev_b32 v17, 1, v11
	v_mov_b32_e32 v11, 0
	v_mov_b32_e32 v9, 0
	s_mul_i32 s11, s11, s16
	s_wait_alu 0xfffe
	s_add_co_i32 s7, s7, s4
	s_delay_alu instid0(SALU_CYCLE_1)
	s_add_co_i32 s2, s11, s7
	s_mov_b32 s7, 0xbd000000
.LBB223_2:                              ; =>This Inner Loop Header: Depth=1
	s_wait_alu 0xfffe
	v_add_nc_u32_e32 v18, s2, v10
	v_mad_co_u64_u32 v[34:35], null, v14, 36, v[0:1]
	v_mad_co_u64_u32 v[38:39], null, v15, 36, v[0:1]
	s_delay_alu instid0(VALU_DEP_3)
	v_mad_co_i64_i32 v[50:51], null, v18, 56, s[12:13]
	v_mad_co_u64_u32 v[52:53], null, v2, 36, v[0:1]
	s_getpc_b64 s[4:5]
	s_wait_alu 0xfffe
	s_sext_i32_i16 s5, s5
	s_add_co_u32 s4, s4, _ZL13iq1s_grid_gpu@rel32@lo+12
	s_wait_alu 0xfffe
	s_add_co_ci_u32 s5, s5, _ZL13iq1s_grid_gpu@rel32@hi+24
	v_add_co_u32 v18, vcc_lo, v50, v16
	s_wait_alu 0xfffd
	v_add_co_ci_u32_e64 v19, null, 0, v51, vcc_lo
	v_add_co_u32 v20, vcc_lo, v50, v12
	s_wait_alu 0xfffd
	v_add_co_ci_u32_e64 v21, null, 0, v51, vcc_lo
	;; [unrolled: 3-line block ×3, first 2 shown]
	s_clause 0x1
	global_load_b32 v56, v[18:19], off
	global_load_u16 v57, v[20:21], off offset:32
	s_clause 0x2
	global_load_b32 v58, v[3:4], off offset:16
	global_load_b128 v[18:21], v[3:4], off offset:-16
	global_load_b128 v[22:25], v[3:4], off
	s_clause 0x7
	global_load_b128 v[26:29], v[34:35], off
	global_load_b128 v[30:33], v[34:35], off offset:16
	global_load_b32 v59, v[34:35], off offset:32
	global_load_b128 v[34:37], v[38:39], off
	global_load_b32 v60, v[38:39], off offset:32
	global_load_b128 v[38:41], v[38:39], off offset:16
	global_load_b128 v[42:45], v[52:53], off
	global_load_b128 v[46:49], v[52:53], off offset:16
	s_clause 0x1
	global_load_u16 v54, v[54:55], off offset:48
	global_load_b64 v[50:51], v[50:51], off offset:48
	v_add_co_u32 v3, vcc_lo, 0x480, v3
	s_wait_alu 0xfffd
	v_add_co_ci_u32_e64 v4, null, 0, v4, vcc_lo
	s_wait_loadcnt 0xb
	v_cvt_f32_f16_e32 v18, v18
	s_wait_loadcnt 0xa
	v_dot4_i32_iu8 v66, v25, 0x1010101, 0 neg_lo:[1,1,0]
	s_wait_loadcnt 0x9
	v_cvt_f32_f16_e32 v26, v26
	s_wait_loadcnt 0x8
	v_dot4_i32_iu8 v70, v33, 0x1010101, 0 neg_lo:[1,1,0]
	v_dot4_i32_iu8 v67, v27, 0x1010101, 0 neg_lo:[1,1,0]
	s_wait_loadcnt 0x6
	v_cvt_f32_f16_e32 v34, v34
	v_dot4_i32_iu8 v71, v35, 0x1010101, 0 neg_lo:[1,1,0]
	s_wait_loadcnt 0x4
	v_dot4_i32_iu8 v74, v41, 0x1010101, 0 neg_lo:[1,1,0]
	v_dot4_i32_iu8 v70, v59, 0x1010101, v70 neg_lo:[1,1,0]
	s_wait_loadcnt 0x1
	v_lshrrev_b32_e32 v54, v13, v54
	s_wait_loadcnt 0x0
	v_pk_lshrrev_b16 v50, 0x8000c, v50
	v_pk_lshrrev_b16 v51, 4, v51
	v_dot4_i32_iu8 v74, v60, 0x1010101, v74 neg_lo:[1,1,0]
	v_lshrrev_b16 v61, 8, v57
	v_lshlrev_b32_e32 v81, 1, v54
	v_lshrrev_b32_e32 v80, 16, v50
	v_and_b32_e32 v51, 0xf0000f00, v51
	v_cvt_f32_i32_e32 v74, v74
	v_lshrrev_b32_e32 v54, 2, v54
	v_dot4_i32_iu8 v66, v58, 0x1010101, v66 neg_lo:[1,1,0]
	v_and_b32_e32 v80, 0xf0, v80
	v_lshrrev_b32_e32 v83, 16, v51
	v_cvt_f32_i32_e32 v70, v70
	v_and_b32_e32 v54, 14, v54
	v_lshlrev_b32_e32 v63, 8, v57
	v_or_b32_e32 v50, v80, v50
	v_bfe_u32 v64, v56, 8, 8
	v_dot4_i32_iu8 v72, v37, 0x1010101, 0 neg_lo:[1,1,0]
	v_or_b32_e32 v54, 1, v54
	v_cvt_f32_i32_e32 v66, v66
	v_or_b32_e32 v50, v50, v51
	v_and_b32_e32 v62, 0xff, v56
	v_dot4_i32_iu8 v71, v36, 0x1010101, v71 neg_lo:[1,1,0]
	v_cvt_f32_ubyte0_e32 v54, v54
	v_and_b32_e32 v79, 8, v57
	v_or_b32_e32 v50, v50, v83
	v_and_or_b32 v62, 0x700, v63, v62
	v_dot4_i32_iu8 v72, v38, 0x1010101, v72 neg_lo:[1,1,0]
	v_cvt_f32_i32_e32 v71, v71
	v_cvt_f32_ubyte0_e32 v79, v79
	v_cvt_f32_f16_e32 v50, v50
	v_lshlrev_b32_e32 v65, 4, v57
	v_bfe_u32 v57, v57, 4, 4
	v_and_b32_e32 v61, 0xffff, v61
	s_delay_alu instid0(VALU_DEP_4) | instskip(NEXT) | instid1(VALU_DEP_4)
	v_dual_fmaak_f32 v79, s7, v79, 0xbf600000 :: v_dual_mul_f32 v26, v50, v26
	v_and_or_b32 v63, 0x700, v65, v64
	s_delay_alu instid0(VALU_DEP_4) | instskip(NEXT) | instid1(VALU_DEP_4)
	v_dual_mul_f32 v18, v50, v18 :: v_dual_and_b32 v57, 8, v57
	v_lshlrev_b32_e32 v64, 8, v61
	v_dot4_i32_iu8 v68, v29, 0x1010101, 0 neg_lo:[1,1,0]
	v_dot4_i32_iu8 v67, v28, 0x1010101, v67 neg_lo:[1,1,0]
	s_delay_alu instid0(VALU_DEP_4)
	v_cvt_f32_ubyte0_e32 v57, v57
	v_lshrrev_b32_e32 v55, 24, v56
	v_bfe_u32 v56, v56, 16, 8
	v_lshlrev_b32_e32 v62, 2, v62
	v_cvt_f32_f16_e32 v42, v42
	v_lshlrev_b32_e32 v65, 4, v61
	v_cvt_f32_i32_e32 v72, v72
	v_fmaak_f32 v57, s7, v57, 0xbf600000
	v_fma_f32 v71, v79, v71, 0
	v_and_b32_e32 v82, 8, v61
	v_lshrrev_b32_e32 v61, 4, v61
	v_dot4_i32_iu8 v68, v30, 0x1010101, v68 neg_lo:[1,1,0]
	v_cvt_f32_i32_e32 v67, v67
	v_and_or_b32 v56, 0x700, v64, v56
	s_delay_alu instid0(VALU_DEP_4)
	v_dual_mul_f32 v42, v50, v42 :: v_dual_and_b32 v61, 8, v61
	v_and_or_b32 v55, 0x700, v65, v55
	v_cvt_f32_i32_e32 v68, v68
	v_fma_f32 v67, v79, v67, 0
	v_dot4_i32_iu8 v75, v43, 0x1010101, 0 neg_lo:[1,1,0]
	v_cvt_f32_ubyte0_e32 v61, v61
	v_lshlrev_b32_e32 v56, 2, v56
	v_lshlrev_b32_e32 v55, 2, v55
	v_fmac_f32_e32 v67, v57, v68
	v_lshlrev_b32_e32 v63, 2, v63
	s_clause 0x3
	global_load_b32 v62, v62, s[4:5]
	global_load_b32 v63, v63, s[4:5]
	;; [unrolled: 1-line block ×4, first 2 shown]
	global_load_b32 v52, v[52:53], off offset:32
	v_dot4_i32_iu8 v53, v19, 0x1010101, 0 neg_lo:[1,1,0]
	v_dot4_i32_iu8 v64, v21, 0x1010101, 0 neg_lo:[1,1,0]
	;; [unrolled: 1-line block ×12, first 2 shown]
	v_cvt_f32_i32_e32 v53, v53
	v_dot4_i32_iu8 v69, v32, 0x1010101, v69 neg_lo:[1,1,0]
	v_dot4_i32_iu8 v73, v40, 0x1010101, v73 neg_lo:[1,1,0]
	;; [unrolled: 1-line block ×4, first 2 shown]
	v_cvt_f32_i32_e32 v75, v75
	v_fmac_f32_e32 v71, v57, v72
	v_cvt_f32_ubyte0_e32 v80, v82
	v_add_nc_u32_e32 v10, 4, v10
	v_cvt_f32_i32_e32 v65, v65
	v_cvt_f32_i32_e32 v64, v64
	;; [unrolled: 1-line block ×6, first 2 shown]
	v_fma_f32 v53, v79, v53, 0
	v_fma_f32 v75, v79, v75, 0
	v_dual_fmaak_f32 v51, s7, v80, 0xbf600000 :: v_dual_add_nc_u32 v14, 32, v14
	s_delay_alu instid0(VALU_DEP_3) | instskip(NEXT) | instid1(VALU_DEP_3)
	v_dual_fmac_f32 v53, v57, v64 :: v_dual_add_nc_u32 v2, 32, v2
	v_fmac_f32_e32 v75, v57, v76
	v_fmaak_f32 v57, s7, v61, 0xbf600000
	s_delay_alu instid0(VALU_DEP_4)
	v_fma_f32 v61, v51, v65, 0
	v_fma_f32 v64, v51, v69, 0
	;; [unrolled: 1-line block ×4, first 2 shown]
	v_cmp_le_u32_e32 vcc_lo, s22, v10
	v_fmac_f32_e32 v61, v57, v66
	v_fmac_f32_e32 v64, v57, v70
	;; [unrolled: 1-line block ×3, first 2 shown]
	s_or_b32 s3, vcc_lo, s3
	s_wait_loadcnt 0x3
	v_lshrrev_b32_e32 v66, 4, v63
	s_wait_loadcnt 0x0
	v_dot4_i32_iu8 v78, v52, 0x1010101, v78 neg_lo:[1,1,0]
	v_and_b32_e32 v63, 0xf0f0f0f, v63
	v_and_b32_e32 v68, 0xf0f0f0f, v55
	v_lshrrev_b32_e32 v55, 4, v55
	v_and_b32_e32 v66, 0xf0f0f0f, v66
	v_cvt_f32_i32_e32 v78, v78
	s_delay_alu instid0(VALU_DEP_1) | instskip(SKIP_2) | instid1(VALU_DEP_2)
	v_fmac_f32_e32 v51, v57, v78
	v_lshrrev_b32_e32 v57, 4, v62
	v_and_b32_e32 v62, 0xf0f0f0f, v62
	v_and_b32_e32 v57, 0xf0f0f0f, v57
	s_delay_alu instid0(VALU_DEP_2)
	v_dot4_i32_iu8 v19, v62, v19, 0 neg_lo:[1,1,0]
	v_dot4_i32_iu8 v27, v62, v27, 0 neg_lo:[1,1,0]
	;; [unrolled: 1-line block ×4, first 2 shown]
	v_and_b32_e32 v62, 0xf0f0f0f, v56
	v_lshrrev_b32_e32 v56, 4, v56
	v_dot4_i32_iu8 v19, v57, v20, v19 neg_lo:[1,1,0]
	v_dot4_i32_iu8 v20, v57, v28, v27 neg_lo:[1,1,0]
	;; [unrolled: 1-line block ×3, first 2 shown]
	v_and_b32_e32 v36, 0xf0f0f0f, v55
	v_and_b32_e32 v35, 0xf0f0f0f, v56
	v_dot4_i32_iu8 v19, v63, v21, v19 neg_lo:[1,1,0]
	v_dot4_i32_iu8 v21, v62, v23, 0 neg_lo:[1,1,0]
	;; [unrolled: 1-line block ×14, first 2 shown]
	v_cvt_f32_i32_e32 v23, v23
	v_cvt_f32_i32_e32 v19, v19
	v_dot4_i32_iu8 v21, v36, v58, v21 neg_lo:[1,1,0]
	v_dot4_i32_iu8 v24, v35, v40, v29 neg_lo:[1,1,0]
	;; [unrolled: 1-line block ×3, first 2 shown]
	v_add_f32_e32 v23, v71, v23
	v_dot4_i32_iu8 v20, v66, v30, v20 neg_lo:[1,1,0]
	v_cvt_f32_i32_e32 v21, v21
	v_add_f32_e32 v19, v53, v19
	v_dot4_i32_iu8 v28, v66, v46, v28 neg_lo:[1,1,0]
	s_delay_alu instid0(VALU_DEP_4) | instskip(NEXT) | instid1(VALU_DEP_4)
	v_cvt_f32_i32_e32 v20, v20
	v_add_f32_e32 v21, v61, v21
	v_dot4_i32_iu8 v25, v68, v49, v27 neg_lo:[1,1,0]
	v_dot4_i32_iu8 v24, v68, v41, v24 neg_lo:[1,1,0]
	;; [unrolled: 1-line block ×3, first 2 shown]
	v_cvt_f32_i32_e32 v27, v28
	v_add_f32_e32 v20, v67, v20
	v_dot4_i32_iu8 v25, v36, v52, v25 neg_lo:[1,1,0]
	v_mul_f32_e32 v21, v21, v54
	s_delay_alu instid0(VALU_DEP_4) | instskip(NEXT) | instid1(VALU_DEP_3)
	v_dual_mul_f32 v28, v50, v34 :: v_dual_add_f32 v27, v75, v27
	v_cvt_f32_i32_e32 v25, v25
	s_delay_alu instid0(VALU_DEP_1) | instskip(SKIP_2) | instid1(VALU_DEP_2)
	v_add_f32_e32 v25, v51, v25
	v_dot4_i32_iu8 v24, v36, v60, v24 neg_lo:[1,1,0]
	v_dot4_i32_iu8 v22, v36, v59, v22 neg_lo:[1,1,0]
	v_cvt_f32_i32_e32 v24, v24
	s_delay_alu instid0(VALU_DEP_2) | instskip(NEXT) | instid1(VALU_DEP_2)
	v_cvt_f32_i32_e32 v22, v22
	v_dual_add_f32 v24, v65, v24 :: v_dual_add_nc_u32 v15, 32, v15
	s_delay_alu instid0(VALU_DEP_2) | instskip(NEXT) | instid1(VALU_DEP_2)
	v_add_f32_e32 v22, v64, v22
	v_dual_mul_f32 v24, v24, v54 :: v_dual_and_b32 v81, 14, v81
	s_delay_alu instid0(VALU_DEP_1) | instskip(NEXT) | instid1(VALU_DEP_1)
	v_or_b32_e32 v81, 1, v81
	v_cvt_f32_ubyte0_e32 v79, v81
	s_delay_alu instid0(VALU_DEP_1) | instskip(SKIP_3) | instid1(VALU_DEP_4)
	v_mul_f32_e32 v20, v20, v79
	v_mul_f32_e32 v27, v27, v79
	v_fmac_f32_e32 v21, v19, v79
	v_fmac_f32_e32 v24, v23, v79
	;; [unrolled: 1-line block ×3, first 2 shown]
	s_delay_alu instid0(VALU_DEP_4) | instskip(NEXT) | instid1(VALU_DEP_4)
	v_fmac_f32_e32 v27, v25, v54
	v_fmac_f32_e32 v11, v18, v21
	s_delay_alu instid0(VALU_DEP_4) | instskip(NEXT) | instid1(VALU_DEP_4)
	v_fmac_f32_e32 v7, v28, v24
	v_fmac_f32_e32 v9, v26, v20
	s_delay_alu instid0(VALU_DEP_4)
	v_fmac_f32_e32 v6, v42, v27
	s_wait_alu 0xfffe
	s_and_not1_b32 exec_lo, exec_lo, s3
	s_cbranch_execnz .LBB223_2
; %bb.3:
	s_or_b32 exec_lo, exec_lo, s3
.LBB223_4:
	s_delay_alu instid0(SALU_CYCLE_1)
	s_or_b32 exec_lo, exec_lo, s21
	s_mov_b32 s3, 0
	; wave barrier
	global_inv scope:SCOPE_SE
	s_mov_b32 s2, exec_lo
	v_cmpx_eq_u32_e32 0, v8
	s_cbranch_execz .LBB223_13
; %bb.5:
	v_mbcnt_lo_u32_b32 v4, -1, 0
	s_load_b64 s[0:1], s[0:1], 0x38
	s_mul_i32 s2, s10, s19
	s_mul_i32 s4, s18, s20
	s_wait_alu 0xfffe
	s_add_co_i32 s2, s2, ttmp9
	v_xor_b32_e32 v0, 16, v4
	v_xor_b32_e32 v1, 8, v4
	s_wait_alu 0xfffe
	s_add_co_i32 s2, s2, s4
	s_wait_alu 0xfffe
	s_lshl_b64 s[2:3], s[2:3], 2
	v_cmp_gt_i32_e32 vcc_lo, 32, v0
	s_wait_alu 0xfffd
	v_cndmask_b32_e32 v0, v4, v0, vcc_lo
	v_cmp_gt_i32_e32 vcc_lo, 32, v1
	s_wait_alu 0xfffd
	v_cndmask_b32_e32 v1, v4, v1, vcc_lo
	s_wait_kmcnt 0x0
	s_wait_alu 0xfffe
	s_add_nc_u64 s[0:1], s[0:1], s[2:3]
	s_delay_alu instid0(VALU_DEP_1)
	v_lshlrev_b32_e32 v1, 2, v1
	v_lshlrev_b32_e32 v0, 2, v0
	ds_bpermute_b32 v2, v0, v11
	s_wait_dscnt 0x0
	v_add_f32_e32 v3, v11, v2
	v_xor_b32_e32 v2, 4, v4
	v_xor_b32_e32 v11, 1, v4
	ds_bpermute_b32 v8, v1, v3
	v_cmp_gt_i32_e32 vcc_lo, 32, v2
	s_wait_alu 0xfffd
	v_cndmask_b32_e32 v2, v4, v2, vcc_lo
	s_wait_dscnt 0x0
	v_add_f32_e32 v8, v3, v8
	v_xor_b32_e32 v3, 2, v4
	s_delay_alu instid0(VALU_DEP_1) | instskip(SKIP_3) | instid1(VALU_DEP_2)
	v_cmp_gt_i32_e32 vcc_lo, 32, v3
	s_wait_alu 0xfffd
	v_cndmask_b32_e32 v3, v4, v3, vcc_lo
	v_cmp_gt_i32_e32 vcc_lo, 32, v11
	v_lshlrev_b32_e32 v3, 2, v3
	v_lshlrev_b32_e32 v2, 2, v2
	s_wait_alu 0xfffd
	v_cndmask_b32_e32 v4, v4, v11, vcc_lo
	v_cmp_eq_u32_e32 vcc_lo, 0, v5
	ds_bpermute_b32 v10, v2, v8
	v_lshlrev_b32_e32 v4, 2, v4
	s_wait_dscnt 0x0
	v_add_f32_e32 v8, v8, v10
	ds_bpermute_b32 v10, v3, v8
	s_wait_dscnt 0x0
	v_add_f32_e32 v8, v8, v10
	ds_bpermute_b32 v10, v4, v8
	s_and_saveexec_b32 s2, vcc_lo
	s_cbranch_execz .LBB223_7
; %bb.6:
	s_wait_dscnt 0x0
	v_dual_add_f32 v5, v8, v10 :: v_dual_mov_b32 v8, 0
	global_store_b32 v8, v5, s[0:1]
.LBB223_7:
	s_wait_alu 0xfffe
	s_or_b32 exec_lo, exec_lo, s2
	ds_bpermute_b32 v5, v0, v9
	s_wait_dscnt 0x0
	v_add_f32_e32 v5, v9, v5
	ds_bpermute_b32 v8, v1, v5
	s_wait_dscnt 0x0
	v_add_f32_e32 v5, v5, v8
	;; [unrolled: 3-line block ×4, first 2 shown]
	ds_bpermute_b32 v8, v4, v5
	s_and_saveexec_b32 s2, vcc_lo
	s_cbranch_execz .LBB223_9
; %bb.8:
	s_mov_b32 s7, 0
	s_wait_dscnt 0x0
	v_dual_add_f32 v5, v5, v8 :: v_dual_mov_b32 v8, 0
	s_wait_alu 0xfffe
	s_lshl_b64 s[4:5], s[6:7], 2
	s_wait_alu 0xfffe
	s_add_nc_u64 s[4:5], s[0:1], s[4:5]
	global_store_b32 v8, v5, s[4:5]
.LBB223_9:
	s_wait_alu 0xfffe
	s_or_b32 exec_lo, exec_lo, s2
	ds_bpermute_b32 v5, v0, v7
	s_wait_dscnt 0x0
	v_add_f32_e32 v5, v7, v5
	ds_bpermute_b32 v7, v1, v5
	s_wait_dscnt 0x0
	v_add_f32_e32 v5, v5, v7
	;; [unrolled: 3-line block ×4, first 2 shown]
	ds_bpermute_b32 v7, v4, v5
	s_and_saveexec_b32 s2, vcc_lo
	s_cbranch_execz .LBB223_11
; %bb.10:
	s_lshl_b32 s4, s6, 1
	s_mov_b32 s5, 0
	s_wait_dscnt 0x0
	v_add_f32_e32 v5, v5, v7
	v_mov_b32_e32 v7, 0
	s_wait_alu 0xfffe
	s_lshl_b64 s[4:5], s[4:5], 2
	s_wait_alu 0xfffe
	s_add_nc_u64 s[4:5], s[0:1], s[4:5]
	global_store_b32 v7, v5, s[4:5]
.LBB223_11:
	s_wait_alu 0xfffe
	s_or_b32 exec_lo, exec_lo, s2
	ds_bpermute_b32 v0, v0, v6
	s_wait_dscnt 0x0
	v_add_f32_e32 v0, v6, v0
	ds_bpermute_b32 v1, v1, v0
	s_wait_dscnt 0x0
	v_add_f32_e32 v0, v0, v1
	;; [unrolled: 3-line block ×4, first 2 shown]
	ds_bpermute_b32 v1, v4, v0
	s_and_b32 exec_lo, exec_lo, vcc_lo
	s_cbranch_execz .LBB223_13
; %bb.12:
	s_mul_i32 s2, s6, 3
	s_mov_b32 s3, 0
	s_wait_dscnt 0x0
	v_dual_add_f32 v0, v0, v1 :: v_dual_mov_b32 v1, 0
	s_wait_alu 0xfffe
	s_lshl_b64 s[2:3], s[2:3], 2
	s_wait_alu 0xfffe
	s_add_nc_u64 s[0:1], s[0:1], s[2:3]
	global_store_b32 v1, v0, s[0:1]
.LBB223_13:
	s_endpgm
	.section	.rodata,"a",@progbits
	.p2align	6, 0x0
	.amdhsa_kernel _ZL13mul_mat_vec_qIL9ggml_type29ELi4ELb0ELb0EEvPKvS2_PKi31ggml_cuda_mm_fusion_args_devicePfj15HIP_vector_typeIjLj3EEjjjS8_jjjS8_jjjj
		.amdhsa_group_segment_fixed_size 0
		.amdhsa_private_segment_fixed_size 0
		.amdhsa_kernarg_size 144
		.amdhsa_user_sgpr_count 2
		.amdhsa_user_sgpr_dispatch_ptr 0
		.amdhsa_user_sgpr_queue_ptr 0
		.amdhsa_user_sgpr_kernarg_segment_ptr 1
		.amdhsa_user_sgpr_dispatch_id 0
		.amdhsa_user_sgpr_private_segment_size 0
		.amdhsa_wavefront_size32 1
		.amdhsa_uses_dynamic_stack 0
		.amdhsa_enable_private_segment 0
		.amdhsa_system_sgpr_workgroup_id_x 1
		.amdhsa_system_sgpr_workgroup_id_y 1
		.amdhsa_system_sgpr_workgroup_id_z 1
		.amdhsa_system_sgpr_workgroup_info 0
		.amdhsa_system_vgpr_workitem_id 1
		.amdhsa_next_free_vgpr 84
		.amdhsa_next_free_sgpr 30
		.amdhsa_reserve_vcc 1
		.amdhsa_float_round_mode_32 0
		.amdhsa_float_round_mode_16_64 0
		.amdhsa_float_denorm_mode_32 3
		.amdhsa_float_denorm_mode_16_64 3
		.amdhsa_fp16_overflow 0
		.amdhsa_workgroup_processor_mode 1
		.amdhsa_memory_ordered 1
		.amdhsa_forward_progress 1
		.amdhsa_inst_pref_size 24
		.amdhsa_round_robin_scheduling 0
		.amdhsa_exception_fp_ieee_invalid_op 0
		.amdhsa_exception_fp_denorm_src 0
		.amdhsa_exception_fp_ieee_div_zero 0
		.amdhsa_exception_fp_ieee_overflow 0
		.amdhsa_exception_fp_ieee_underflow 0
		.amdhsa_exception_fp_ieee_inexact 0
		.amdhsa_exception_int_div_zero 0
	.end_amdhsa_kernel
	.section	.text._ZL13mul_mat_vec_qIL9ggml_type29ELi4ELb0ELb0EEvPKvS2_PKi31ggml_cuda_mm_fusion_args_devicePfj15HIP_vector_typeIjLj3EEjjjS8_jjjS8_jjjj,"axG",@progbits,_ZL13mul_mat_vec_qIL9ggml_type29ELi4ELb0ELb0EEvPKvS2_PKi31ggml_cuda_mm_fusion_args_devicePfj15HIP_vector_typeIjLj3EEjjjS8_jjjS8_jjjj,comdat
.Lfunc_end223:
	.size	_ZL13mul_mat_vec_qIL9ggml_type29ELi4ELb0ELb0EEvPKvS2_PKi31ggml_cuda_mm_fusion_args_devicePfj15HIP_vector_typeIjLj3EEjjjS8_jjjS8_jjjj, .Lfunc_end223-_ZL13mul_mat_vec_qIL9ggml_type29ELi4ELb0ELb0EEvPKvS2_PKi31ggml_cuda_mm_fusion_args_devicePfj15HIP_vector_typeIjLj3EEjjjS8_jjjS8_jjjj
                                        ; -- End function
	.set _ZL13mul_mat_vec_qIL9ggml_type29ELi4ELb0ELb0EEvPKvS2_PKi31ggml_cuda_mm_fusion_args_devicePfj15HIP_vector_typeIjLj3EEjjjS8_jjjS8_jjjj.num_vgpr, 84
	.set _ZL13mul_mat_vec_qIL9ggml_type29ELi4ELb0ELb0EEvPKvS2_PKi31ggml_cuda_mm_fusion_args_devicePfj15HIP_vector_typeIjLj3EEjjjS8_jjjS8_jjjj.num_agpr, 0
	.set _ZL13mul_mat_vec_qIL9ggml_type29ELi4ELb0ELb0EEvPKvS2_PKi31ggml_cuda_mm_fusion_args_devicePfj15HIP_vector_typeIjLj3EEjjjS8_jjjS8_jjjj.numbered_sgpr, 30
	.set _ZL13mul_mat_vec_qIL9ggml_type29ELi4ELb0ELb0EEvPKvS2_PKi31ggml_cuda_mm_fusion_args_devicePfj15HIP_vector_typeIjLj3EEjjjS8_jjjS8_jjjj.num_named_barrier, 0
	.set _ZL13mul_mat_vec_qIL9ggml_type29ELi4ELb0ELb0EEvPKvS2_PKi31ggml_cuda_mm_fusion_args_devicePfj15HIP_vector_typeIjLj3EEjjjS8_jjjS8_jjjj.private_seg_size, 0
	.set _ZL13mul_mat_vec_qIL9ggml_type29ELi4ELb0ELb0EEvPKvS2_PKi31ggml_cuda_mm_fusion_args_devicePfj15HIP_vector_typeIjLj3EEjjjS8_jjjS8_jjjj.uses_vcc, 1
	.set _ZL13mul_mat_vec_qIL9ggml_type29ELi4ELb0ELb0EEvPKvS2_PKi31ggml_cuda_mm_fusion_args_devicePfj15HIP_vector_typeIjLj3EEjjjS8_jjjS8_jjjj.uses_flat_scratch, 0
	.set _ZL13mul_mat_vec_qIL9ggml_type29ELi4ELb0ELb0EEvPKvS2_PKi31ggml_cuda_mm_fusion_args_devicePfj15HIP_vector_typeIjLj3EEjjjS8_jjjS8_jjjj.has_dyn_sized_stack, 0
	.set _ZL13mul_mat_vec_qIL9ggml_type29ELi4ELb0ELb0EEvPKvS2_PKi31ggml_cuda_mm_fusion_args_devicePfj15HIP_vector_typeIjLj3EEjjjS8_jjjS8_jjjj.has_recursion, 0
	.set _ZL13mul_mat_vec_qIL9ggml_type29ELi4ELb0ELb0EEvPKvS2_PKi31ggml_cuda_mm_fusion_args_devicePfj15HIP_vector_typeIjLj3EEjjjS8_jjjS8_jjjj.has_indirect_call, 0
	.section	.AMDGPU.csdata,"",@progbits
; Kernel info:
; codeLenInByte = 3032
; TotalNumSgprs: 32
; NumVgprs: 84
; ScratchSize: 0
; MemoryBound: 0
; FloatMode: 240
; IeeeMode: 1
; LDSByteSize: 0 bytes/workgroup (compile time only)
; SGPRBlocks: 0
; VGPRBlocks: 10
; NumSGPRsForWavesPerEU: 32
; NumVGPRsForWavesPerEU: 84
; Occupancy: 16
; WaveLimiterHint : 0
; COMPUTE_PGM_RSRC2:SCRATCH_EN: 0
; COMPUTE_PGM_RSRC2:USER_SGPR: 2
; COMPUTE_PGM_RSRC2:TRAP_HANDLER: 0
; COMPUTE_PGM_RSRC2:TGID_X_EN: 1
; COMPUTE_PGM_RSRC2:TGID_Y_EN: 1
; COMPUTE_PGM_RSRC2:TGID_Z_EN: 1
; COMPUTE_PGM_RSRC2:TIDIG_COMP_CNT: 1
	.section	.text._ZL13mul_mat_vec_qIL9ggml_type29ELi5ELb0ELb0EEvPKvS2_PKi31ggml_cuda_mm_fusion_args_devicePfj15HIP_vector_typeIjLj3EEjjjS8_jjjS8_jjjj,"axG",@progbits,_ZL13mul_mat_vec_qIL9ggml_type29ELi5ELb0ELb0EEvPKvS2_PKi31ggml_cuda_mm_fusion_args_devicePfj15HIP_vector_typeIjLj3EEjjjS8_jjjS8_jjjj,comdat
	.globl	_ZL13mul_mat_vec_qIL9ggml_type29ELi5ELb0ELb0EEvPKvS2_PKi31ggml_cuda_mm_fusion_args_devicePfj15HIP_vector_typeIjLj3EEjjjS8_jjjS8_jjjj ; -- Begin function _ZL13mul_mat_vec_qIL9ggml_type29ELi5ELb0ELb0EEvPKvS2_PKi31ggml_cuda_mm_fusion_args_devicePfj15HIP_vector_typeIjLj3EEjjjS8_jjjS8_jjjj
	.p2align	8
	.type	_ZL13mul_mat_vec_qIL9ggml_type29ELi5ELb0ELb0EEvPKvS2_PKi31ggml_cuda_mm_fusion_args_devicePfj15HIP_vector_typeIjLj3EEjjjS8_jjjS8_jjjj,@function
_ZL13mul_mat_vec_qIL9ggml_type29ELi5ELb0ELb0EEvPKvS2_PKi31ggml_cuda_mm_fusion_args_devicePfj15HIP_vector_typeIjLj3EEjjjS8_jjjS8_jjjj: ; @_ZL13mul_mat_vec_qIL9ggml_type29ELi5ELb0ELb0EEvPKvS2_PKi31ggml_cuda_mm_fusion_args_devicePfj15HIP_vector_typeIjLj3EEjjjS8_jjjS8_jjjj
; %bb.0:
	s_clause 0x5
	s_load_b96 s[16:18], s[0:1], 0x80
	s_load_b32 s2, s[0:1], 0x40
	s_load_b128 s[4:7], s[0:1], 0x50
	s_load_b32 s23, s[0:1], 0x60
	s_load_b128 s[8:11], s[0:1], 0x68
	s_load_b32 s24, s[0:1], 0x78
	v_bfe_u32 v9, v0, 10, 10
	v_dual_mov_b32 v6, 0 :: v_dual_and_b32 v5, 0x3ff, v0
	v_dual_mov_b32 v7, 0 :: v_dual_mov_b32 v8, 0
	v_mov_b32_e32 v10, 0
	s_delay_alu instid0(VALU_DEP_3)
	v_lshl_or_b32 v0, v9, 5, v5
	v_mov_b32_e32 v12, 0
	s_and_b32 s19, ttmp7, 0xffff
	s_lshr_b32 s20, ttmp7, 16
	s_mov_b32 s21, exec_lo
	v_lshrrev_b32_e32 v11, 3, v0
	s_wait_kmcnt 0x0
	s_lshr_b32 s22, s2, 8
	s_delay_alu instid0(VALU_DEP_1) | instid1(SALU_CYCLE_1)
	v_cmpx_gt_u32_e64 s22, v11
	s_cbranch_execz .LBB224_4
; %bb.1:
	v_lshl_add_u32 v0, v9, 5, v5
	s_mov_b32 s3, 0
	s_mul_i32 s26, s9, s19
	s_mov_b32 s27, s3
	s_load_b128 s[12:15], s[0:1], 0x0
	v_lshrrev_b32_e32 v0, 3, v0
	s_mul_u64 s[26:27], s[26:27], 36
	s_mul_i32 s2, s17, s20
	v_and_b32_e32 v8, 7, v5
	v_and_b32_e32 v10, 1, v5
	v_mad_co_u64_u32 v[0:1], null, 0x120, v0, s[26:27]
	s_mul_hi_u32 s7, s7, s19
	v_lshlrev_b32_e32 v4, 3, v11
	v_cmp_eq_u32_e32 vcc_lo, 1, v10
	s_mul_hi_u32 s11, s11, s20
	s_add_co_i32 s7, s19, s7
	s_add_co_i32 s9, s20, s11
	v_mad_co_u64_u32 v[2:3], null, s2, 36, v[0:1]
	s_mul_u64 s[28:29], s[2:3], 36
	s_lshr_b32 s7, s7, s23
	s_lshr_b32 s11, s9, s24
	s_mul_i32 s7, s7, s8
	s_wait_kmcnt 0x0
	s_add_nc_u64 s[8:9], s[14:15], s[28:29]
	v_cndmask_b32_e64 v14, 0, 6, vcc_lo
	v_mad_co_u64_u32 v[6:7], null, v8, 36, v[2:3]
	v_mad_co_u64_u32 v[2:3], null, s5, 3, v[4:5]
	s_add_nc_u64 s[8:9], s[8:9], s[26:27]
	v_bfe_u32 v19, v5, 1, 2
	s_mul_i32 s4, s4, ttmp9
	v_add_nc_u32_e32 v15, s5, v4
	v_add_co_u32 v3, vcc_lo, s14, v6
	s_wait_alu 0xfffd
	v_add_co_ci_u32_e64 v6, null, s15, v7, vcc_lo
	v_mov_b32_e32 v7, 0
	v_mad_co_u64_u32 v[0:1], null, v8, 36, s[8:9]
	v_add_co_u32 v3, vcc_lo, v3, 16
	v_dual_mov_b32 v12, 0 :: v_dual_lshlrev_b32 v13, 1, v8
	v_lshl_add_u32 v16, s5, 2, v4
	v_lshl_add_u32 v17, s5, 1, v4
	s_wait_alu 0xfffd
	v_add_co_ci_u32_e64 v4, null, 0, v6, vcc_lo
	v_lshlrev_b32_e32 v18, 2, v8
	v_dual_mov_b32 v10, 0 :: v_dual_lshlrev_b32 v19, 1, v19
	v_mov_b32_e32 v6, 0
	v_mov_b32_e32 v8, 0
	s_mul_i32 s11, s11, s16
	s_wait_alu 0xfffe
	s_add_co_i32 s7, s7, s4
	s_delay_alu instid0(SALU_CYCLE_1)
	s_add_co_i32 s2, s11, s7
	s_mov_b32 s7, 0xbd000000
.LBB224_2:                              ; =>This Inner Loop Header: Depth=1
	s_wait_alu 0xfffe
	v_add_nc_u32_e32 v20, s2, v11
	v_mad_co_u64_u32 v[36:37], null, v15, 36, v[0:1]
	v_mad_co_u64_u32 v[40:41], null, v17, 36, v[0:1]
	s_delay_alu instid0(VALU_DEP_3)
	v_mad_co_i64_i32 v[60:61], null, v20, 56, s[12:13]
	v_mad_co_u64_u32 v[52:53], null, v2, 36, v[0:1]
	v_mad_co_u64_u32 v[56:57], null, v16, 36, v[0:1]
	s_getpc_b64 s[4:5]
	s_wait_alu 0xfffe
	s_sext_i32_i16 s5, s5
	s_add_co_u32 s4, s4, _ZL13iq1s_grid_gpu@rel32@lo+12
	s_wait_alu 0xfffe
	s_add_co_ci_u32 s5, s5, _ZL13iq1s_grid_gpu@rel32@hi+24
	v_add_co_u32 v20, vcc_lo, v60, v18
	s_wait_alu 0xfffd
	v_add_co_ci_u32_e64 v21, null, 0, v61, vcc_lo
	v_add_co_u32 v22, vcc_lo, v60, v13
	s_wait_alu 0xfffd
	v_add_co_ci_u32_e64 v23, null, 0, v61, vcc_lo
	s_clause 0x1
	global_load_b32 v64, v[20:21], off
	global_load_u16 v65, v[22:23], off offset:32
	s_clause 0x1
	global_load_b128 v[20:23], v[3:4], off offset:-16
	global_load_b128 v[24:27], v[3:4], off
	s_clause 0xb
	global_load_b128 v[28:31], v[36:37], off
	global_load_b128 v[32:35], v[36:37], off offset:16
	global_load_b32 v66, v[36:37], off offset:32
	global_load_b128 v[36:39], v[40:41], off
	global_load_b32 v67, v[40:41], off offset:32
	global_load_b128 v[40:43], v[40:41], off offset:16
	global_load_b128 v[44:47], v[52:53], off
	global_load_b128 v[48:51], v[52:53], off offset:16
	global_load_b32 v68, v[52:53], off offset:32
	global_load_b128 v[52:55], v[56:57], off
	global_load_b32 v69, v[56:57], off offset:32
	global_load_b128 v[56:59], v[56:57], off offset:16
	v_add_co_u32 v62, vcc_lo, v60, v19
	s_wait_alu 0xfffd
	v_add_co_ci_u32_e64 v63, null, 0, v61, vcc_lo
	s_clause 0x1
	global_load_u16 v62, v[62:63], off offset:48
	global_load_b64 v[60:61], v[60:61], off offset:48
	s_wait_loadcnt 0xd
	v_dot4_i32_iu8 v78, v29, 0x1010101, 0 neg_lo:[1,1,0]
	v_dot4_i32_iu8 v79, v31, 0x1010101, 0 neg_lo:[1,1,0]
	v_cvt_f32_f16_e32 v28, v28
	s_wait_loadcnt 0xa
	v_cvt_f32_f16_e32 v36, v36
	v_dot4_i32_iu8 v82, v37, 0x1010101, 0 neg_lo:[1,1,0]
	v_dot4_i32_iu8 v78, v30, 0x1010101, v78 neg_lo:[1,1,0]
	s_wait_loadcnt 0x7
	v_dot4_i32_iu8 v86, v45, 0x1010101, 0 neg_lo:[1,1,0]
	v_dot4_i32_iu8 v79, v32, 0x1010101, v79 neg_lo:[1,1,0]
	v_bfe_u32 v73, v64, 8, 8
	s_wait_loadcnt 0x4
	v_dot4_i32_iu8 v89, v53, 0x1010101, 0 neg_lo:[1,1,0]
	v_and_b32_e32 v91, 8, v65
	v_lshrrev_b16 v70, 8, v65
	v_dot4_i32_iu8 v75, v23, 0x1010101, 0 neg_lo:[1,1,0]
	v_lshrrev_b32_e32 v63, 24, v64
	v_dot4_i32_iu8 v89, v54, 0x1010101, v89 neg_lo:[1,1,0]
	v_cvt_f32_ubyte0_e32 v91, v91
	v_lshlrev_b32_e32 v72, 8, v65
	v_dot4_i32_iu8 v75, v24, 0x1010101, v75 neg_lo:[1,1,0]
	v_and_b32_e32 v70, 0xffff, v70
	v_cvt_f32_i32_e32 v89, v89
	v_fmaak_f32 v91, s7, v91, 0xbf600000
	v_dot4_i32_iu8 v82, v38, 0x1010101, v82 neg_lo:[1,1,0]
	v_cvt_f32_i32_e32 v75, v75
	v_dot4_i32_iu8 v86, v46, 0x1010101, v86 neg_lo:[1,1,0]
	v_cvt_f32_i32_e32 v78, v78
	v_fma_f32 v89, v91, v89, 0
	v_lshlrev_b32_e32 v74, 4, v65
	v_bfe_u32 v65, v65, 4, 4
	v_cvt_f32_i32_e32 v82, v82
	v_cvt_f32_i32_e32 v86, v86
	v_fma_f32 v78, v91, v78, 0
	v_cvt_f32_i32_e32 v79, v79
	v_and_b32_e32 v65, 8, v65
	v_fma_f32 v82, v91, v82, 0
	v_fma_f32 v86, v91, v86, 0
	v_dot4_i32_iu8 v83, v39, 0x1010101, 0 neg_lo:[1,1,0]
	v_dot4_i32_iu8 v87, v47, 0x1010101, 0 neg_lo:[1,1,0]
	v_cvt_f32_ubyte0_e32 v65, v65
	v_add_nc_u32_e32 v16, 32, v16
	s_wait_loadcnt 0x0
	v_pk_lshrrev_b16 v60, 0x8000c, v60
	v_dot4_i32_iu8 v83, v40, 0x1010101, v83 neg_lo:[1,1,0]
	v_pk_lshrrev_b16 v61, 4, v61
	v_fmaak_f32 v65, s7, v65, 0xbf600000
	v_and_b32_e32 v71, 0xff, v64
	v_add_nc_u32_e32 v17, 32, v17
	v_cvt_f32_i32_e32 v83, v83
	v_cvt_f32_f16_e32 v52, v52
	v_fmac_f32_e32 v78, v65, v79
	v_and_or_b32 v71, 0x700, v72, v71
	v_and_or_b32 v72, 0x700, v74, v73
	v_lshlrev_b32_e32 v74, 4, v70
	v_dual_fmac_f32 v82, v65, v83 :: v_dual_lshlrev_b32 v73, 8, v70
	v_and_b32_e32 v61, 0xf0000f00, v61
	v_cvt_f32_f16_e32 v44, v44
	s_delay_alu instid0(VALU_DEP_4)
	v_and_or_b32 v63, 0x700, v74, v63
	v_dot4_i32_iu8 v74, v21, 0x1010101, 0 neg_lo:[1,1,0]
	v_bfe_u32 v64, v64, 16, 8
	v_dot4_i32_iu8 v83, v59, 0x1010101, 0 neg_lo:[1,1,0]
	v_dot4_i32_iu8 v81, v35, 0x1010101, 0 neg_lo:[1,1,0]
	;; [unrolled: 1-line block ×4, first 2 shown]
	v_and_or_b32 v64, 0x700, v73, v64
	v_dot4_i32_iu8 v83, v69, 0x1010101, v83 neg_lo:[1,1,0]
	v_dot4_i32_iu8 v76, v25, 0x1010101, 0 neg_lo:[1,1,0]
	;; [unrolled: 1-line block ×3, first 2 shown]
	v_cvt_f32_i32_e32 v74, v74
	v_dot4_i32_iu8 v80, v33, 0x1010101, 0 neg_lo:[1,1,0]
	v_cvt_f32_i32_e32 v83, v83
	v_dot4_i32_iu8 v76, v26, 0x1010101, v76 neg_lo:[1,1,0]
	v_dot4_i32_iu8 v84, v41, 0x1010101, 0 neg_lo:[1,1,0]
	v_fma_f32 v74, v91, v74, 0
	v_dot4_i32_iu8 v91, v55, 0x1010101, 0 neg_lo:[1,1,0]
	v_dot4_i32_iu8 v88, v49, 0x1010101, 0 neg_lo:[1,1,0]
	v_cvt_f32_f16_e32 v20, v20
	v_dot4_i32_iu8 v90, v51, 0x1010101, 0 neg_lo:[1,1,0]
	v_fmac_f32_e32 v74, v65, v75
	v_dot4_i32_iu8 v79, v56, 0x1010101, v91 neg_lo:[1,1,0]
	v_dot4_i32_iu8 v75, v57, 0x1010101, 0 neg_lo:[1,1,0]
	v_lshrrev_b32_e32 v62, v14, v62
	s_delay_alu instid0(VALU_DEP_3) | instskip(NEXT) | instid1(VALU_DEP_3)
	v_cvt_f32_i32_e32 v79, v79
	v_dot4_i32_iu8 v75, v58, 0x1010101, v75 neg_lo:[1,1,0]
	s_delay_alu instid0(VALU_DEP_2) | instskip(SKIP_1) | instid1(VALU_DEP_3)
	v_fmac_f32_e32 v89, v65, v79
	v_dot4_i32_iu8 v79, v48, 0x1010101, v87 neg_lo:[1,1,0]
	v_cvt_f32_i32_e32 v75, v75
	s_delay_alu instid0(VALU_DEP_2) | instskip(NEXT) | instid1(VALU_DEP_1)
	v_cvt_f32_i32_e32 v79, v79
	v_fmac_f32_e32 v86, v65, v79
	v_lshrrev_b32_e32 v65, 16, v60
	v_dot4_i32_iu8 v79, v66, 0x1010101, v81 neg_lo:[1,1,0]
	v_dot4_i32_iu8 v81, v67, 0x1010101, v85 neg_lo:[1,1,0]
	;; [unrolled: 1-line block ×3, first 2 shown]
	s_delay_alu instid0(VALU_DEP_4) | instskip(NEXT) | instid1(VALU_DEP_4)
	v_and_b32_e32 v65, 0xf0, v65
	v_cvt_f32_i32_e32 v79, v79
	s_delay_alu instid0(VALU_DEP_4) | instskip(NEXT) | instid1(VALU_DEP_4)
	v_cvt_f32_i32_e32 v81, v81
	v_cvt_f32_i32_e32 v85, v85
	s_delay_alu instid0(VALU_DEP_4) | instskip(SKIP_1) | instid1(VALU_DEP_2)
	v_or_b32_e32 v60, v65, v60
	v_cvt_f32_i32_e32 v65, v76
	v_or_b32_e32 v60, v60, v61
	v_lshrrev_b32_e32 v61, 16, v61
	s_delay_alu instid0(VALU_DEP_1) | instskip(NEXT) | instid1(VALU_DEP_1)
	v_or_b32_e32 v60, v60, v61
	v_cvt_f32_f16_e32 v60, v60
	v_and_b32_e32 v61, 8, v70
	v_lshrrev_b32_e32 v70, 4, v70
	s_delay_alu instid0(VALU_DEP_3) | instskip(SKIP_1) | instid1(VALU_DEP_3)
	v_dual_mul_f32 v20, v20, v60 :: v_dual_add_nc_u32 v15, 32, v15
	v_mul_f32_e32 v44, v60, v44
	v_and_b32_e32 v70, 8, v70
	v_cvt_f32_ubyte0_e32 v61, v61
	v_mul_f32_e32 v36, v60, v36
	v_mul_f32_e32 v28, v60, v28
	;; [unrolled: 1-line block ×3, first 2 shown]
	v_cvt_f32_ubyte0_e32 v70, v70
	v_lshlrev_b32_e32 v71, 2, v71
	s_delay_alu instid0(VALU_DEP_2)
	v_dual_fmaak_f32 v61, s7, v61, 0xbf600000 :: v_dual_fmaak_f32 v70, s7, v70, 0xbf600000
	v_lshlrev_b32_e32 v64, 2, v64
	v_lshlrev_b32_e32 v72, 2, v72
	;; [unrolled: 1-line block ×3, first 2 shown]
	s_clause 0x3
	global_load_b32 v71, v71, s[4:5]
	global_load_b32 v72, v72, s[4:5]
	;; [unrolled: 1-line block ×4, first 2 shown]
	global_load_b32 v73, v[3:4], off offset:16
	v_fma_f32 v65, v61, v65, 0
	v_add_co_u32 v3, vcc_lo, 0x480, v3
	s_wait_alu 0xfffd
	v_add_co_ci_u32_e64 v4, null, 0, v4, vcc_lo
	s_wait_loadcnt 0x4
	v_lshrrev_b32_e32 v60, 4, v71
	s_wait_loadcnt 0x0
	v_dot4_i32_iu8 v77, v73, 0x1010101, v77 neg_lo:[1,1,0]
	s_delay_alu instid0(VALU_DEP_2) | instskip(NEXT) | instid1(VALU_DEP_2)
	v_and_b32_e32 v60, 0xf0f0f0f, v60
	v_cvt_f32_i32_e32 v76, v77
	v_dot4_i32_iu8 v77, v34, 0x1010101, v80 neg_lo:[1,1,0]
	v_dot4_i32_iu8 v80, v42, 0x1010101, v84 neg_lo:[1,1,0]
	;; [unrolled: 1-line block ×3, first 2 shown]
	s_delay_alu instid0(VALU_DEP_4) | instskip(NEXT) | instid1(VALU_DEP_4)
	v_fmac_f32_e32 v65, v70, v76
	v_cvt_f32_i32_e32 v77, v77
	s_delay_alu instid0(VALU_DEP_4) | instskip(NEXT) | instid1(VALU_DEP_4)
	v_cvt_f32_i32_e32 v80, v80
	v_cvt_f32_i32_e32 v84, v84
	s_delay_alu instid0(VALU_DEP_3) | instskip(NEXT) | instid1(VALU_DEP_3)
	v_fma_f32 v77, v61, v77, 0
	v_fma_f32 v80, v61, v80, 0
	s_delay_alu instid0(VALU_DEP_3)
	v_fma_f32 v84, v61, v84, 0
	v_fma_f32 v61, v61, v75, 0
	v_add_nc_u32_e32 v11, 4, v11
	v_fmac_f32_e32 v77, v70, v79
	v_dual_fmac_f32 v80, v70, v81 :: v_dual_and_b32 v71, 0xf0f0f0f, v71
	v_fmac_f32_e32 v84, v70, v85
	v_fmac_f32_e32 v61, v70, v83
	v_lshrrev_b32_e32 v70, 4, v72
	v_and_b32_e32 v72, 0xf0f0f0f, v72
	v_dot4_i32_iu8 v21, v71, v21, 0 neg_lo:[1,1,0]
	v_dot4_i32_iu8 v29, v71, v29, 0 neg_lo:[1,1,0]
	;; [unrolled: 1-line block ×5, first 2 shown]
	v_lshrrev_b32_e32 v71, 4, v64
	v_dot4_i32_iu8 v21, v60, v22, v21 neg_lo:[1,1,0]
	v_dot4_i32_iu8 v22, v60, v30, v29 neg_lo:[1,1,0]
	;; [unrolled: 1-line block ×3, first 2 shown]
	v_and_b32_e32 v45, 0xf0f0f0f, v64
	v_dot4_i32_iu8 v29, v60, v38, v37 neg_lo:[1,1,0]
	v_dot4_i32_iu8 v37, v60, v54, v53 neg_lo:[1,1,0]
	v_and_b32_e32 v53, 0xf0f0f0f, v71
	v_dot4_i32_iu8 v21, v72, v23, v21 neg_lo:[1,1,0]
	v_dot4_i32_iu8 v23, v45, v25, 0 neg_lo:[1,1,0]
	v_lshrrev_b32_e32 v38, 4, v63
	v_and_b32_e32 v46, 0xf0f0f0f, v63
	v_dot4_i32_iu8 v25, v45, v33, 0 neg_lo:[1,1,0]
	v_dot4_i32_iu8 v22, v72, v31, v22 neg_lo:[1,1,0]
	;; [unrolled: 1-line block ×3, first 2 shown]
	v_and_b32_e32 v38, 0xf0f0f0f, v38
	v_dot4_i32_iu8 v29, v72, v39, v29 neg_lo:[1,1,0]
	v_dot4_i32_iu8 v33, v45, v49, 0 neg_lo:[1,1,0]
	;; [unrolled: 1-line block ×4, first 2 shown]
	v_cmp_le_u32_e32 vcc_lo, s22, v11
	s_delay_alu instid0(VALU_DEP_2) | instskip(SKIP_1) | instid1(VALU_DEP_1)
	v_dot4_i32_iu8 v23, v38, v73, v23 neg_lo:[1,1,0]
	s_or_b32 s3, vcc_lo, s3
	v_cvt_f32_i32_e32 v23, v23
	s_delay_alu instid0(VALU_DEP_1) | instskip(NEXT) | instid1(VALU_DEP_1)
	v_dual_add_f32 v23, v65, v23 :: v_dual_and_b32 v70, 0xf0f0f0f, v70
	v_dot4_i32_iu8 v21, v70, v24, v21 neg_lo:[1,1,0]
	v_dot4_i32_iu8 v24, v53, v34, v25 neg_lo:[1,1,0]
	;; [unrolled: 1-line block ×5, first 2 shown]
	v_cvt_f32_i32_e32 v21, v21
	v_dot4_i32_iu8 v24, v46, v35, v24 neg_lo:[1,1,0]
	v_cvt_f32_i32_e32 v22, v22
	v_cvt_f32_i32_e32 v25, v25
	s_delay_alu instid0(VALU_DEP_4) | instskip(NEXT) | instid1(VALU_DEP_4)
	v_dual_add_f32 v21, v74, v21 :: v_dual_add_nc_u32 v2, 32, v2
	v_dot4_i32_iu8 v24, v38, v66, v24 neg_lo:[1,1,0]
	s_delay_alu instid0(VALU_DEP_4) | instskip(NEXT) | instid1(VALU_DEP_4)
	v_add_f32_e32 v22, v78, v22
	v_add_f32_e32 v25, v82, v25
	s_delay_alu instid0(VALU_DEP_3) | instskip(SKIP_2) | instid1(VALU_DEP_2)
	v_cvt_f32_i32_e32 v24, v24
	v_lshlrev_b32_e32 v75, 1, v62
	v_lshrrev_b32_e32 v62, 2, v62
	v_dual_add_f32 v24, v77, v24 :: v_dual_and_b32 v75, 14, v75
	s_delay_alu instid0(VALU_DEP_1) | instskip(NEXT) | instid1(VALU_DEP_1)
	v_or_b32_e32 v75, 1, v75
	v_cvt_f32_ubyte0_e32 v75, v75
	s_delay_alu instid0(VALU_DEP_1) | instskip(SKIP_2) | instid1(VALU_DEP_2)
	v_mul_f32_e32 v25, v25, v75
	v_dot4_i32_iu8 v30, v72, v47, v30 neg_lo:[1,1,0]
	v_dot4_i32_iu8 v37, v72, v55, v37 neg_lo:[1,1,0]
	;; [unrolled: 1-line block ×4, first 2 shown]
	s_delay_alu instid0(VALU_DEP_2) | instskip(NEXT) | instid1(VALU_DEP_2)
	v_cvt_f32_i32_e32 v29, v29
	v_dot4_i32_iu8 v27, v46, v51, v30 neg_lo:[1,1,0]
	v_dot4_i32_iu8 v30, v46, v59, v32 neg_lo:[1,1,0]
	s_delay_alu instid0(VALU_DEP_3) | instskip(NEXT) | instid1(VALU_DEP_3)
	v_add_f32_e32 v29, v86, v29
	v_dot4_i32_iu8 v27, v38, v68, v27 neg_lo:[1,1,0]
	s_delay_alu instid0(VALU_DEP_1) | instskip(NEXT) | instid1(VALU_DEP_1)
	v_cvt_f32_i32_e32 v27, v27
	v_add_f32_e32 v27, v84, v27
	v_dot4_i32_iu8 v30, v38, v69, v30 neg_lo:[1,1,0]
	s_delay_alu instid0(VALU_DEP_1) | instskip(NEXT) | instid1(VALU_DEP_1)
	v_cvt_f32_i32_e32 v30, v30
	v_add_f32_e32 v30, v61, v30
	v_dot4_i32_iu8 v31, v45, v41, 0 neg_lo:[1,1,0]
	s_delay_alu instid0(VALU_DEP_1) | instskip(SKIP_1) | instid1(VALU_DEP_1)
	v_dot4_i32_iu8 v26, v53, v42, v31 neg_lo:[1,1,0]
	v_dot4_i32_iu8 v31, v70, v56, v37 neg_lo:[1,1,0]
	v_cvt_f32_i32_e32 v31, v31
	s_delay_alu instid0(VALU_DEP_1) | instskip(NEXT) | instid1(VALU_DEP_1)
	v_dual_add_f32 v31, v89, v31 :: v_dual_and_b32 v62, 14, v62
	v_or_b32_e32 v62, 1, v62
	s_delay_alu instid0(VALU_DEP_2) | instskip(NEXT) | instid1(VALU_DEP_2)
	v_mul_f32_e32 v31, v31, v75
	v_cvt_f32_ubyte0_e32 v62, v62
	s_delay_alu instid0(VALU_DEP_1) | instskip(SKIP_4) | instid1(VALU_DEP_4)
	v_mul_f32_e32 v23, v23, v62
	v_dot4_i32_iu8 v26, v46, v43, v26 neg_lo:[1,1,0]
	v_mul_f32_e32 v24, v24, v62
	v_mul_f32_e32 v27, v27, v62
	v_fmac_f32_e32 v31, v30, v62
	v_dot4_i32_iu8 v26, v38, v67, v26 neg_lo:[1,1,0]
	s_delay_alu instid0(VALU_DEP_4)
	v_fmac_f32_e32 v24, v22, v75
	v_fmac_f32_e32 v23, v21, v75
	;; [unrolled: 1-line block ×4, first 2 shown]
	v_cvt_f32_i32_e32 v26, v26
	v_fmac_f32_e32 v10, v28, v24
	v_fmac_f32_e32 v12, v20, v23
	;; [unrolled: 1-line block ×3, first 2 shown]
	s_delay_alu instid0(VALU_DEP_4) | instskip(NEXT) | instid1(VALU_DEP_1)
	v_add_f32_e32 v26, v80, v26
	v_fmac_f32_e32 v25, v26, v62
	s_delay_alu instid0(VALU_DEP_1)
	v_fmac_f32_e32 v8, v36, v25
	s_wait_alu 0xfffe
	s_and_not1_b32 exec_lo, exec_lo, s3
	s_cbranch_execnz .LBB224_2
; %bb.3:
	s_or_b32 exec_lo, exec_lo, s3
.LBB224_4:
	s_delay_alu instid0(SALU_CYCLE_1)
	s_or_b32 exec_lo, exec_lo, s21
	s_mov_b32 s3, 0
	; wave barrier
	global_inv scope:SCOPE_SE
	s_mov_b32 s2, exec_lo
	v_cmpx_eq_u32_e32 0, v9
	s_cbranch_execz .LBB224_15
; %bb.5:
	v_mbcnt_lo_u32_b32 v4, -1, 0
	s_load_b64 s[0:1], s[0:1], 0x38
	s_mul_i32 s2, s10, s19
	s_mul_i32 s4, s18, s20
	s_wait_alu 0xfffe
	s_add_co_i32 s2, s2, ttmp9
	v_xor_b32_e32 v0, 16, v4
	v_xor_b32_e32 v1, 8, v4
	s_wait_alu 0xfffe
	s_add_co_i32 s2, s2, s4
	s_wait_alu 0xfffe
	s_lshl_b64 s[2:3], s[2:3], 2
	v_cmp_gt_i32_e32 vcc_lo, 32, v0
	s_wait_alu 0xfffd
	v_cndmask_b32_e32 v0, v4, v0, vcc_lo
	v_cmp_gt_i32_e32 vcc_lo, 32, v1
	s_wait_alu 0xfffd
	v_cndmask_b32_e32 v1, v4, v1, vcc_lo
	s_wait_kmcnt 0x0
	s_wait_alu 0xfffe
	s_add_nc_u64 s[0:1], s[0:1], s[2:3]
	s_delay_alu instid0(VALU_DEP_1)
	v_lshlrev_b32_e32 v1, 2, v1
	v_lshlrev_b32_e32 v0, 2, v0
	ds_bpermute_b32 v2, v0, v12
	s_wait_dscnt 0x0
	v_add_f32_e32 v3, v12, v2
	v_xor_b32_e32 v2, 4, v4
	v_xor_b32_e32 v12, 1, v4
	ds_bpermute_b32 v9, v1, v3
	v_cmp_gt_i32_e32 vcc_lo, 32, v2
	s_wait_dscnt 0x0
	s_wait_alu 0xfffd
	v_dual_cndmask_b32 v2, v4, v2 :: v_dual_add_f32 v9, v3, v9
	s_delay_alu instid0(VALU_DEP_1)
	v_lshlrev_b32_e32 v2, 2, v2
	v_xor_b32_e32 v3, 2, v4
	ds_bpermute_b32 v11, v2, v9
	v_cmp_gt_i32_e32 vcc_lo, 32, v3
	s_wait_alu 0xfffd
	v_cndmask_b32_e32 v3, v4, v3, vcc_lo
	v_cmp_gt_i32_e32 vcc_lo, 32, v12
	s_wait_alu 0xfffd
	v_cndmask_b32_e32 v4, v4, v12, vcc_lo
	v_cmp_eq_u32_e32 vcc_lo, 0, v5
	s_delay_alu instid0(VALU_DEP_2)
	v_lshlrev_b32_e32 v4, 2, v4
	v_lshlrev_b32_e32 v3, 2, v3
	s_wait_dscnt 0x0
	v_add_f32_e32 v9, v9, v11
	ds_bpermute_b32 v11, v3, v9
	s_wait_dscnt 0x0
	v_add_f32_e32 v9, v9, v11
	ds_bpermute_b32 v11, v4, v9
	s_and_saveexec_b32 s2, vcc_lo
	s_cbranch_execz .LBB224_7
; %bb.6:
	s_wait_dscnt 0x0
	v_add_f32_e32 v5, v9, v11
	v_mov_b32_e32 v9, 0
	global_store_b32 v9, v5, s[0:1]
.LBB224_7:
	s_wait_alu 0xfffe
	s_or_b32 exec_lo, exec_lo, s2
	ds_bpermute_b32 v5, v0, v10
	s_wait_dscnt 0x0
	v_add_f32_e32 v5, v10, v5
	ds_bpermute_b32 v9, v1, v5
	s_wait_dscnt 0x0
	v_add_f32_e32 v5, v5, v9
	;; [unrolled: 3-line block ×4, first 2 shown]
	ds_bpermute_b32 v9, v4, v5
	s_and_saveexec_b32 s2, vcc_lo
	s_cbranch_execz .LBB224_9
; %bb.8:
	s_mov_b32 s7, 0
	s_wait_dscnt 0x0
	v_add_f32_e32 v5, v5, v9
	v_mov_b32_e32 v9, 0
	s_wait_alu 0xfffe
	s_lshl_b64 s[4:5], s[6:7], 2
	s_wait_alu 0xfffe
	s_add_nc_u64 s[4:5], s[0:1], s[4:5]
	global_store_b32 v9, v5, s[4:5]
.LBB224_9:
	s_wait_alu 0xfffe
	s_or_b32 exec_lo, exec_lo, s2
	ds_bpermute_b32 v5, v0, v8
	s_wait_dscnt 0x0
	v_add_f32_e32 v5, v8, v5
	ds_bpermute_b32 v8, v1, v5
	s_wait_dscnt 0x0
	v_add_f32_e32 v5, v5, v8
	;; [unrolled: 3-line block ×4, first 2 shown]
	ds_bpermute_b32 v8, v4, v5
	s_and_saveexec_b32 s2, vcc_lo
	s_cbranch_execz .LBB224_11
; %bb.10:
	s_lshl_b32 s4, s6, 1
	s_mov_b32 s5, 0
	s_wait_dscnt 0x0
	v_dual_add_f32 v5, v5, v8 :: v_dual_mov_b32 v8, 0
	s_wait_alu 0xfffe
	s_lshl_b64 s[4:5], s[4:5], 2
	s_wait_alu 0xfffe
	s_add_nc_u64 s[4:5], s[0:1], s[4:5]
	global_store_b32 v8, v5, s[4:5]
.LBB224_11:
	s_wait_alu 0xfffe
	s_or_b32 exec_lo, exec_lo, s2
	ds_bpermute_b32 v5, v0, v7
	s_wait_dscnt 0x0
	v_add_f32_e32 v5, v7, v5
	ds_bpermute_b32 v7, v1, v5
	s_wait_dscnt 0x0
	v_add_f32_e32 v5, v5, v7
	;; [unrolled: 3-line block ×4, first 2 shown]
	ds_bpermute_b32 v7, v4, v5
	s_and_saveexec_b32 s2, vcc_lo
	s_cbranch_execz .LBB224_13
; %bb.12:
	s_mul_i32 s4, s6, 3
	s_mov_b32 s5, 0
	s_wait_dscnt 0x0
	v_add_f32_e32 v5, v5, v7
	v_mov_b32_e32 v7, 0
	s_wait_alu 0xfffe
	s_lshl_b64 s[4:5], s[4:5], 2
	s_wait_alu 0xfffe
	s_add_nc_u64 s[4:5], s[0:1], s[4:5]
	global_store_b32 v7, v5, s[4:5]
.LBB224_13:
	s_wait_alu 0xfffe
	s_or_b32 exec_lo, exec_lo, s2
	ds_bpermute_b32 v0, v0, v6
	s_wait_dscnt 0x0
	v_add_f32_e32 v0, v6, v0
	ds_bpermute_b32 v1, v1, v0
	s_wait_dscnt 0x0
	v_add_f32_e32 v0, v0, v1
	;; [unrolled: 3-line block ×4, first 2 shown]
	ds_bpermute_b32 v1, v4, v0
	s_and_b32 exec_lo, exec_lo, vcc_lo
	s_cbranch_execz .LBB224_15
; %bb.14:
	s_lshl_b32 s2, s6, 2
	s_mov_b32 s3, 0
	s_wait_dscnt 0x0
	v_dual_add_f32 v0, v0, v1 :: v_dual_mov_b32 v1, 0
	s_wait_alu 0xfffe
	s_lshl_b64 s[2:3], s[2:3], 2
	s_wait_alu 0xfffe
	s_add_nc_u64 s[0:1], s[0:1], s[2:3]
	global_store_b32 v1, v0, s[0:1]
.LBB224_15:
	s_endpgm
	.section	.rodata,"a",@progbits
	.p2align	6, 0x0
	.amdhsa_kernel _ZL13mul_mat_vec_qIL9ggml_type29ELi5ELb0ELb0EEvPKvS2_PKi31ggml_cuda_mm_fusion_args_devicePfj15HIP_vector_typeIjLj3EEjjjS8_jjjS8_jjjj
		.amdhsa_group_segment_fixed_size 0
		.amdhsa_private_segment_fixed_size 0
		.amdhsa_kernarg_size 144
		.amdhsa_user_sgpr_count 2
		.amdhsa_user_sgpr_dispatch_ptr 0
		.amdhsa_user_sgpr_queue_ptr 0
		.amdhsa_user_sgpr_kernarg_segment_ptr 1
		.amdhsa_user_sgpr_dispatch_id 0
		.amdhsa_user_sgpr_private_segment_size 0
		.amdhsa_wavefront_size32 1
		.amdhsa_uses_dynamic_stack 0
		.amdhsa_enable_private_segment 0
		.amdhsa_system_sgpr_workgroup_id_x 1
		.amdhsa_system_sgpr_workgroup_id_y 1
		.amdhsa_system_sgpr_workgroup_id_z 1
		.amdhsa_system_sgpr_workgroup_info 0
		.amdhsa_system_vgpr_workitem_id 1
		.amdhsa_next_free_vgpr 92
		.amdhsa_next_free_sgpr 30
		.amdhsa_reserve_vcc 1
		.amdhsa_float_round_mode_32 0
		.amdhsa_float_round_mode_16_64 0
		.amdhsa_float_denorm_mode_32 3
		.amdhsa_float_denorm_mode_16_64 3
		.amdhsa_fp16_overflow 0
		.amdhsa_workgroup_processor_mode 1
		.amdhsa_memory_ordered 1
		.amdhsa_forward_progress 1
		.amdhsa_inst_pref_size 28
		.amdhsa_round_robin_scheduling 0
		.amdhsa_exception_fp_ieee_invalid_op 0
		.amdhsa_exception_fp_denorm_src 0
		.amdhsa_exception_fp_ieee_div_zero 0
		.amdhsa_exception_fp_ieee_overflow 0
		.amdhsa_exception_fp_ieee_underflow 0
		.amdhsa_exception_fp_ieee_inexact 0
		.amdhsa_exception_int_div_zero 0
	.end_amdhsa_kernel
	.section	.text._ZL13mul_mat_vec_qIL9ggml_type29ELi5ELb0ELb0EEvPKvS2_PKi31ggml_cuda_mm_fusion_args_devicePfj15HIP_vector_typeIjLj3EEjjjS8_jjjS8_jjjj,"axG",@progbits,_ZL13mul_mat_vec_qIL9ggml_type29ELi5ELb0ELb0EEvPKvS2_PKi31ggml_cuda_mm_fusion_args_devicePfj15HIP_vector_typeIjLj3EEjjjS8_jjjS8_jjjj,comdat
.Lfunc_end224:
	.size	_ZL13mul_mat_vec_qIL9ggml_type29ELi5ELb0ELb0EEvPKvS2_PKi31ggml_cuda_mm_fusion_args_devicePfj15HIP_vector_typeIjLj3EEjjjS8_jjjS8_jjjj, .Lfunc_end224-_ZL13mul_mat_vec_qIL9ggml_type29ELi5ELb0ELb0EEvPKvS2_PKi31ggml_cuda_mm_fusion_args_devicePfj15HIP_vector_typeIjLj3EEjjjS8_jjjS8_jjjj
                                        ; -- End function
	.set _ZL13mul_mat_vec_qIL9ggml_type29ELi5ELb0ELb0EEvPKvS2_PKi31ggml_cuda_mm_fusion_args_devicePfj15HIP_vector_typeIjLj3EEjjjS8_jjjS8_jjjj.num_vgpr, 92
	.set _ZL13mul_mat_vec_qIL9ggml_type29ELi5ELb0ELb0EEvPKvS2_PKi31ggml_cuda_mm_fusion_args_devicePfj15HIP_vector_typeIjLj3EEjjjS8_jjjS8_jjjj.num_agpr, 0
	.set _ZL13mul_mat_vec_qIL9ggml_type29ELi5ELb0ELb0EEvPKvS2_PKi31ggml_cuda_mm_fusion_args_devicePfj15HIP_vector_typeIjLj3EEjjjS8_jjjS8_jjjj.numbered_sgpr, 30
	.set _ZL13mul_mat_vec_qIL9ggml_type29ELi5ELb0ELb0EEvPKvS2_PKi31ggml_cuda_mm_fusion_args_devicePfj15HIP_vector_typeIjLj3EEjjjS8_jjjS8_jjjj.num_named_barrier, 0
	.set _ZL13mul_mat_vec_qIL9ggml_type29ELi5ELb0ELb0EEvPKvS2_PKi31ggml_cuda_mm_fusion_args_devicePfj15HIP_vector_typeIjLj3EEjjjS8_jjjS8_jjjj.private_seg_size, 0
	.set _ZL13mul_mat_vec_qIL9ggml_type29ELi5ELb0ELb0EEvPKvS2_PKi31ggml_cuda_mm_fusion_args_devicePfj15HIP_vector_typeIjLj3EEjjjS8_jjjS8_jjjj.uses_vcc, 1
	.set _ZL13mul_mat_vec_qIL9ggml_type29ELi5ELb0ELb0EEvPKvS2_PKi31ggml_cuda_mm_fusion_args_devicePfj15HIP_vector_typeIjLj3EEjjjS8_jjjS8_jjjj.uses_flat_scratch, 0
	.set _ZL13mul_mat_vec_qIL9ggml_type29ELi5ELb0ELb0EEvPKvS2_PKi31ggml_cuda_mm_fusion_args_devicePfj15HIP_vector_typeIjLj3EEjjjS8_jjjS8_jjjj.has_dyn_sized_stack, 0
	.set _ZL13mul_mat_vec_qIL9ggml_type29ELi5ELb0ELb0EEvPKvS2_PKi31ggml_cuda_mm_fusion_args_devicePfj15HIP_vector_typeIjLj3EEjjjS8_jjjS8_jjjj.has_recursion, 0
	.set _ZL13mul_mat_vec_qIL9ggml_type29ELi5ELb0ELb0EEvPKvS2_PKi31ggml_cuda_mm_fusion_args_devicePfj15HIP_vector_typeIjLj3EEjjjS8_jjjS8_jjjj.has_indirect_call, 0
	.section	.AMDGPU.csdata,"",@progbits
; Kernel info:
; codeLenInByte = 3508
; TotalNumSgprs: 32
; NumVgprs: 92
; ScratchSize: 0
; MemoryBound: 0
; FloatMode: 240
; IeeeMode: 1
; LDSByteSize: 0 bytes/workgroup (compile time only)
; SGPRBlocks: 0
; VGPRBlocks: 11
; NumSGPRsForWavesPerEU: 32
; NumVGPRsForWavesPerEU: 92
; Occupancy: 16
; WaveLimiterHint : 0
; COMPUTE_PGM_RSRC2:SCRATCH_EN: 0
; COMPUTE_PGM_RSRC2:USER_SGPR: 2
; COMPUTE_PGM_RSRC2:TRAP_HANDLER: 0
; COMPUTE_PGM_RSRC2:TGID_X_EN: 1
; COMPUTE_PGM_RSRC2:TGID_Y_EN: 1
; COMPUTE_PGM_RSRC2:TGID_Z_EN: 1
; COMPUTE_PGM_RSRC2:TIDIG_COMP_CNT: 1
	.section	.text._ZL13mul_mat_vec_qIL9ggml_type29ELi6ELb0ELb0EEvPKvS2_PKi31ggml_cuda_mm_fusion_args_devicePfj15HIP_vector_typeIjLj3EEjjjS8_jjjS8_jjjj,"axG",@progbits,_ZL13mul_mat_vec_qIL9ggml_type29ELi6ELb0ELb0EEvPKvS2_PKi31ggml_cuda_mm_fusion_args_devicePfj15HIP_vector_typeIjLj3EEjjjS8_jjjS8_jjjj,comdat
	.globl	_ZL13mul_mat_vec_qIL9ggml_type29ELi6ELb0ELb0EEvPKvS2_PKi31ggml_cuda_mm_fusion_args_devicePfj15HIP_vector_typeIjLj3EEjjjS8_jjjS8_jjjj ; -- Begin function _ZL13mul_mat_vec_qIL9ggml_type29ELi6ELb0ELb0EEvPKvS2_PKi31ggml_cuda_mm_fusion_args_devicePfj15HIP_vector_typeIjLj3EEjjjS8_jjjS8_jjjj
	.p2align	8
	.type	_ZL13mul_mat_vec_qIL9ggml_type29ELi6ELb0ELb0EEvPKvS2_PKi31ggml_cuda_mm_fusion_args_devicePfj15HIP_vector_typeIjLj3EEjjjS8_jjjS8_jjjj,@function
_ZL13mul_mat_vec_qIL9ggml_type29ELi6ELb0ELb0EEvPKvS2_PKi31ggml_cuda_mm_fusion_args_devicePfj15HIP_vector_typeIjLj3EEjjjS8_jjjS8_jjjj: ; @_ZL13mul_mat_vec_qIL9ggml_type29ELi6ELb0ELb0EEvPKvS2_PKi31ggml_cuda_mm_fusion_args_devicePfj15HIP_vector_typeIjLj3EEjjjS8_jjjS8_jjjj
; %bb.0:
	s_clause 0x5
	s_load_b96 s[16:18], s[0:1], 0x80
	s_load_b32 s2, s[0:1], 0x40
	s_load_b128 s[4:7], s[0:1], 0x50
	s_load_b32 s23, s[0:1], 0x60
	s_load_b128 s[8:11], s[0:1], 0x68
	s_load_b32 s24, s[0:1], 0x78
	v_bfe_u32 v15, v0, 10, 10
	v_dual_mov_b32 v11, 0 :: v_dual_and_b32 v12, 0x3ff, v0
	v_dual_mov_b32 v10, 0 :: v_dual_mov_b32 v13, 0
	v_mov_b32_e32 v14, 0
	s_delay_alu instid0(VALU_DEP_3)
	v_lshl_or_b32 v0, v15, 5, v12
	v_mov_b32_e32 v16, 0
	v_mov_b32_e32 v18, 0
	s_and_b32 s19, ttmp7, 0xffff
	s_lshr_b32 s20, ttmp7, 16
	v_lshrrev_b32_e32 v17, 3, v0
	s_mov_b32 s21, exec_lo
	s_wait_kmcnt 0x0
	s_lshr_b32 s22, s2, 8
	s_delay_alu instid0(VALU_DEP_1) | instid1(SALU_CYCLE_1)
	v_cmpx_gt_u32_e64 s22, v17
	s_cbranch_execz .LBB225_4
; %bb.1:
	v_lshl_add_u32 v0, v15, 5, v12
	s_mov_b32 s3, 0
	s_mul_i32 s26, s9, s19
	s_mov_b32 s27, s3
	s_load_b128 s[12:15], s[0:1], 0x0
	v_lshrrev_b32_e32 v0, 3, v0
	s_mul_u64 s[26:27], s[26:27], 36
	s_mul_i32 s2, s17, s20
	v_dual_mov_b32 v10, 0 :: v_dual_and_b32 v3, 7, v12
	s_delay_alu instid0(VALU_DEP_2)
	v_mad_co_u64_u32 v[0:1], null, 0x120, v0, s[26:27]
	v_and_b32_e32 v6, 1, v12
	v_bfe_u32 v11, v12, 1, 2
	s_mul_hi_u32 s7, s7, s19
	s_mul_hi_u32 s11, s11, s20
	s_add_co_i32 s7, s19, s7
	s_add_co_i32 s9, s20, s11
	s_delay_alu instid0(VALU_DEP_3)
	v_mad_co_u64_u32 v[0:1], null, s2, 36, v[0:1]
	v_dual_mov_b32 v16, 0 :: v_dual_lshlrev_b32 v25, 1, v11
	v_mov_b32_e32 v11, 0
	v_cmp_eq_u32_e32 vcc_lo, 1, v6
	s_mul_u64 s[28:29], s[2:3], 36
	s_lshr_b32 s7, s7, s23
	s_delay_alu instid0(VALU_DEP_4)
	v_mad_co_u64_u32 v[0:1], null, v3, 36, v[0:1]
	v_dual_mov_b32 v13, 0 :: v_dual_lshlrev_b32 v2, 3, v17
	s_lshr_b32 s11, s9, s24
	s_mul_i32 s7, s7, s8
	s_wait_kmcnt 0x0
	s_add_nc_u64 s[8:9], s[14:15], s[28:29]
	v_cndmask_b32_e64 v20, 0, 6, vcc_lo
	s_delay_alu instid0(VALU_DEP_3)
	v_add_co_u32 v0, vcc_lo, s14, v0
	s_add_nc_u64 s[8:9], s[8:9], s[26:27]
	s_wait_alu 0xfffd
	v_add_co_ci_u32_e64 v1, null, s15, v1, vcc_lo
	v_mad_co_u64_u32 v[6:7], null, s5, 5, v[2:3]
	v_mad_co_u64_u32 v[4:5], null, v3, 36, s[8:9]
	;; [unrolled: 1-line block ×3, first 2 shown]
	v_add_co_u32 v8, vcc_lo, v0, 16
	s_mul_i32 s4, s4, ttmp9
	v_dual_mov_b32 v14, 0 :: v_dual_lshlrev_b32 v19, 1, v3
	v_dual_mov_b32 v18, 0 :: v_dual_add_nc_u32 v21, s5, v2
	v_lshl_add_u32 v22, s5, 2, v2
	v_lshl_add_u32 v23, s5, 1, v2
	s_wait_alu 0xfffd
	v_add_co_ci_u32_e64 v9, null, 0, v1, vcc_lo
	v_lshlrev_b32_e32 v24, 2, v3
	s_mul_i32 s11, s11, s16
	s_wait_alu 0xfffe
	s_add_co_i32 s7, s7, s4
	s_mov_b32 s8, 0xbd000000
	s_add_co_i32 s7, s11, s7
.LBB225_2:                              ; =>This Inner Loop Header: Depth=1
	s_delay_alu instid0(SALU_CYCLE_1) | instskip(SKIP_2) | instid1(VALU_DEP_3)
	v_add_nc_u32_e32 v31, s7, v17
	v_mad_co_u64_u32 v[39:40], null, v21, 36, v[4:5]
	v_mad_co_u64_u32 v[43:44], null, v23, 36, v[4:5]
	v_mad_co_i64_i32 v[71:72], null, v31, 56, s[12:13]
	v_mad_co_u64_u32 v[55:56], null, v7, 36, v[4:5]
	v_mad_co_u64_u32 v[59:60], null, v22, 36, v[4:5]
	v_mad_co_u64_u32 v[67:68], null, v6, 36, v[4:5]
	s_delay_alu instid0(VALU_DEP_4)
	v_add_co_u32 v73, s2, v71, v24
	s_wait_alu 0xf1ff
	v_add_co_ci_u32_e64 v74, null, 0, v72, s2
	v_add_co_u32 v75, s2, v71, v19
	s_wait_alu 0xf1ff
	v_add_co_ci_u32_e64 v76, null, 0, v72, s2
	;; [unrolled: 3-line block ×3, first 2 shown]
	s_clause 0x2
	global_load_b32 v26, v[8:9], off offset:16
	global_load_b128 v[27:30], v[8:9], off offset:-16
	global_load_b128 v[0:3], v[8:9], off
	s_clause 0xe
	global_load_b128 v[31:34], v[39:40], off
	global_load_b128 v[35:38], v[39:40], off offset:16
	global_load_b32 v79, v[39:40], off offset:32
	global_load_b128 v[39:42], v[43:44], off
	global_load_b32 v80, v[43:44], off offset:32
	global_load_b128 v[43:46], v[43:44], off offset:16
	global_load_b128 v[47:50], v[55:56], off
	global_load_b128 v[51:54], v[55:56], off offset:16
	global_load_b32 v81, v[55:56], off offset:32
	global_load_b128 v[55:58], v[59:60], off
	global_load_b32 v82, v[59:60], off offset:32
	global_load_b128 v[59:62], v[59:60], off offset:16
	global_load_b32 v83, v[67:68], off offset:32
	global_load_b128 v[63:66], v[67:68], off
	global_load_b128 v[67:70], v[67:68], off offset:16
	s_clause 0x3
	global_load_b32 v73, v[73:74], off
	global_load_u16 v74, v[75:76], off offset:32
	global_load_u16 v75, v[77:78], off offset:48
	global_load_b64 v[71:72], v[71:72], off offset:48
	s_getpc_b64 s[4:5]
	s_wait_alu 0xfffe
	s_sext_i32_i16 s5, s5
	s_add_co_u32 s4, s4, _ZL13iq1s_grid_gpu@rel32@lo+12
	s_wait_alu 0xfffe
	s_add_co_ci_u32 s5, s5, _ZL13iq1s_grid_gpu@rel32@hi+24
	v_add_co_u32 v8, vcc_lo, 0x480, v8
	s_wait_alu 0xfffd
	v_add_co_ci_u32_e64 v9, null, 0, v9, vcc_lo
	s_wait_loadcnt 0x12
	v_cvt_f32_f16_e32 v31, v31
	s_wait_loadcnt 0xf
	v_cvt_f32_f16_e32 v39, v39
	;; [unrolled: 2-line block ×4, first 2 shown]
	s_wait_loadcnt 0x3
	v_bfe_u32 v88, v73, 8, 8
	s_wait_loadcnt 0x2
	v_lshlrev_b32_e32 v87, 8, v74
	v_lshlrev_b32_e32 v89, 4, v74
	v_lshrrev_b16 v90, 8, v74
	v_and_b32_e32 v91, 8, v74
	v_bfe_u32 v74, v74, 4, 4
	v_lshrrev_b32_e32 v85, 24, v73
	v_cvt_f32_f16_e32 v27, v27
	v_dot4_i32_iu8 v76, v28, 0x1010101, 0 neg_lo:[1,1,0]
	v_dot4_i32_iu8 v78, v1, 0x1010101, 0 neg_lo:[1,1,0]
	v_and_b32_e32 v74, 8, v74
	v_dot4_i32_iu8 v77, v30, 0x1010101, 0 neg_lo:[1,1,0]
	v_dot4_i32_iu8 v84, v3, 0x1010101, 0 neg_lo:[1,1,0]
	;; [unrolled: 1-line block ×3, first 2 shown]
	v_cvt_f32_ubyte0_e32 v91, v91
	v_cvt_f32_ubyte0_e32 v74, v74
	v_add_nc_u32_e32 v17, 4, v17
	v_add_nc_u32_e32 v6, 32, v6
	v_cvt_f32_i32_e32 v76, v76
	s_delay_alu instid0(VALU_DEP_4)
	v_dual_fmaak_f32 v91, s8, v91, 0xbf600000 :: v_dual_fmaak_f32 v74, s8, v74, 0xbf600000
	v_and_b32_e32 v86, 0xff, v73
	v_bfe_u32 v73, v73, 16, 8
	s_wait_loadcnt 0x0
	v_pk_lshrrev_b16 v71, 0x8000c, v71
	v_fma_f32 v76, v91, v76, 0
	v_pk_lshrrev_b16 v72, 4, v72
	v_and_or_b32 v86, 0x700, v87, v86
	v_and_or_b32 v87, 0x700, v89, v88
	v_and_b32_e32 v88, 0xffff, v90
	v_cvt_f32_f16_e32 v63, v63
	v_and_b32_e32 v72, 0xf0000f00, v72
	v_lshlrev_b32_e32 v86, 2, v86
	v_lshlrev_b32_e32 v87, 2, v87
	s_clause 0x1
	global_load_b32 v86, v86, s[4:5]
	global_load_b32 v87, v87, s[4:5]
	v_lshlrev_b32_e32 v89, 8, v88
	v_lshlrev_b32_e32 v90, 4, v88
	v_lshrrev_b32_e32 v75, v20, v75
	v_cmp_le_u32_e32 vcc_lo, s22, v17
	s_delay_alu instid0(VALU_DEP_4) | instskip(NEXT) | instid1(VALU_DEP_4)
	v_and_or_b32 v73, 0x700, v89, v73
	v_and_or_b32 v85, 0x700, v90, v85
	s_or_b32 s3, vcc_lo, s3
	s_wait_loadcnt 0x1
	v_lshrrev_b32_e32 v89, 4, v86
	v_and_b32_e32 v86, 0xf0f0f0f, v86
	s_wait_loadcnt 0x0
	v_and_b32_e32 v90, 0xf0f0f0f, v87
	s_delay_alu instid0(VALU_DEP_3) | instskip(NEXT) | instid1(VALU_DEP_3)
	v_and_b32_e32 v89, 0xf0f0f0f, v89
	v_dot4_i32_iu8 v28, v86, v28, 0 neg_lo:[1,1,0]
	s_delay_alu instid0(VALU_DEP_1) | instskip(SKIP_3) | instid1(VALU_DEP_4)
	v_dot4_i32_iu8 v28, v89, v29, v28 neg_lo:[1,1,0]
	v_dot4_i32_iu8 v29, v0, 0x1010101, v77 neg_lo:[1,1,0]
	;; [unrolled: 1-line block ×9, first 2 shown]
	v_cvt_f32_i32_e32 v29, v29
	v_add_nc_u32_e32 v7, 32, v7
	v_dot4_i32_iu8 v78, v33, 0x1010101, v78 neg_lo:[1,1,0]
	v_dot4_i32_iu8 v32, v89, v33, v32 neg_lo:[1,1,0]
	;; [unrolled: 1-line block ×4, first 2 shown]
	v_cvt_f32_i32_e32 v84, v84
	v_cvt_f32_i32_e32 v78, v78
	v_dot4_i32_iu8 v32, v90, v34, v32 neg_lo:[1,1,0]
	v_dot4_i32_iu8 v34, v42, 0x1010101, 0 neg_lo:[1,1,0]
	;; [unrolled: 1-line block ×7, first 2 shown]
	v_cvt_f32_i32_e32 v33, v33
	v_fma_f32 v78, v91, v78, 0
	v_dot4_i32_iu8 v41, v49, 0x1010101, v41 neg_lo:[1,1,0]
	v_dot4_i32_iu8 v48, v89, v49, v48 neg_lo:[1,1,0]
	;; [unrolled: 1-line block ×3, first 2 shown]
	v_fma_f32 v33, v91, v33, 0
	v_cvt_f32_i32_e32 v34, v34
	v_cvt_f32_i32_e32 v41, v41
	v_fmac_f32_e32 v78, v74, v84
	v_dot4_i32_iu8 v49, v57, 0x1010101, v49 neg_lo:[1,1,0]
	v_dot4_i32_iu8 v84, v44, 0x1010101, 0 neg_lo:[1,1,0]
	v_fmac_f32_e32 v33, v74, v34
	v_dot4_i32_iu8 v34, v58, 0x1010101, 0 neg_lo:[1,1,0]
	v_fma_f32 v41, v91, v41, 0
	v_cvt_f32_i32_e32 v49, v49
	v_fmac_f32_e32 v76, v74, v29
	v_dot4_i32_iu8 v29, v52, 0x1010101, 0 neg_lo:[1,1,0]
	v_dot4_i32_iu8 v34, v59, 0x1010101, v34 neg_lo:[1,1,0]
	;; [unrolled: 1-line block ×3, first 2 shown]
	v_fma_f32 v49, v91, v49, 0
	v_cvt_f32_i32_e32 v30, v30
	v_dot4_i32_iu8 v29, v53, 0x1010101, v29 neg_lo:[1,1,0]
	v_cvt_f32_i32_e32 v34, v34
	v_cvt_f32_i32_e32 v84, v84
	;; [unrolled: 1-line block ×3, first 2 shown]
	v_lshlrev_b32_e32 v73, 2, v73
	v_cvt_f32_i32_e32 v29, v29
	v_fmac_f32_e32 v49, v74, v34
	v_dot4_i32_iu8 v40, v90, v42, v40 neg_lo:[1,1,0]
	v_dot4_i32_iu8 v42, v50, 0x1010101, 0 neg_lo:[1,1,0]
	;; [unrolled: 1-line block ×5, first 2 shown]
	s_delay_alu instid0(VALU_DEP_4) | instskip(NEXT) | instid1(VALU_DEP_3)
	v_dot4_i32_iu8 v42, v51, 0x1010101, v42 neg_lo:[1,1,0]
	v_dot4_i32_iu8 v50, v65, 0x1010101, v50 neg_lo:[1,1,0]
	s_delay_alu instid0(VALU_DEP_3) | instskip(NEXT) | instid1(VALU_DEP_3)
	v_dot4_i32_iu8 v34, v69, 0x1010101, v34 neg_lo:[1,1,0]
	v_cvt_f32_i32_e32 v42, v42
	s_delay_alu instid0(VALU_DEP_3) | instskip(NEXT) | instid1(VALU_DEP_3)
	v_cvt_f32_i32_e32 v50, v50
	v_cvt_f32_i32_e32 v34, v34
	s_delay_alu instid0(VALU_DEP_3) | instskip(SKIP_1) | instid1(VALU_DEP_4)
	v_fmac_f32_e32 v41, v74, v42
	v_dot4_i32_iu8 v42, v66, 0x1010101, 0 neg_lo:[1,1,0]
	v_fma_f32 v50, v91, v50, 0
	v_dot4_i32_iu8 v91, v36, 0x1010101, 0 neg_lo:[1,1,0]
	s_delay_alu instid0(VALU_DEP_3) | instskip(NEXT) | instid1(VALU_DEP_1)
	v_dot4_i32_iu8 v42, v67, 0x1010101, v42 neg_lo:[1,1,0]
	v_cvt_f32_i32_e32 v42, v42
	s_delay_alu instid0(VALU_DEP_1) | instskip(SKIP_4) | instid1(VALU_DEP_4)
	v_dual_fmac_f32 v50, v74, v42 :: v_dual_add_nc_u32 v21, 32, v21
	v_dot4_i32_iu8 v42, v60, 0x1010101, 0 neg_lo:[1,1,0]
	v_dot4_i32_iu8 v74, v37, 0x1010101, v91 neg_lo:[1,1,0]
	v_and_b32_e32 v91, 8, v88
	v_lshrrev_b32_e32 v88, 4, v88
	v_dot4_i32_iu8 v42, v61, 0x1010101, v42 neg_lo:[1,1,0]
	s_delay_alu instid0(VALU_DEP_4) | instskip(NEXT) | instid1(VALU_DEP_4)
	v_cvt_f32_i32_e32 v74, v74
	v_cvt_f32_ubyte0_e32 v91, v91
	s_delay_alu instid0(VALU_DEP_4) | instskip(SKIP_2) | instid1(VALU_DEP_4)
	v_and_b32_e32 v88, 8, v88
	v_add_nc_u32_e32 v22, 32, v22
	v_cvt_f32_i32_e32 v42, v42
	v_fmaak_f32 v91, s8, v91, 0xbf600000
	s_delay_alu instid0(VALU_DEP_4) | instskip(SKIP_1) | instid1(VALU_DEP_3)
	v_cvt_f32_ubyte0_e32 v88, v88
	v_add_nc_u32_e32 v23, 32, v23
	v_fma_f32 v30, v91, v30, 0
	v_fma_f32 v74, v91, v74, 0
	v_fma_f32 v84, v91, v84, 0
	v_fma_f32 v29, v91, v29, 0
	v_fma_f32 v42, v91, v42, 0
	v_fma_f32 v34, v91, v34, 0
	v_dot4_i32_iu8 v91, v38, 0x1010101, 0 neg_lo:[1,1,0]
	v_fmaak_f32 v88, s8, v88, 0xbf600000
	s_delay_alu instid0(VALU_DEP_2) | instskip(NEXT) | instid1(VALU_DEP_2)
	v_dot4_i32_iu8 v91, v79, 0x1010101, v91 neg_lo:[1,1,0]
	v_fmac_f32_e32 v30, v88, v77
	v_dot4_i32_iu8 v77, v46, 0x1010101, 0 neg_lo:[1,1,0]
	s_delay_alu instid0(VALU_DEP_3) | instskip(NEXT) | instid1(VALU_DEP_2)
	v_cvt_f32_i32_e32 v91, v91
	v_dot4_i32_iu8 v77, v80, 0x1010101, v77 neg_lo:[1,1,0]
	s_delay_alu instid0(VALU_DEP_2) | instskip(SKIP_1) | instid1(VALU_DEP_3)
	v_fmac_f32_e32 v74, v88, v91
	v_dot4_i32_iu8 v91, v54, 0x1010101, 0 neg_lo:[1,1,0]
	v_cvt_f32_i32_e32 v77, v77
	s_delay_alu instid0(VALU_DEP_2) | instskip(NEXT) | instid1(VALU_DEP_2)
	v_dot4_i32_iu8 v91, v81, 0x1010101, v91 neg_lo:[1,1,0]
	v_fmac_f32_e32 v84, v88, v77
	v_dot4_i32_iu8 v77, v62, 0x1010101, 0 neg_lo:[1,1,0]
	s_delay_alu instid0(VALU_DEP_3) | instskip(NEXT) | instid1(VALU_DEP_2)
	v_cvt_f32_i32_e32 v91, v91
	v_dot4_i32_iu8 v77, v82, 0x1010101, v77 neg_lo:[1,1,0]
	s_delay_alu instid0(VALU_DEP_2) | instskip(SKIP_1) | instid1(VALU_DEP_3)
	v_fmac_f32_e32 v29, v88, v91
	v_dot4_i32_iu8 v91, v70, 0x1010101, 0 neg_lo:[1,1,0]
	v_cvt_f32_i32_e32 v77, v77
	s_delay_alu instid0(VALU_DEP_1) | instskip(NEXT) | instid1(VALU_DEP_3)
	v_fmac_f32_e32 v42, v88, v77
	v_dot4_i32_iu8 v77, v83, 0x1010101, v91 neg_lo:[1,1,0]
	s_delay_alu instid0(VALU_DEP_1) | instskip(NEXT) | instid1(VALU_DEP_1)
	v_cvt_f32_i32_e32 v77, v77
	v_fmac_f32_e32 v34, v88, v77
	v_lshrrev_b32_e32 v77, 16, v71
	s_delay_alu instid0(VALU_DEP_1) | instskip(NEXT) | instid1(VALU_DEP_1)
	v_and_b32_e32 v77, 0xf0, v77
	v_or_b32_e32 v71, v77, v71
	v_lshrrev_b32_e32 v77, 2, v75
	s_delay_alu instid0(VALU_DEP_2) | instskip(SKIP_1) | instid1(VALU_DEP_1)
	v_or_b32_e32 v71, v71, v72
	v_lshrrev_b32_e32 v72, 16, v72
	v_or_b32_e32 v71, v71, v72
	s_delay_alu instid0(VALU_DEP_1) | instskip(NEXT) | instid1(VALU_DEP_1)
	v_cvt_f32_f16_e32 v71, v71
	v_mul_f32_e32 v31, v71, v31
	v_mul_f32_e32 v27, v71, v27
	;; [unrolled: 1-line block ×6, first 2 shown]
	v_lshrrev_b32_e32 v71, 4, v87
	v_dot4_i32_iu8 v56, v86, v56, 0 neg_lo:[1,1,0]
	v_dot4_i32_iu8 v64, v86, v64, 0 neg_lo:[1,1,0]
	s_delay_alu instid0(VALU_DEP_3) | instskip(NEXT) | instid1(VALU_DEP_3)
	v_and_b32_e32 v71, 0xf0f0f0f, v71
	v_dot4_i32_iu8 v56, v89, v57, v56 neg_lo:[1,1,0]
	s_delay_alu instid0(VALU_DEP_3) | instskip(NEXT) | instid1(VALU_DEP_3)
	v_dot4_i32_iu8 v57, v89, v65, v64 neg_lo:[1,1,0]
	v_dot4_i32_iu8 v0, v71, v0, v28 neg_lo:[1,1,0]
	s_delay_alu instid0(VALU_DEP_3) | instskip(NEXT) | instid1(VALU_DEP_3)
	v_dot4_i32_iu8 v56, v90, v58, v56 neg_lo:[1,1,0]
	v_dot4_i32_iu8 v57, v90, v66, v57 neg_lo:[1,1,0]
	s_delay_alu instid0(VALU_DEP_3) | instskip(NEXT) | instid1(VALU_DEP_1)
	v_cvt_f32_i32_e32 v0, v0
	v_dual_add_f32 v0, v76, v0 :: v_dual_lshlrev_b32 v85, 2, v85
	s_clause 0x1
	global_load_b32 v73, v73, s[4:5]
	global_load_b32 v85, v85, s[4:5]
	s_wait_loadcnt 0x1
	v_lshrrev_b32_e32 v72, 4, v73
	v_and_b32_e32 v65, 0xf0f0f0f, v73
	s_wait_loadcnt 0x0
	v_lshrrev_b32_e32 v64, 4, v85
	v_and_b32_e32 v73, 0xf0f0f0f, v85
	v_and_b32_e32 v72, 0xf0f0f0f, v72
	v_dot4_i32_iu8 v1, v65, v1, 0 neg_lo:[1,1,0]
	v_dot4_i32_iu8 v36, v65, v36, 0 neg_lo:[1,1,0]
	;; [unrolled: 1-line block ×4, first 2 shown]
	v_and_b32_e32 v64, 0xf0f0f0f, v64
	v_dot4_i32_iu8 v1, v72, v2, v1 neg_lo:[1,1,0]
	v_dot4_i32_iu8 v2, v71, v35, v32 neg_lo:[1,1,0]
	;; [unrolled: 1-line block ×12, first 2 shown]
	v_cvt_f32_i32_e32 v2, v2
	v_dot4_i32_iu8 v26, v64, v80, v28 neg_lo:[1,1,0]
	v_dot4_i32_iu8 v28, v64, v81, v35 neg_lo:[1,1,0]
	v_cvt_f32_i32_e32 v1, v1
	v_dot4_i32_iu8 v45, v72, v69, v60 neg_lo:[1,1,0]
	v_add_f32_e32 v2, v78, v2
	v_cvt_f32_i32_e32 v26, v26
	v_cvt_f32_i32_e32 v28, v28
	s_delay_alu instid0(VALU_DEP_4) | instskip(NEXT) | instid1(VALU_DEP_3)
	v_dot4_i32_iu8 v38, v73, v70, v45 neg_lo:[1,1,0]
	v_add_f32_e32 v26, v84, v26
	s_delay_alu instid0(VALU_DEP_3)
	v_add_f32_e32 v28, v29, v28
	v_dot4_i32_iu8 v32, v71, v43, v40 neg_lo:[1,1,0]
	v_dot4_i32_iu8 v40, v71, v59, v56 neg_lo:[1,1,0]
	;; [unrolled: 1-line block ×5, first 2 shown]
	v_cvt_f32_i32_e32 v32, v32
	v_cvt_f32_i32_e32 v40, v40
	v_lshlrev_b32_e32 v75, 1, v75
	v_dot4_i32_iu8 v37, v73, v62, v43 neg_lo:[1,1,0]
	v_cvt_f32_i32_e32 v43, v44
	v_add_f32_e32 v32, v33, v32
	v_cvt_f32_i32_e32 v36, v36
	s_delay_alu instid0(VALU_DEP_3)
	v_add_f32_e32 v33, v50, v43
	v_dot4_i32_iu8 v35, v64, v82, v37 neg_lo:[1,1,0]
	v_dot4_i32_iu8 v37, v64, v83, v38 neg_lo:[1,1,0]
	v_dual_add_f32 v38, v49, v40 :: v_dual_and_b32 v75, 14, v75
	v_dot4_i32_iu8 v3, v64, v79, v3 neg_lo:[1,1,0]
	v_add_f32_e32 v36, v41, v36
	v_cvt_f32_i32_e32 v35, v35
	v_cvt_f32_i32_e32 v37, v37
	v_or_b32_e32 v75, 1, v75
	v_cvt_f32_i32_e32 v3, v3
	s_delay_alu instid0(VALU_DEP_2) | instskip(NEXT) | instid1(VALU_DEP_1)
	v_cvt_f32_ubyte0_e32 v75, v75
	v_dual_mul_f32 v36, v36, v75 :: v_dual_and_b32 v77, 14, v77
	s_delay_alu instid0(VALU_DEP_1) | instskip(SKIP_2) | instid1(VALU_DEP_3)
	v_or_b32_e32 v77, 1, v77
	v_mul_f32_e32 v2, v2, v75
	v_mul_f32_e32 v33, v33, v75
	v_cvt_f32_ubyte0_e32 v77, v77
	s_delay_alu instid0(VALU_DEP_1) | instskip(NEXT) | instid1(VALU_DEP_1)
	v_dual_add_f32 v3, v74, v3 :: v_dual_fmac_f32 v36, v28, v77
	v_dual_add_f32 v29, v42, v35 :: v_dual_fmac_f32 v2, v3, v77
	v_mul_f32_e32 v3, v26, v77
	s_delay_alu instid0(VALU_DEP_2) | instskip(NEXT) | instid1(VALU_DEP_2)
	v_dual_fmac_f32 v13, v47, v36 :: v_dual_mul_f32 v26, v29, v77
	v_dual_fmac_f32 v16, v31, v2 :: v_dual_fmac_f32 v3, v32, v75
	v_add_f32_e32 v1, v30, v1
	v_add_f32_e32 v30, v34, v37
	s_delay_alu instid0(VALU_DEP_4) | instskip(NEXT) | instid1(VALU_DEP_3)
	v_fmac_f32_e32 v26, v38, v75
	v_dual_fmac_f32 v14, v39, v3 :: v_dual_mul_f32 v1, v1, v77
	s_delay_alu instid0(VALU_DEP_2) | instskip(NEXT) | instid1(VALU_DEP_2)
	v_dual_fmac_f32 v33, v30, v77 :: v_dual_fmac_f32 v10, v55, v26
	v_fmac_f32_e32 v1, v0, v75
	s_delay_alu instid0(VALU_DEP_2) | instskip(NEXT) | instid1(VALU_DEP_2)
	v_fmac_f32_e32 v11, v63, v33
	v_fmac_f32_e32 v18, v27, v1
	s_wait_alu 0xfffe
	s_and_not1_b32 exec_lo, exec_lo, s3
	s_cbranch_execnz .LBB225_2
; %bb.3:
	s_or_b32 exec_lo, exec_lo, s3
.LBB225_4:
	s_delay_alu instid0(SALU_CYCLE_1)
	s_or_b32 exec_lo, exec_lo, s21
	s_mov_b32 s3, 0
	; wave barrier
	global_inv scope:SCOPE_SE
	s_mov_b32 s2, exec_lo
	v_cmpx_eq_u32_e32 0, v15
	s_cbranch_execz .LBB225_17
; %bb.5:
	v_mbcnt_lo_u32_b32 v4, -1, 0
	s_load_b64 s[0:1], s[0:1], 0x38
	s_mul_i32 s2, s10, s19
	s_mul_i32 s4, s18, s20
	s_wait_alu 0xfffe
	s_add_co_i32 s2, s2, ttmp9
	v_xor_b32_e32 v0, 16, v4
	v_xor_b32_e32 v1, 8, v4
	;; [unrolled: 1-line block ×3, first 2 shown]
	s_wait_alu 0xfffe
	s_add_co_i32 s2, s2, s4
	s_wait_alu 0xfffe
	s_lshl_b64 s[2:3], s[2:3], 2
	v_cmp_gt_i32_e32 vcc_lo, 32, v0
	s_wait_alu 0xfffd
	v_cndmask_b32_e32 v0, v4, v0, vcc_lo
	v_cmp_gt_i32_e32 vcc_lo, 32, v1
	s_wait_kmcnt 0x0
	s_wait_alu 0xfffe
	s_add_nc_u64 s[0:1], s[0:1], s[2:3]
	s_wait_alu 0xfffd
	v_cndmask_b32_e32 v1, v4, v1, vcc_lo
	s_delay_alu instid0(VALU_DEP_1)
	v_lshlrev_b32_e32 v1, 2, v1
	v_lshlrev_b32_e32 v0, 2, v0
	ds_bpermute_b32 v2, v0, v18
	s_wait_dscnt 0x0
	v_add_f32_e32 v3, v18, v2
	v_xor_b32_e32 v2, 4, v4
	ds_bpermute_b32 v5, v1, v3
	v_cmp_gt_i32_e32 vcc_lo, 32, v2
	s_wait_dscnt 0x0
	s_wait_alu 0xfffd
	v_dual_cndmask_b32 v2, v4, v2 :: v_dual_add_f32 v5, v3, v5
	s_delay_alu instid0(VALU_DEP_1)
	v_lshlrev_b32_e32 v2, 2, v2
	v_xor_b32_e32 v3, 2, v4
	ds_bpermute_b32 v6, v2, v5
	v_cmp_gt_i32_e32 vcc_lo, 32, v3
	s_wait_alu 0xfffd
	v_cndmask_b32_e32 v3, v4, v3, vcc_lo
	v_cmp_gt_i32_e32 vcc_lo, 32, v7
	s_wait_alu 0xfffd
	v_cndmask_b32_e32 v4, v4, v7, vcc_lo
	v_cmp_eq_u32_e32 vcc_lo, 0, v12
	s_delay_alu instid0(VALU_DEP_2)
	v_lshlrev_b32_e32 v4, 2, v4
	v_lshlrev_b32_e32 v3, 2, v3
	s_wait_dscnt 0x0
	v_add_f32_e32 v5, v5, v6
	ds_bpermute_b32 v6, v3, v5
	s_wait_dscnt 0x0
	v_add_f32_e32 v5, v5, v6
	ds_bpermute_b32 v6, v4, v5
	s_and_saveexec_b32 s2, vcc_lo
	s_cbranch_execz .LBB225_7
; %bb.6:
	s_wait_dscnt 0x0
	v_dual_add_f32 v5, v5, v6 :: v_dual_mov_b32 v6, 0
	global_store_b32 v6, v5, s[0:1]
.LBB225_7:
	s_wait_alu 0xfffe
	s_or_b32 exec_lo, exec_lo, s2
	ds_bpermute_b32 v5, v0, v16
	s_wait_dscnt 0x0
	v_add_f32_e32 v5, v16, v5
	ds_bpermute_b32 v6, v1, v5
	s_wait_dscnt 0x0
	v_add_f32_e32 v5, v5, v6
	;; [unrolled: 3-line block ×4, first 2 shown]
	ds_bpermute_b32 v6, v4, v5
	s_and_saveexec_b32 s2, vcc_lo
	s_cbranch_execz .LBB225_9
; %bb.8:
	s_mov_b32 s7, 0
	s_wait_dscnt 0x0
	v_dual_add_f32 v5, v5, v6 :: v_dual_mov_b32 v6, 0
	s_wait_alu 0xfffe
	s_lshl_b64 s[4:5], s[6:7], 2
	s_wait_alu 0xfffe
	s_add_nc_u64 s[4:5], s[0:1], s[4:5]
	global_store_b32 v6, v5, s[4:5]
.LBB225_9:
	s_wait_alu 0xfffe
	s_or_b32 exec_lo, exec_lo, s2
	ds_bpermute_b32 v5, v0, v14
	s_wait_dscnt 0x0
	v_add_f32_e32 v5, v14, v5
	ds_bpermute_b32 v6, v1, v5
	s_wait_dscnt 0x0
	v_add_f32_e32 v5, v5, v6
	;; [unrolled: 3-line block ×4, first 2 shown]
	ds_bpermute_b32 v6, v4, v5
	s_and_saveexec_b32 s2, vcc_lo
	s_cbranch_execz .LBB225_11
; %bb.10:
	s_lshl_b32 s4, s6, 1
	s_mov_b32 s5, 0
	s_wait_dscnt 0x0
	v_dual_add_f32 v5, v5, v6 :: v_dual_mov_b32 v6, 0
	s_wait_alu 0xfffe
	s_lshl_b64 s[4:5], s[4:5], 2
	s_wait_alu 0xfffe
	s_add_nc_u64 s[4:5], s[0:1], s[4:5]
	global_store_b32 v6, v5, s[4:5]
.LBB225_11:
	s_wait_alu 0xfffe
	s_or_b32 exec_lo, exec_lo, s2
	ds_bpermute_b32 v5, v0, v13
	s_wait_dscnt 0x0
	v_add_f32_e32 v5, v13, v5
	ds_bpermute_b32 v6, v1, v5
	s_wait_dscnt 0x0
	v_add_f32_e32 v5, v5, v6
	;; [unrolled: 3-line block ×4, first 2 shown]
	ds_bpermute_b32 v6, v4, v5
	s_and_saveexec_b32 s2, vcc_lo
	s_cbranch_execz .LBB225_13
; %bb.12:
	s_mul_i32 s4, s6, 3
	s_mov_b32 s5, 0
	s_wait_dscnt 0x0
	v_dual_add_f32 v5, v5, v6 :: v_dual_mov_b32 v6, 0
	s_wait_alu 0xfffe
	s_lshl_b64 s[4:5], s[4:5], 2
	s_wait_alu 0xfffe
	s_add_nc_u64 s[4:5], s[0:1], s[4:5]
	global_store_b32 v6, v5, s[4:5]
.LBB225_13:
	s_wait_alu 0xfffe
	s_or_b32 exec_lo, exec_lo, s2
	ds_bpermute_b32 v5, v0, v10
	s_wait_dscnt 0x0
	v_add_f32_e32 v5, v10, v5
	ds_bpermute_b32 v6, v1, v5
	s_wait_dscnt 0x0
	v_add_f32_e32 v5, v5, v6
	ds_bpermute_b32 v6, v2, v5
	s_wait_dscnt 0x0
	v_add_f32_e32 v5, v5, v6
	ds_bpermute_b32 v6, v3, v5
	s_wait_dscnt 0x0
	v_add_f32_e32 v5, v5, v6
	ds_bpermute_b32 v6, v4, v5
	s_and_saveexec_b32 s2, vcc_lo
	s_cbranch_execz .LBB225_15
; %bb.14:
	s_lshl_b32 s4, s6, 2
	s_mov_b32 s5, 0
	s_wait_dscnt 0x0
	v_dual_add_f32 v5, v5, v6 :: v_dual_mov_b32 v6, 0
	s_wait_alu 0xfffe
	s_lshl_b64 s[4:5], s[4:5], 2
	s_wait_alu 0xfffe
	s_add_nc_u64 s[4:5], s[0:1], s[4:5]
	global_store_b32 v6, v5, s[4:5]
.LBB225_15:
	s_wait_alu 0xfffe
	s_or_b32 exec_lo, exec_lo, s2
	ds_bpermute_b32 v0, v0, v11
	s_wait_dscnt 0x0
	v_add_f32_e32 v0, v11, v0
	ds_bpermute_b32 v1, v1, v0
	s_wait_dscnt 0x0
	v_add_f32_e32 v0, v0, v1
	ds_bpermute_b32 v1, v2, v0
	s_wait_dscnt 0x0
	v_add_f32_e32 v0, v0, v1
	ds_bpermute_b32 v1, v3, v0
	s_wait_dscnt 0x0
	v_add_f32_e32 v0, v0, v1
	ds_bpermute_b32 v1, v4, v0
	s_and_b32 exec_lo, exec_lo, vcc_lo
	s_cbranch_execz .LBB225_17
; %bb.16:
	s_mul_i32 s2, s6, 5
	s_mov_b32 s3, 0
	s_wait_dscnt 0x0
	v_dual_add_f32 v0, v0, v1 :: v_dual_mov_b32 v1, 0
	s_wait_alu 0xfffe
	s_lshl_b64 s[2:3], s[2:3], 2
	s_wait_alu 0xfffe
	s_add_nc_u64 s[0:1], s[0:1], s[2:3]
	global_store_b32 v1, v0, s[0:1]
.LBB225_17:
	s_endpgm
	.section	.rodata,"a",@progbits
	.p2align	6, 0x0
	.amdhsa_kernel _ZL13mul_mat_vec_qIL9ggml_type29ELi6ELb0ELb0EEvPKvS2_PKi31ggml_cuda_mm_fusion_args_devicePfj15HIP_vector_typeIjLj3EEjjjS8_jjjS8_jjjj
		.amdhsa_group_segment_fixed_size 0
		.amdhsa_private_segment_fixed_size 0
		.amdhsa_kernarg_size 144
		.amdhsa_user_sgpr_count 2
		.amdhsa_user_sgpr_dispatch_ptr 0
		.amdhsa_user_sgpr_queue_ptr 0
		.amdhsa_user_sgpr_kernarg_segment_ptr 1
		.amdhsa_user_sgpr_dispatch_id 0
		.amdhsa_user_sgpr_private_segment_size 0
		.amdhsa_wavefront_size32 1
		.amdhsa_uses_dynamic_stack 0
		.amdhsa_enable_private_segment 0
		.amdhsa_system_sgpr_workgroup_id_x 1
		.amdhsa_system_sgpr_workgroup_id_y 1
		.amdhsa_system_sgpr_workgroup_id_z 1
		.amdhsa_system_sgpr_workgroup_info 0
		.amdhsa_system_vgpr_workitem_id 1
		.amdhsa_next_free_vgpr 92
		.amdhsa_next_free_sgpr 30
		.amdhsa_reserve_vcc 1
		.amdhsa_float_round_mode_32 0
		.amdhsa_float_round_mode_16_64 0
		.amdhsa_float_denorm_mode_32 3
		.amdhsa_float_denorm_mode_16_64 3
		.amdhsa_fp16_overflow 0
		.amdhsa_workgroup_processor_mode 1
		.amdhsa_memory_ordered 1
		.amdhsa_forward_progress 1
		.amdhsa_inst_pref_size 32
		.amdhsa_round_robin_scheduling 0
		.amdhsa_exception_fp_ieee_invalid_op 0
		.amdhsa_exception_fp_denorm_src 0
		.amdhsa_exception_fp_ieee_div_zero 0
		.amdhsa_exception_fp_ieee_overflow 0
		.amdhsa_exception_fp_ieee_underflow 0
		.amdhsa_exception_fp_ieee_inexact 0
		.amdhsa_exception_int_div_zero 0
	.end_amdhsa_kernel
	.section	.text._ZL13mul_mat_vec_qIL9ggml_type29ELi6ELb0ELb0EEvPKvS2_PKi31ggml_cuda_mm_fusion_args_devicePfj15HIP_vector_typeIjLj3EEjjjS8_jjjS8_jjjj,"axG",@progbits,_ZL13mul_mat_vec_qIL9ggml_type29ELi6ELb0ELb0EEvPKvS2_PKi31ggml_cuda_mm_fusion_args_devicePfj15HIP_vector_typeIjLj3EEjjjS8_jjjS8_jjjj,comdat
.Lfunc_end225:
	.size	_ZL13mul_mat_vec_qIL9ggml_type29ELi6ELb0ELb0EEvPKvS2_PKi31ggml_cuda_mm_fusion_args_devicePfj15HIP_vector_typeIjLj3EEjjjS8_jjjS8_jjjj, .Lfunc_end225-_ZL13mul_mat_vec_qIL9ggml_type29ELi6ELb0ELb0EEvPKvS2_PKi31ggml_cuda_mm_fusion_args_devicePfj15HIP_vector_typeIjLj3EEjjjS8_jjjS8_jjjj
                                        ; -- End function
	.set _ZL13mul_mat_vec_qIL9ggml_type29ELi6ELb0ELb0EEvPKvS2_PKi31ggml_cuda_mm_fusion_args_devicePfj15HIP_vector_typeIjLj3EEjjjS8_jjjS8_jjjj.num_vgpr, 92
	.set _ZL13mul_mat_vec_qIL9ggml_type29ELi6ELb0ELb0EEvPKvS2_PKi31ggml_cuda_mm_fusion_args_devicePfj15HIP_vector_typeIjLj3EEjjjS8_jjjS8_jjjj.num_agpr, 0
	.set _ZL13mul_mat_vec_qIL9ggml_type29ELi6ELb0ELb0EEvPKvS2_PKi31ggml_cuda_mm_fusion_args_devicePfj15HIP_vector_typeIjLj3EEjjjS8_jjjS8_jjjj.numbered_sgpr, 30
	.set _ZL13mul_mat_vec_qIL9ggml_type29ELi6ELb0ELb0EEvPKvS2_PKi31ggml_cuda_mm_fusion_args_devicePfj15HIP_vector_typeIjLj3EEjjjS8_jjjS8_jjjj.num_named_barrier, 0
	.set _ZL13mul_mat_vec_qIL9ggml_type29ELi6ELb0ELb0EEvPKvS2_PKi31ggml_cuda_mm_fusion_args_devicePfj15HIP_vector_typeIjLj3EEjjjS8_jjjS8_jjjj.private_seg_size, 0
	.set _ZL13mul_mat_vec_qIL9ggml_type29ELi6ELb0ELb0EEvPKvS2_PKi31ggml_cuda_mm_fusion_args_devicePfj15HIP_vector_typeIjLj3EEjjjS8_jjjS8_jjjj.uses_vcc, 1
	.set _ZL13mul_mat_vec_qIL9ggml_type29ELi6ELb0ELb0EEvPKvS2_PKi31ggml_cuda_mm_fusion_args_devicePfj15HIP_vector_typeIjLj3EEjjjS8_jjjS8_jjjj.uses_flat_scratch, 0
	.set _ZL13mul_mat_vec_qIL9ggml_type29ELi6ELb0ELb0EEvPKvS2_PKi31ggml_cuda_mm_fusion_args_devicePfj15HIP_vector_typeIjLj3EEjjjS8_jjjS8_jjjj.has_dyn_sized_stack, 0
	.set _ZL13mul_mat_vec_qIL9ggml_type29ELi6ELb0ELb0EEvPKvS2_PKi31ggml_cuda_mm_fusion_args_devicePfj15HIP_vector_typeIjLj3EEjjjS8_jjjS8_jjjj.has_recursion, 0
	.set _ZL13mul_mat_vec_qIL9ggml_type29ELi6ELb0ELb0EEvPKvS2_PKi31ggml_cuda_mm_fusion_args_devicePfj15HIP_vector_typeIjLj3EEjjjS8_jjjS8_jjjj.has_indirect_call, 0
	.section	.AMDGPU.csdata,"",@progbits
; Kernel info:
; codeLenInByte = 3992
; TotalNumSgprs: 32
; NumVgprs: 92
; ScratchSize: 0
; MemoryBound: 0
; FloatMode: 240
; IeeeMode: 1
; LDSByteSize: 0 bytes/workgroup (compile time only)
; SGPRBlocks: 0
; VGPRBlocks: 11
; NumSGPRsForWavesPerEU: 32
; NumVGPRsForWavesPerEU: 92
; Occupancy: 16
; WaveLimiterHint : 0
; COMPUTE_PGM_RSRC2:SCRATCH_EN: 0
; COMPUTE_PGM_RSRC2:USER_SGPR: 2
; COMPUTE_PGM_RSRC2:TRAP_HANDLER: 0
; COMPUTE_PGM_RSRC2:TGID_X_EN: 1
; COMPUTE_PGM_RSRC2:TGID_Y_EN: 1
; COMPUTE_PGM_RSRC2:TGID_Z_EN: 1
; COMPUTE_PGM_RSRC2:TIDIG_COMP_CNT: 1
	.section	.text._ZL13mul_mat_vec_qIL9ggml_type29ELi7ELb0ELb0EEvPKvS2_PKi31ggml_cuda_mm_fusion_args_devicePfj15HIP_vector_typeIjLj3EEjjjS8_jjjS8_jjjj,"axG",@progbits,_ZL13mul_mat_vec_qIL9ggml_type29ELi7ELb0ELb0EEvPKvS2_PKi31ggml_cuda_mm_fusion_args_devicePfj15HIP_vector_typeIjLj3EEjjjS8_jjjS8_jjjj,comdat
	.globl	_ZL13mul_mat_vec_qIL9ggml_type29ELi7ELb0ELb0EEvPKvS2_PKi31ggml_cuda_mm_fusion_args_devicePfj15HIP_vector_typeIjLj3EEjjjS8_jjjS8_jjjj ; -- Begin function _ZL13mul_mat_vec_qIL9ggml_type29ELi7ELb0ELb0EEvPKvS2_PKi31ggml_cuda_mm_fusion_args_devicePfj15HIP_vector_typeIjLj3EEjjjS8_jjjS8_jjjj
	.p2align	8
	.type	_ZL13mul_mat_vec_qIL9ggml_type29ELi7ELb0ELb0EEvPKvS2_PKi31ggml_cuda_mm_fusion_args_devicePfj15HIP_vector_typeIjLj3EEjjjS8_jjjS8_jjjj,@function
_ZL13mul_mat_vec_qIL9ggml_type29ELi7ELb0ELb0EEvPKvS2_PKi31ggml_cuda_mm_fusion_args_devicePfj15HIP_vector_typeIjLj3EEjjjS8_jjjS8_jjjj: ; @_ZL13mul_mat_vec_qIL9ggml_type29ELi7ELb0ELb0EEvPKvS2_PKi31ggml_cuda_mm_fusion_args_devicePfj15HIP_vector_typeIjLj3EEjjjS8_jjjS8_jjjj
; %bb.0:
	s_clause 0x5
	s_load_b96 s[16:18], s[0:1], 0x80
	s_load_b32 s2, s[0:1], 0x40
	s_load_b128 s[4:7], s[0:1], 0x50
	s_load_b32 s23, s[0:1], 0x60
	s_load_b128 s[8:11], s[0:1], 0x68
	s_load_b32 s24, s[0:1], 0x78
	v_bfe_u32 v12, v0, 10, 10
	v_dual_mov_b32 v8, 0 :: v_dual_and_b32 v9, 0x3ff, v0
	v_dual_mov_b32 v7, 0 :: v_dual_mov_b32 v10, 0
	v_dual_mov_b32 v11, 0 :: v_dual_mov_b32 v14, 0
	s_delay_alu instid0(VALU_DEP_3) | instskip(SKIP_3) | instid1(VALU_DEP_2)
	v_lshl_or_b32 v0, v12, 5, v9
	v_dual_mov_b32 v13, 0 :: v_dual_mov_b32 v16, 0
	s_and_b32 s19, ttmp7, 0xffff
	s_lshr_b32 s20, ttmp7, 16
	v_lshrrev_b32_e32 v15, 3, v0
	s_mov_b32 s21, exec_lo
	s_wait_kmcnt 0x0
	s_lshr_b32 s22, s2, 8
	s_delay_alu instid0(VALU_DEP_1) | instid1(SALU_CYCLE_1)
	v_cmpx_gt_u32_e64 s22, v15
	s_cbranch_execz .LBB226_4
; %bb.1:
	v_lshl_add_u32 v0, v12, 5, v9
	s_mul_hi_u32 s11, s11, s20
	s_mov_b32 s3, 0
	s_mul_i32 s26, s9, s19
	s_add_co_i32 s9, s20, s11
	v_lshrrev_b32_e32 v0, 3, v0
	s_mov_b32 s27, s3
	s_lshr_b32 s9, s9, s24
	s_mul_u64 s[24:25], s[26:27], 36
	s_mul_i32 s2, s17, s20
	v_mad_co_u64_u32 v[0:1], null, 0x120, v0, s[24:25]
	s_load_b128 s[12:15], s[0:1], 0x0
	v_and_b32_e32 v10, 7, v9
	v_and_b32_e32 v4, 1, v9
	v_bfe_u32 v11, v9, 1, 2
	v_dual_mov_b32 v13, 0 :: v_dual_lshlrev_b32 v6, 3, v15
	v_mad_co_u64_u32 v[2:3], null, s2, 36, v[0:1]
	s_delay_alu instid0(VALU_DEP_3)
	v_lshlrev_b32_e32 v23, 1, v11
	v_mov_b32_e32 v11, 0
	v_cmp_eq_u32_e32 vcc_lo, 1, v4
	s_mul_hi_u32 s7, s7, s19
	s_mul_u64 s[28:29], s[2:3], 36
	s_add_co_i32 s7, s19, s7
	s_delay_alu instid0(VALU_DEP_4)
	v_mad_co_u64_u32 v[7:8], null, v10, 36, v[2:3]
	v_cndmask_b32_e64 v18, 0, 6, vcc_lo
	s_lshr_b32 s7, s7, s23
	s_mul_i32 s11, s9, s16
	s_mul_i32 s7, s7, s8
	s_wait_kmcnt 0x0
	s_add_nc_u64 s[8:9], s[14:15], s[28:29]
	v_add_nc_u32_e32 v19, s5, v6
	v_mad_co_u64_u32 v[2:3], null, s5, 6, v[6:7]
	v_mad_co_u64_u32 v[3:4], null, s5, 5, v[6:7]
	;; [unrolled: 1-line block ×3, first 2 shown]
	v_add_co_u32 v5, vcc_lo, s14, v7
	s_wait_alu 0xfffd
	v_add_co_ci_u32_e64 v7, null, s15, v8, vcc_lo
	s_add_nc_u64 s[8:9], s[8:9], s[24:25]
	v_add_co_u32 v5, vcc_lo, v5, 16
	v_lshl_add_u32 v20, s5, 2, v6
	v_lshl_add_u32 v21, s5, 1, v6
	s_wait_alu 0xfffd
	v_add_co_ci_u32_e64 v6, null, 0, v7, vcc_lo
	v_mov_b32_e32 v7, 0
	v_mad_co_u64_u32 v[0:1], null, v10, 36, s[8:9]
	s_mul_i32 s4, s4, ttmp9
	v_dual_mov_b32 v16, 0 :: v_dual_lshlrev_b32 v17, 1, v10
	v_lshlrev_b32_e32 v22, 2, v10
	v_mov_b32_e32 v8, 0
	v_mov_b32_e32 v10, 0
	;; [unrolled: 1-line block ×3, first 2 shown]
	s_wait_alu 0xfffe
	s_add_co_i32 s7, s7, s4
	s_delay_alu instid0(SALU_CYCLE_1)
	s_add_co_i32 s2, s11, s7
	s_mov_b32 s7, 0xbd000000
.LBB226_2:                              ; =>This Inner Loop Header: Depth=1
	s_wait_alu 0xfffe
	v_add_nc_u32_e32 v32, s2, v15
	v_mad_co_u64_u32 v[40:41], null, v19, 36, v[0:1]
	v_mad_co_u64_u32 v[64:65], null, v21, 36, v[0:1]
	s_delay_alu instid0(VALU_DEP_3) | instskip(SKIP_3) | instid1(VALU_DEP_4)
	v_mad_co_i64_i32 v[70:71], null, v32, 56, s[12:13]
	v_mad_co_u64_u32 v[52:53], null, v4, 36, v[0:1]
	v_mad_co_u64_u32 v[66:67], null, v20, 36, v[0:1]
	;; [unrolled: 1-line block ×3, first 2 shown]
	v_add_co_u32 v72, vcc_lo, v70, v22
	s_wait_alu 0xfffd
	v_add_co_ci_u32_e64 v73, null, 0, v71, vcc_lo
	v_add_co_u32 v74, vcc_lo, v70, v17
	s_wait_alu 0xfffd
	v_add_co_ci_u32_e64 v75, null, 0, v71, vcc_lo
	;; [unrolled: 3-line block ×3, first 2 shown]
	s_clause 0x1
	global_load_b128 v[24:27], v[5:6], off offset:-16
	global_load_b128 v[28:31], v[5:6], off
	s_clause 0xa
	global_load_b128 v[32:35], v[40:41], off
	global_load_b128 v[36:39], v[40:41], off offset:16
	global_load_b32 v78, v[40:41], off offset:32
	global_load_b128 v[40:43], v[64:65], off
	global_load_b128 v[44:47], v[52:53], off
	global_load_b128 v[48:51], v[52:53], off offset:16
	global_load_b32 v79, v[52:53], off offset:32
	global_load_b128 v[52:55], v[66:67], off
	global_load_b32 v80, v[60:61], off offset:32
	global_load_b128 v[56:59], v[60:61], off
	global_load_b128 v[60:63], v[60:61], off offset:16
	s_clause 0x3
	global_load_b32 v72, v[72:73], off
	global_load_u16 v73, v[74:75], off offset:32
	global_load_u16 v74, v[76:77], off offset:48
	global_load_b64 v[70:71], v[70:71], off offset:48
	s_getpc_b64 s[4:5]
	s_wait_alu 0xfffe
	s_sext_i32_i16 s5, s5
	s_add_co_u32 s4, s4, _ZL13iq1s_grid_gpu@rel32@lo+12
	s_wait_alu 0xfffe
	s_add_co_ci_u32 s5, s5, _ZL13iq1s_grid_gpu@rel32@hi+24
	v_mad_co_u64_u32 v[68:69], null, v2, 36, v[0:1]
	s_wait_loadcnt 0xd
	v_dot4_i32_iu8 v93, v39, 0x1010101, 0 neg_lo:[1,1,0]
	s_wait_loadcnt 0xb
	v_cvt_f32_f16_e32 v40, v40
	s_wait_loadcnt 0x3
	v_and_b32_e32 v84, 0xff, v72
	s_wait_loadcnt 0x2
	v_lshlrev_b32_e32 v85, 8, v73
	v_bfe_u32 v86, v72, 8, 8
	v_lshlrev_b32_e32 v87, 4, v73
	v_lshrrev_b16 v88, 8, v73
	v_lshrrev_b32_e32 v83, 24, v72
	v_and_or_b32 v84, 0x700, v85, v84
	v_bfe_u32 v72, v72, 16, 8
	v_and_or_b32 v85, 0x700, v87, v86
	v_and_b32_e32 v86, 0xffff, v88
	v_cvt_f32_f16_e32 v82, v24
	v_lshlrev_b32_e32 v84, 2, v84
	v_dot4_i32_iu8 v75, v25, 0x1010101, 0 neg_lo:[1,1,0]
	v_lshlrev_b32_e32 v85, 2, v85
	s_clause 0x1
	global_load_b32 v84, v84, s[4:5]
	global_load_b32 v85, v85, s[4:5]
	v_lshlrev_b32_e32 v87, 8, v86
	v_lshlrev_b32_e32 v88, 4, v86
	v_dot4_i32_iu8 v76, v27, 0x1010101, 0 neg_lo:[1,1,0]
	v_dot4_i32_iu8 v24, v35, 0x1010101, 0 neg_lo:[1,1,0]
	;; [unrolled: 1-line block ×3, first 2 shown]
	v_and_or_b32 v72, 0x700, v87, v72
	v_and_or_b32 v83, 0x700, v88, v83
	v_dot4_i32_iu8 v76, v28, 0x1010101, v76 neg_lo:[1,1,0]
	v_dot4_i32_iu8 v94, v36, 0x1010101, v24 neg_lo:[1,1,0]
	v_dot4_i32_iu8 v77, v29, 0x1010101, 0 neg_lo:[1,1,0]
	v_lshlrev_b32_e32 v72, 2, v72
	v_lshlrev_b32_e32 v83, 2, v83
	s_clause 0x1
	global_load_b32 v72, v72, s[4:5]
	global_load_b32 v83, v83, s[4:5]
	v_dot4_i32_iu8 v81, v31, 0x1010101, 0 neg_lo:[1,1,0]
	v_dot4_i32_iu8 v77, v30, 0x1010101, v77 neg_lo:[1,1,0]
	s_wait_loadcnt 0x5
	v_lshrrev_b32_e32 v74, v18, v74
	s_wait_loadcnt 0x3
	v_lshrrev_b32_e32 v87, 4, v84
	v_and_b32_e32 v84, 0xf0f0f0f, v84
	s_wait_loadcnt 0x2
	v_and_b32_e32 v88, 0xf0f0f0f, v85
	s_delay_alu instid0(VALU_DEP_3) | instskip(NEXT) | instid1(VALU_DEP_3)
	v_and_b32_e32 v87, 0xf0f0f0f, v87
	v_dot4_i32_iu8 v25, v84, v25, 0 neg_lo:[1,1,0]
	v_dot4_i32_iu8 v24, v84, v33, 0 neg_lo:[1,1,0]
	s_delay_alu instid0(VALU_DEP_2) | instskip(NEXT) | instid1(VALU_DEP_2)
	v_dot4_i32_iu8 v25, v87, v26, v25 neg_lo:[1,1,0]
	v_dot4_i32_iu8 v24, v87, v34, v24 neg_lo:[1,1,0]
	;; [unrolled: 1-line block ×3, first 2 shown]
	s_delay_alu instid0(VALU_DEP_3)
	v_dot4_i32_iu8 v25, v88, v27, v25 neg_lo:[1,1,0]
	v_lshrrev_b32_e32 v27, 4, v85
	s_wait_loadcnt 0x0
	v_and_b32_e32 v89, 0xf0f0f0f, v83
	v_dot4_i32_iu8 v24, v88, v35, v24 neg_lo:[1,1,0]
	v_dot4_i32_iu8 v95, v38, 0x1010101, v26 neg_lo:[1,1,0]
	v_and_b32_e32 v85, 0xf0f0f0f, v27
	v_lshrrev_b32_e32 v27, 4, v72
	v_and_b32_e32 v72, 0xf0f0f0f, v72
	s_delay_alu instid0(VALU_DEP_3) | instskip(SKIP_1) | instid1(VALU_DEP_4)
	v_dot4_i32_iu8 v91, v85, v28, v25 neg_lo:[1,1,0]
	v_dot4_i32_iu8 v28, v33, 0x1010101, 0 neg_lo:[1,1,0]
	v_and_b32_e32 v90, 0xf0f0f0f, v27
	s_delay_alu instid0(VALU_DEP_4)
	v_dot4_i32_iu8 v25, v72, v37, 0 neg_lo:[1,1,0]
	v_dot4_i32_iu8 v27, v72, v29, 0 neg_lo:[1,1,0]
	v_dot4_i32_iu8 v36, v85, v36, v24 neg_lo:[1,1,0]
	v_dot4_i32_iu8 v33, v34, 0x1010101, v28 neg_lo:[1,1,0]
	v_dot4_i32_iu8 v28, v41, 0x1010101, 0 neg_lo:[1,1,0]
	v_dot4_i32_iu8 v25, v90, v38, v25 neg_lo:[1,1,0]
	v_dot4_i32_iu8 v27, v90, v30, v27 neg_lo:[1,1,0]
	v_cvt_f32_f16_e32 v38, v32
	v_dot4_i32_iu8 v32, v43, 0x1010101, 0 neg_lo:[1,1,0]
	v_dot4_i32_iu8 v34, v42, 0x1010101, v28 neg_lo:[1,1,0]
	;; [unrolled: 1-line block ×5, first 2 shown]
	global_load_b128 v[24:27], v[68:69], off
	v_dot4_i32_iu8 v41, v47, 0x1010101, 0 neg_lo:[1,1,0]
	v_dot4_i32_iu8 v28, v87, v42, v28 neg_lo:[1,1,0]
	v_cvt_f32_i32_e32 v33, v33
	s_delay_alu instid0(VALU_DEP_3) | instskip(NEXT) | instid1(VALU_DEP_3)
	v_dot4_i32_iu8 v41, v48, 0x1010101, v41 neg_lo:[1,1,0]
	v_dot4_i32_iu8 v39, v88, v43, v28 neg_lo:[1,1,0]
	;; [unrolled: 1-line block ×3, first 2 shown]
	v_cvt_f32_f16_e32 v43, v44
	v_dot4_i32_iu8 v44, v55, 0x1010101, 0 neg_lo:[1,1,0]
	v_cvt_f32_i32_e32 v41, v41
	s_delay_alu instid0(VALU_DEP_4) | instskip(SKIP_1) | instid1(VALU_DEP_2)
	v_dot4_i32_iu8 v35, v46, 0x1010101, v28 neg_lo:[1,1,0]
	v_dot4_i32_iu8 v28, v84, v45, 0 neg_lo:[1,1,0]
	v_cvt_f32_i32_e32 v35, v35
	s_delay_alu instid0(VALU_DEP_2) | instskip(NEXT) | instid1(VALU_DEP_1)
	v_dot4_i32_iu8 v28, v87, v46, v28 neg_lo:[1,1,0]
	v_dot4_i32_iu8 v42, v88, v47, v28 neg_lo:[1,1,0]
	v_dot4_i32_iu8 v28, v53, 0x1010101, 0 neg_lo:[1,1,0]
	v_cvt_f32_f16_e32 v47, v52
	v_dot4_i32_iu8 v52, v59, 0x1010101, 0 neg_lo:[1,1,0]
	s_delay_alu instid0(VALU_DEP_3) | instskip(SKIP_1) | instid1(VALU_DEP_3)
	v_dot4_i32_iu8 v45, v54, 0x1010101, v28 neg_lo:[1,1,0]
	v_dot4_i32_iu8 v28, v84, v53, 0 neg_lo:[1,1,0]
	;; [unrolled: 1-line block ×3, first 2 shown]
	s_delay_alu instid0(VALU_DEP_2) | instskip(NEXT) | instid1(VALU_DEP_2)
	v_dot4_i32_iu8 v28, v87, v54, v28 neg_lo:[1,1,0]
	v_cvt_f32_i32_e32 v52, v52
	s_delay_alu instid0(VALU_DEP_2) | instskip(SKIP_2) | instid1(VALU_DEP_2)
	v_dot4_i32_iu8 v46, v88, v55, v28 neg_lo:[1,1,0]
	v_dot4_i32_iu8 v28, v57, 0x1010101, 0 neg_lo:[1,1,0]
	v_cvt_f32_f16_e32 v55, v56
	v_dot4_i32_iu8 v53, v58, 0x1010101, v28 neg_lo:[1,1,0]
	v_dot4_i32_iu8 v28, v84, v57, 0 neg_lo:[1,1,0]
	s_delay_alu instid0(VALU_DEP_1) | instskip(NEXT) | instid1(VALU_DEP_1)
	v_dot4_i32_iu8 v28, v87, v58, v28 neg_lo:[1,1,0]
	v_dot4_i32_iu8 v54, v88, v59, v28 neg_lo:[1,1,0]
	s_clause 0x2
	global_load_b32 v56, v[64:65], off offset:32
	global_load_b128 v[28:31], v[64:65], off offset:16
	global_load_b32 v64, v[66:67], off offset:32
	s_wait_loadcnt 0x3
	v_dot4_i32_iu8 v57, v84, v25, 0 neg_lo:[1,1,0]
	v_dot4_i32_iu8 v25, v25, 0x1010101, 0 neg_lo:[1,1,0]
	;; [unrolled: 1-line block ×3, first 2 shown]
	v_cvt_f32_f16_e32 v59, v24
	v_cvt_f32_i32_e32 v24, v75
	v_dot4_i32_iu8 v57, v87, v26, v57 neg_lo:[1,1,0]
	v_dot4_i32_iu8 v25, v26, 0x1010101, v25 neg_lo:[1,1,0]
	v_and_b32_e32 v26, 8, v73
	s_delay_alu instid0(VALU_DEP_3) | instskip(SKIP_1) | instid1(VALU_DEP_3)
	v_dot4_i32_iu8 v57, v88, v27, v57 neg_lo:[1,1,0]
	v_cvt_f32_i32_e32 v27, v34
	v_cvt_f32_ubyte0_e32 v26, v26
	v_cvt_f32_i32_e32 v34, v45
	v_cvt_f32_i32_e32 v25, v25
	;; [unrolled: 1-line block ×3, first 2 shown]
	s_delay_alu instid0(VALU_DEP_4) | instskip(NEXT) | instid1(VALU_DEP_1)
	v_fmaak_f32 v26, s7, v26, 0xbf600000
	v_fma_f32 v84, v26, v34, 0
	v_bfe_u32 v34, v73, 4, 4
	v_fma_f32 v53, v26, v24, 0
	v_fma_f32 v65, v26, v27, 0
	;; [unrolled: 1-line block ×4, first 2 shown]
	v_and_b32_e32 v34, 8, v34
	v_fma_f32 v88, v26, v25, 0
	v_fma_f32 v45, v26, v45, 0
	global_load_b128 v[24:27], v[66:67], off offset:16
	v_cvt_f32_i32_e32 v33, v76
	v_cvt_f32_ubyte0_e32 v34, v34
	global_load_b32 v67, v[68:69], off offset:32
	v_fmaak_f32 v66, s7, v34, 0xbf600000
	s_delay_alu instid0(VALU_DEP_1)
	v_fmac_f32_e32 v53, v66, v33
	v_cvt_f32_i32_e32 v33, v94
	v_fmac_f32_e32 v87, v66, v41
	v_fmac_f32_e32 v45, v66, v52
	v_dot4_i32_iu8 v41, v49, 0x1010101, 0 neg_lo:[1,1,0]
	v_dot4_i32_iu8 v52, v61, 0x1010101, 0 neg_lo:[1,1,0]
	v_fmac_f32_e32 v75, v66, v33
	v_lshrrev_b32_e32 v76, 4, v86
	s_delay_alu instid0(VALU_DEP_4) | instskip(NEXT) | instid1(VALU_DEP_4)
	v_dot4_i32_iu8 v41, v50, 0x1010101, v41 neg_lo:[1,1,0]
	v_dot4_i32_iu8 v52, v62, 0x1010101, v52 neg_lo:[1,1,0]
	s_delay_alu instid0(VALU_DEP_3) | instskip(NEXT) | instid1(VALU_DEP_3)
	v_and_b32_e32 v76, 8, v76
	v_cvt_f32_i32_e32 v41, v41
	s_delay_alu instid0(VALU_DEP_3) | instskip(SKIP_4) | instid1(VALU_DEP_3)
	v_cvt_f32_i32_e32 v52, v52
	s_wait_loadcnt 0x3
	v_dot4_i32_iu8 v32, v28, 0x1010101, v32 neg_lo:[1,1,0]
	v_cvt_f32_ubyte0_e32 v76, v76
	v_add_nc_u32_e32 v15, 4, v15
	v_cvt_f32_i32_e32 v32, v32
	s_delay_alu instid0(VALU_DEP_3) | instskip(NEXT) | instid1(VALU_DEP_2)
	v_fmaak_f32 v76, s7, v76, 0xbf600000
	v_fmac_f32_e32 v65, v66, v32
	global_load_b128 v[32:35], v[68:69], off offset:16
	v_pk_lshrrev_b16 v68, 4, v71
	v_cvt_f32_i32_e32 v71, v95
	s_delay_alu instid0(VALU_DEP_2) | instskip(SKIP_2) | instid1(VALU_DEP_1)
	v_and_b32_e32 v68, 0xf0000f00, v68
	s_wait_loadcnt 0x2
	v_dot4_i32_iu8 v44, v24, 0x1010101, v44 neg_lo:[1,1,0]
	v_cvt_f32_i32_e32 v44, v44
	s_delay_alu instid0(VALU_DEP_1) | instskip(SKIP_1) | instid1(VALU_DEP_1)
	v_fmac_f32_e32 v84, v66, v44
	v_dot4_i32_iu8 v44, v29, 0x1010101, 0 neg_lo:[1,1,0]
	v_dot4_i32_iu8 v44, v30, 0x1010101, v44 neg_lo:[1,1,0]
	s_delay_alu instid0(VALU_DEP_1) | instskip(SKIP_2) | instid1(VALU_DEP_1)
	v_cvt_f32_i32_e32 v44, v44
	s_wait_loadcnt 0x0
	v_dot4_i32_iu8 v58, v32, 0x1010101, v58 neg_lo:[1,1,0]
	v_cvt_f32_i32_e32 v58, v58
	s_delay_alu instid0(VALU_DEP_1) | instskip(SKIP_4) | instid1(VALU_DEP_4)
	v_fmac_f32_e32 v88, v66, v58
	v_pk_lshrrev_b16 v66, 0x8000c, v70
	v_dot4_i32_iu8 v58, v25, 0x1010101, 0 neg_lo:[1,1,0]
	v_cvt_f32_i32_e32 v70, v77
	v_dot4_i32_iu8 v77, v78, 0x1010101, v93 neg_lo:[1,1,0]
	v_lshrrev_b32_e32 v69, 16, v66
	s_delay_alu instid0(VALU_DEP_4) | instskip(NEXT) | instid1(VALU_DEP_3)
	v_dot4_i32_iu8 v58, v26, 0x1010101, v58 neg_lo:[1,1,0]
	v_cvt_f32_i32_e32 v77, v77
	s_delay_alu instid0(VALU_DEP_3) | instskip(NEXT) | instid1(VALU_DEP_3)
	v_and_b32_e32 v69, 0xf0, v69
	v_cvt_f32_i32_e32 v58, v58
	s_delay_alu instid0(VALU_DEP_2) | instskip(SKIP_1) | instid1(VALU_DEP_2)
	v_or_b32_e32 v66, v69, v66
	v_dot4_i32_iu8 v69, v33, 0x1010101, 0 neg_lo:[1,1,0]
	v_or_b32_e32 v66, v66, v68
	v_lshrrev_b32_e32 v68, 16, v68
	s_delay_alu instid0(VALU_DEP_3) | instskip(NEXT) | instid1(VALU_DEP_2)
	v_dot4_i32_iu8 v69, v34, 0x1010101, v69 neg_lo:[1,1,0]
	v_or_b32_e32 v66, v66, v68
	v_and_b32_e32 v68, 8, v86
	s_delay_alu instid0(VALU_DEP_3) | instskip(NEXT) | instid1(VALU_DEP_3)
	v_cvt_f32_i32_e32 v69, v69
	v_cvt_f32_f16_e32 v66, v66
	s_delay_alu instid0(VALU_DEP_3) | instskip(NEXT) | instid1(VALU_DEP_2)
	v_cvt_f32_ubyte0_e32 v68, v68
	v_dual_mul_f32 v38, v66, v38 :: v_dual_add_nc_u32 v21, 32, v21
	s_delay_alu instid0(VALU_DEP_2) | instskip(SKIP_3) | instid1(VALU_DEP_4)
	v_dual_fmaak_f32 v68, s7, v68, 0xbf600000 :: v_dual_mul_f32 v47, v66, v47
	v_dot4_i32_iu8 v25, v72, v25, 0 neg_lo:[1,1,0]
	v_dot4_i32_iu8 v33, v72, v33, 0 neg_lo:[1,1,0]
	;; [unrolled: 1-line block ×3, first 2 shown]
	v_fma_f32 v70, v68, v70, 0
	v_fma_f32 v71, v68, v71, 0
	;; [unrolled: 1-line block ×7, first 2 shown]
	global_load_b32 v69, v[5:6], off offset:16
	v_fmac_f32_e32 v71, v76, v77
	v_dot4_i32_iu8 v77, v51, 0x1010101, 0 neg_lo:[1,1,0]
	v_dot4_i32_iu8 v25, v90, v26, v25 neg_lo:[1,1,0]
	;; [unrolled: 1-line block ×3, first 2 shown]
	v_cvt_f32_i32_e32 v34, v91
	v_mul_f32_e32 v40, v66, v40
	v_dot4_i32_iu8 v77, v79, 0x1010101, v77 neg_lo:[1,1,0]
	v_mul_f32_e32 v43, v66, v43
	v_mul_f32_e32 v59, v66, v59
	;; [unrolled: 1-line block ×3, first 2 shown]
	v_dot4_i32_iu8 v49, v72, v49, 0 neg_lo:[1,1,0]
	v_cvt_f32_i32_e32 v77, v77
	v_add_co_u32 v5, vcc_lo, 0x480, v5
	s_wait_alu 0xfffd
	v_add_co_ci_u32_e64 v6, null, 0, v6, vcc_lo
	s_delay_alu instid0(VALU_DEP_3) | instskip(SKIP_3) | instid1(VALU_DEP_3)
	v_fmac_f32_e32 v41, v76, v77
	v_dot4_i32_iu8 v77, v63, 0x1010101, 0 neg_lo:[1,1,0]
	v_cmp_le_u32_e32 vcc_lo, s22, v15
	v_add_f32_e32 v34, v53, v34
	v_dot4_i32_iu8 v77, v80, 0x1010101, v77 neg_lo:[1,1,0]
	s_or_b32 s3, vcc_lo, s3
	s_delay_alu instid0(VALU_DEP_1) | instskip(NEXT) | instid1(VALU_DEP_1)
	v_cvt_f32_i32_e32 v77, v77
	v_dual_fmac_f32 v52, v76, v77 :: v_dual_add_nc_u32 v19, 32, v19
	s_wait_loadcnt 0x0
	v_dot4_i32_iu8 v73, v69, 0x1010101, v81 neg_lo:[1,1,0]
	s_delay_alu instid0(VALU_DEP_1) | instskip(NEXT) | instid1(VALU_DEP_1)
	v_cvt_f32_i32_e32 v73, v73
	v_fmac_f32_e32 v70, v76, v73
	v_dot4_i32_iu8 v73, v31, 0x1010101, 0 neg_lo:[1,1,0]
	s_delay_alu instid0(VALU_DEP_1) | instskip(NEXT) | instid1(VALU_DEP_1)
	v_dot4_i32_iu8 v73, v56, 0x1010101, v73 neg_lo:[1,1,0]
	v_cvt_f32_i32_e32 v73, v73
	s_delay_alu instid0(VALU_DEP_1)
	v_fmac_f32_e32 v44, v76, v73
	v_dot4_i32_iu8 v73, v27, 0x1010101, 0 neg_lo:[1,1,0]
	v_dot4_i32_iu8 v28, v85, v28, v39 neg_lo:[1,1,0]
	;; [unrolled: 1-line block ×6, first 2 shown]
	v_cvt_f32_i32_e32 v28, v28
	v_lshlrev_b32_e32 v77, 1, v74
	v_lshrrev_b32_e32 v74, 2, v74
	v_cvt_f32_i32_e32 v24, v24
	v_cvt_f32_i32_e32 v73, v73
	s_delay_alu instid0(VALU_DEP_4) | instskip(SKIP_2) | instid1(VALU_DEP_4)
	v_dual_add_f32 v28, v65, v28 :: v_dual_and_b32 v77, 14, v77
	v_dot4_i32_iu8 v42, v85, v60, v54 neg_lo:[1,1,0]
	v_dot4_i32_iu8 v32, v85, v32, v57 neg_lo:[1,1,0]
	v_fmac_f32_e32 v58, v76, v73
	v_dot4_i32_iu8 v73, v35, 0x1010101, 0 neg_lo:[1,1,0]
	v_dot4_i32_iu8 v25, v89, v27, v25 neg_lo:[1,1,0]
	;; [unrolled: 1-line block ×3, first 2 shown]
	v_cvt_f32_i32_e32 v33, v39
	v_or_b32_e32 v77, 1, v77
	v_dot4_i32_iu8 v73, v67, 0x1010101, v73 neg_lo:[1,1,0]
	v_cvt_f32_i32_e32 v35, v42
	s_delay_alu instid0(VALU_DEP_4) | instskip(SKIP_1) | instid1(VALU_DEP_4)
	v_dual_add_f32 v33, v87, v33 :: v_dual_add_nc_u32 v2, 32, v2
	v_dot4_i32_iu8 v29, v90, v30, v29 neg_lo:[1,1,0]
	v_cvt_f32_i32_e32 v73, v73
	v_add_nc_u32_e32 v3, 32, v3
	v_cvt_f32_ubyte0_e32 v77, v77
	v_dot4_i32_iu8 v26, v90, v62, v46 neg_lo:[1,1,0]
	v_dot4_i32_iu8 v29, v89, v31, v29 neg_lo:[1,1,0]
	v_dual_fmac_f32 v68, v76, v73 :: v_dual_mul_f32 v73, v82, v66
	v_lshrrev_b32_e32 v66, 4, v83
	v_cvt_f32_i32_e32 v31, v36
	v_dot4_i32_iu8 v30, v90, v50, v49 neg_lo:[1,1,0]
	v_dot4_i32_iu8 v26, v89, v63, v26 neg_lo:[1,1,0]
	v_add_f32_e32 v35, v45, v35
	v_cvt_f32_i32_e32 v32, v32
	v_dual_add_f32 v31, v75, v31 :: v_dual_and_b32 v66, 0xf0f0f0f, v66
	v_dot4_i32_iu8 v30, v89, v51, v30 neg_lo:[1,1,0]
	s_delay_alu instid0(VALU_DEP_2) | instskip(SKIP_1) | instid1(VALU_DEP_2)
	v_dot4_i32_iu8 v27, v66, v67, v27 neg_lo:[1,1,0]
	v_dot4_i32_iu8 v37, v66, v78, v37 neg_lo:[1,1,0]
	v_cvt_f32_i32_e32 v27, v27
	v_and_b32_e32 v74, 14, v74
	s_delay_alu instid0(VALU_DEP_3) | instskip(NEXT) | instid1(VALU_DEP_3)
	v_cvt_f32_i32_e32 v37, v37
	v_dual_add_f32 v27, v68, v27 :: v_dual_add_nc_u32 v20, 32, v20
	s_delay_alu instid0(VALU_DEP_3) | instskip(NEXT) | instid1(VALU_DEP_3)
	v_or_b32_e32 v74, 1, v74
	v_add_f32_e32 v37, v71, v37
	s_delay_alu instid0(VALU_DEP_2) | instskip(NEXT) | instid1(VALU_DEP_1)
	v_cvt_f32_ubyte0_e32 v74, v74
	v_dual_add_f32 v24, v84, v24 :: v_dual_mul_f32 v37, v37, v74
	s_delay_alu instid0(VALU_DEP_1) | instskip(NEXT) | instid1(VALU_DEP_2)
	v_mul_f32_e32 v24, v24, v77
	v_fmac_f32_e32 v37, v31, v77
	v_dot4_i32_iu8 v29, v66, v56, v29 neg_lo:[1,1,0]
	v_dot4_i32_iu8 v25, v66, v64, v25 neg_lo:[1,1,0]
	;; [unrolled: 1-line block ×5, first 2 shown]
	v_cvt_f32_i32_e32 v29, v29
	v_cvt_f32_i32_e32 v25, v25
	;; [unrolled: 1-line block ×3, first 2 shown]
	v_add_nc_u32_e32 v4, 32, v4
	v_cvt_f32_i32_e32 v30, v30
	v_add_f32_e32 v29, v44, v29
	s_delay_alu instid0(VALU_DEP_4) | instskip(SKIP_3) | instid1(VALU_DEP_4)
	v_dual_add_f32 v25, v58, v25 :: v_dual_add_f32 v26, v52, v26
	v_mul_f32_e32 v28, v28, v77
	v_cvt_f32_i32_e32 v36, v36
	v_fmac_f32_e32 v14, v38, v37
	v_fmac_f32_e32 v24, v25, v74
	v_mul_f32_e32 v25, v26, v74
	v_fmac_f32_e32 v28, v29, v74
	v_add_f32_e32 v30, v41, v30
	s_delay_alu instid0(VALU_DEP_4) | instskip(NEXT) | instid1(VALU_DEP_4)
	v_fmac_f32_e32 v10, v47, v24
	v_fmac_f32_e32 v25, v35, v77
	s_delay_alu instid0(VALU_DEP_4) | instskip(NEXT) | instid1(VALU_DEP_4)
	v_fmac_f32_e32 v13, v40, v28
	v_dual_add_f32 v32, v88, v32 :: v_dual_mul_f32 v29, v30, v74
	v_add_f32_e32 v36, v70, v36
	s_delay_alu instid0(VALU_DEP_4) | instskip(NEXT) | instid1(VALU_DEP_3)
	v_fmac_f32_e32 v8, v55, v25
	v_mul_f32_e32 v32, v32, v77
	s_delay_alu instid0(VALU_DEP_3) | instskip(NEXT) | instid1(VALU_DEP_2)
	v_dual_fmac_f32 v29, v33, v77 :: v_dual_mul_f32 v36, v36, v74
	v_fmac_f32_e32 v32, v27, v74
	s_delay_alu instid0(VALU_DEP_2) | instskip(NEXT) | instid1(VALU_DEP_2)
	v_fmac_f32_e32 v11, v43, v29
	v_dual_fmac_f32 v36, v34, v77 :: v_dual_fmac_f32 v7, v59, v32
	s_delay_alu instid0(VALU_DEP_1)
	v_fmac_f32_e32 v16, v73, v36
	s_wait_alu 0xfffe
	s_and_not1_b32 exec_lo, exec_lo, s3
	s_cbranch_execnz .LBB226_2
; %bb.3:
	s_or_b32 exec_lo, exec_lo, s3
.LBB226_4:
	s_delay_alu instid0(SALU_CYCLE_1)
	s_or_b32 exec_lo, exec_lo, s21
	s_mov_b32 s3, 0
	; wave barrier
	global_inv scope:SCOPE_SE
	s_mov_b32 s2, exec_lo
	v_cmpx_eq_u32_e32 0, v12
	s_cbranch_execz .LBB226_19
; %bb.5:
	v_mbcnt_lo_u32_b32 v4, -1, 0
	s_load_b64 s[0:1], s[0:1], 0x38
	s_mul_i32 s2, s10, s19
	s_mul_i32 s4, s18, s20
	s_wait_alu 0xfffe
	s_add_co_i32 s2, s2, ttmp9
	v_xor_b32_e32 v0, 16, v4
	v_xor_b32_e32 v1, 8, v4
	;; [unrolled: 1-line block ×3, first 2 shown]
	s_wait_alu 0xfffe
	s_add_co_i32 s2, s2, s4
	s_wait_alu 0xfffe
	s_lshl_b64 s[2:3], s[2:3], 2
	v_cmp_gt_i32_e32 vcc_lo, 32, v0
	s_wait_alu 0xfffd
	v_cndmask_b32_e32 v0, v4, v0, vcc_lo
	v_cmp_gt_i32_e32 vcc_lo, 32, v1
	s_wait_kmcnt 0x0
	s_wait_alu 0xfffe
	s_add_nc_u64 s[0:1], s[0:1], s[2:3]
	s_wait_alu 0xfffd
	v_cndmask_b32_e32 v1, v4, v1, vcc_lo
	s_delay_alu instid0(VALU_DEP_1)
	v_lshlrev_b32_e32 v1, 2, v1
	v_lshlrev_b32_e32 v0, 2, v0
	ds_bpermute_b32 v2, v0, v16
	s_wait_dscnt 0x0
	v_add_f32_e32 v3, v16, v2
	v_xor_b32_e32 v2, 4, v4
	ds_bpermute_b32 v5, v1, v3
	v_cmp_gt_i32_e32 vcc_lo, 32, v2
	s_wait_dscnt 0x0
	s_wait_alu 0xfffd
	v_dual_cndmask_b32 v2, v4, v2 :: v_dual_add_f32 v5, v3, v5
	s_delay_alu instid0(VALU_DEP_1)
	v_lshlrev_b32_e32 v2, 2, v2
	v_xor_b32_e32 v3, 2, v4
	ds_bpermute_b32 v6, v2, v5
	v_cmp_gt_i32_e32 vcc_lo, 32, v3
	s_wait_alu 0xfffd
	v_cndmask_b32_e32 v3, v4, v3, vcc_lo
	v_cmp_gt_i32_e32 vcc_lo, 32, v12
	s_wait_alu 0xfffd
	v_cndmask_b32_e32 v4, v4, v12, vcc_lo
	v_cmp_eq_u32_e32 vcc_lo, 0, v9
	s_delay_alu instid0(VALU_DEP_2)
	v_lshlrev_b32_e32 v4, 2, v4
	v_lshlrev_b32_e32 v3, 2, v3
	s_wait_dscnt 0x0
	v_add_f32_e32 v5, v5, v6
	ds_bpermute_b32 v6, v3, v5
	s_wait_dscnt 0x0
	v_add_f32_e32 v5, v5, v6
	ds_bpermute_b32 v6, v4, v5
	s_and_saveexec_b32 s2, vcc_lo
	s_cbranch_execz .LBB226_7
; %bb.6:
	s_wait_dscnt 0x0
	v_dual_add_f32 v5, v5, v6 :: v_dual_mov_b32 v6, 0
	global_store_b32 v6, v5, s[0:1]
.LBB226_7:
	s_wait_alu 0xfffe
	s_or_b32 exec_lo, exec_lo, s2
	ds_bpermute_b32 v5, v0, v14
	s_wait_dscnt 0x0
	v_add_f32_e32 v5, v14, v5
	ds_bpermute_b32 v6, v1, v5
	s_wait_dscnt 0x0
	v_add_f32_e32 v5, v5, v6
	;; [unrolled: 3-line block ×4, first 2 shown]
	ds_bpermute_b32 v6, v4, v5
	s_and_saveexec_b32 s2, vcc_lo
	s_cbranch_execz .LBB226_9
; %bb.8:
	s_mov_b32 s7, 0
	s_wait_dscnt 0x0
	v_dual_add_f32 v5, v5, v6 :: v_dual_mov_b32 v6, 0
	s_wait_alu 0xfffe
	s_lshl_b64 s[4:5], s[6:7], 2
	s_wait_alu 0xfffe
	s_add_nc_u64 s[4:5], s[0:1], s[4:5]
	global_store_b32 v6, v5, s[4:5]
.LBB226_9:
	s_wait_alu 0xfffe
	s_or_b32 exec_lo, exec_lo, s2
	ds_bpermute_b32 v5, v0, v13
	s_wait_dscnt 0x0
	v_add_f32_e32 v5, v13, v5
	ds_bpermute_b32 v6, v1, v5
	s_wait_dscnt 0x0
	v_add_f32_e32 v5, v5, v6
	;; [unrolled: 3-line block ×4, first 2 shown]
	ds_bpermute_b32 v6, v4, v5
	s_and_saveexec_b32 s2, vcc_lo
	s_cbranch_execz .LBB226_11
; %bb.10:
	s_lshl_b32 s4, s6, 1
	s_mov_b32 s5, 0
	s_wait_dscnt 0x0
	v_dual_add_f32 v5, v5, v6 :: v_dual_mov_b32 v6, 0
	s_wait_alu 0xfffe
	s_lshl_b64 s[4:5], s[4:5], 2
	s_wait_alu 0xfffe
	s_add_nc_u64 s[4:5], s[0:1], s[4:5]
	global_store_b32 v6, v5, s[4:5]
.LBB226_11:
	s_wait_alu 0xfffe
	s_or_b32 exec_lo, exec_lo, s2
	ds_bpermute_b32 v5, v0, v11
	s_wait_dscnt 0x0
	v_add_f32_e32 v5, v11, v5
	ds_bpermute_b32 v6, v1, v5
	s_wait_dscnt 0x0
	v_add_f32_e32 v5, v5, v6
	;; [unrolled: 3-line block ×4, first 2 shown]
	ds_bpermute_b32 v6, v4, v5
	s_and_saveexec_b32 s2, vcc_lo
	s_cbranch_execz .LBB226_13
; %bb.12:
	s_mul_i32 s4, s6, 3
	s_mov_b32 s5, 0
	s_wait_dscnt 0x0
	v_dual_add_f32 v5, v5, v6 :: v_dual_mov_b32 v6, 0
	s_wait_alu 0xfffe
	s_lshl_b64 s[4:5], s[4:5], 2
	s_wait_alu 0xfffe
	s_add_nc_u64 s[4:5], s[0:1], s[4:5]
	global_store_b32 v6, v5, s[4:5]
.LBB226_13:
	s_wait_alu 0xfffe
	s_or_b32 exec_lo, exec_lo, s2
	ds_bpermute_b32 v5, v0, v10
	s_wait_dscnt 0x0
	v_add_f32_e32 v5, v10, v5
	ds_bpermute_b32 v6, v1, v5
	s_wait_dscnt 0x0
	v_add_f32_e32 v5, v5, v6
	;; [unrolled: 3-line block ×4, first 2 shown]
	ds_bpermute_b32 v6, v4, v5
	s_and_saveexec_b32 s2, vcc_lo
	s_cbranch_execz .LBB226_15
; %bb.14:
	s_lshl_b32 s4, s6, 2
	s_mov_b32 s5, 0
	s_wait_dscnt 0x0
	v_dual_add_f32 v5, v5, v6 :: v_dual_mov_b32 v6, 0
	s_wait_alu 0xfffe
	s_lshl_b64 s[4:5], s[4:5], 2
	s_wait_alu 0xfffe
	s_add_nc_u64 s[4:5], s[0:1], s[4:5]
	global_store_b32 v6, v5, s[4:5]
.LBB226_15:
	s_wait_alu 0xfffe
	s_or_b32 exec_lo, exec_lo, s2
	ds_bpermute_b32 v5, v0, v8
	s_wait_dscnt 0x0
	v_add_f32_e32 v5, v8, v5
	ds_bpermute_b32 v6, v1, v5
	s_wait_dscnt 0x0
	v_add_f32_e32 v5, v5, v6
	;; [unrolled: 3-line block ×4, first 2 shown]
	ds_bpermute_b32 v6, v4, v5
	s_and_saveexec_b32 s2, vcc_lo
	s_cbranch_execz .LBB226_17
; %bb.16:
	s_mul_i32 s4, s6, 5
	s_mov_b32 s5, 0
	s_wait_dscnt 0x0
	v_dual_add_f32 v5, v5, v6 :: v_dual_mov_b32 v6, 0
	s_wait_alu 0xfffe
	s_lshl_b64 s[4:5], s[4:5], 2
	s_wait_alu 0xfffe
	s_add_nc_u64 s[4:5], s[0:1], s[4:5]
	global_store_b32 v6, v5, s[4:5]
.LBB226_17:
	s_wait_alu 0xfffe
	s_or_b32 exec_lo, exec_lo, s2
	ds_bpermute_b32 v0, v0, v7
	s_wait_dscnt 0x0
	v_add_f32_e32 v0, v7, v0
	ds_bpermute_b32 v1, v1, v0
	s_wait_dscnt 0x0
	v_add_f32_e32 v0, v0, v1
	;; [unrolled: 3-line block ×4, first 2 shown]
	ds_bpermute_b32 v1, v4, v0
	s_and_b32 exec_lo, exec_lo, vcc_lo
	s_cbranch_execz .LBB226_19
; %bb.18:
	s_mul_i32 s2, s6, 6
	s_mov_b32 s3, 0
	s_wait_dscnt 0x0
	v_dual_add_f32 v0, v0, v1 :: v_dual_mov_b32 v1, 0
	s_wait_alu 0xfffe
	s_lshl_b64 s[2:3], s[2:3], 2
	s_wait_alu 0xfffe
	s_add_nc_u64 s[0:1], s[0:1], s[2:3]
	global_store_b32 v1, v0, s[0:1]
.LBB226_19:
	s_endpgm
	.section	.rodata,"a",@progbits
	.p2align	6, 0x0
	.amdhsa_kernel _ZL13mul_mat_vec_qIL9ggml_type29ELi7ELb0ELb0EEvPKvS2_PKi31ggml_cuda_mm_fusion_args_devicePfj15HIP_vector_typeIjLj3EEjjjS8_jjjS8_jjjj
		.amdhsa_group_segment_fixed_size 0
		.amdhsa_private_segment_fixed_size 0
		.amdhsa_kernarg_size 144
		.amdhsa_user_sgpr_count 2
		.amdhsa_user_sgpr_dispatch_ptr 0
		.amdhsa_user_sgpr_queue_ptr 0
		.amdhsa_user_sgpr_kernarg_segment_ptr 1
		.amdhsa_user_sgpr_dispatch_id 0
		.amdhsa_user_sgpr_private_segment_size 0
		.amdhsa_wavefront_size32 1
		.amdhsa_uses_dynamic_stack 0
		.amdhsa_enable_private_segment 0
		.amdhsa_system_sgpr_workgroup_id_x 1
		.amdhsa_system_sgpr_workgroup_id_y 1
		.amdhsa_system_sgpr_workgroup_id_z 1
		.amdhsa_system_sgpr_workgroup_info 0
		.amdhsa_system_vgpr_workitem_id 1
		.amdhsa_next_free_vgpr 96
		.amdhsa_next_free_sgpr 30
		.amdhsa_reserve_vcc 1
		.amdhsa_float_round_mode_32 0
		.amdhsa_float_round_mode_16_64 0
		.amdhsa_float_denorm_mode_32 3
		.amdhsa_float_denorm_mode_16_64 3
		.amdhsa_fp16_overflow 0
		.amdhsa_workgroup_processor_mode 1
		.amdhsa_memory_ordered 1
		.amdhsa_forward_progress 1
		.amdhsa_inst_pref_size 36
		.amdhsa_round_robin_scheduling 0
		.amdhsa_exception_fp_ieee_invalid_op 0
		.amdhsa_exception_fp_denorm_src 0
		.amdhsa_exception_fp_ieee_div_zero 0
		.amdhsa_exception_fp_ieee_overflow 0
		.amdhsa_exception_fp_ieee_underflow 0
		.amdhsa_exception_fp_ieee_inexact 0
		.amdhsa_exception_int_div_zero 0
	.end_amdhsa_kernel
	.section	.text._ZL13mul_mat_vec_qIL9ggml_type29ELi7ELb0ELb0EEvPKvS2_PKi31ggml_cuda_mm_fusion_args_devicePfj15HIP_vector_typeIjLj3EEjjjS8_jjjS8_jjjj,"axG",@progbits,_ZL13mul_mat_vec_qIL9ggml_type29ELi7ELb0ELb0EEvPKvS2_PKi31ggml_cuda_mm_fusion_args_devicePfj15HIP_vector_typeIjLj3EEjjjS8_jjjS8_jjjj,comdat
.Lfunc_end226:
	.size	_ZL13mul_mat_vec_qIL9ggml_type29ELi7ELb0ELb0EEvPKvS2_PKi31ggml_cuda_mm_fusion_args_devicePfj15HIP_vector_typeIjLj3EEjjjS8_jjjS8_jjjj, .Lfunc_end226-_ZL13mul_mat_vec_qIL9ggml_type29ELi7ELb0ELb0EEvPKvS2_PKi31ggml_cuda_mm_fusion_args_devicePfj15HIP_vector_typeIjLj3EEjjjS8_jjjS8_jjjj
                                        ; -- End function
	.set _ZL13mul_mat_vec_qIL9ggml_type29ELi7ELb0ELb0EEvPKvS2_PKi31ggml_cuda_mm_fusion_args_devicePfj15HIP_vector_typeIjLj3EEjjjS8_jjjS8_jjjj.num_vgpr, 96
	.set _ZL13mul_mat_vec_qIL9ggml_type29ELi7ELb0ELb0EEvPKvS2_PKi31ggml_cuda_mm_fusion_args_devicePfj15HIP_vector_typeIjLj3EEjjjS8_jjjS8_jjjj.num_agpr, 0
	.set _ZL13mul_mat_vec_qIL9ggml_type29ELi7ELb0ELb0EEvPKvS2_PKi31ggml_cuda_mm_fusion_args_devicePfj15HIP_vector_typeIjLj3EEjjjS8_jjjS8_jjjj.numbered_sgpr, 30
	.set _ZL13mul_mat_vec_qIL9ggml_type29ELi7ELb0ELb0EEvPKvS2_PKi31ggml_cuda_mm_fusion_args_devicePfj15HIP_vector_typeIjLj3EEjjjS8_jjjS8_jjjj.num_named_barrier, 0
	.set _ZL13mul_mat_vec_qIL9ggml_type29ELi7ELb0ELb0EEvPKvS2_PKi31ggml_cuda_mm_fusion_args_devicePfj15HIP_vector_typeIjLj3EEjjjS8_jjjS8_jjjj.private_seg_size, 0
	.set _ZL13mul_mat_vec_qIL9ggml_type29ELi7ELb0ELb0EEvPKvS2_PKi31ggml_cuda_mm_fusion_args_devicePfj15HIP_vector_typeIjLj3EEjjjS8_jjjS8_jjjj.uses_vcc, 1
	.set _ZL13mul_mat_vec_qIL9ggml_type29ELi7ELb0ELb0EEvPKvS2_PKi31ggml_cuda_mm_fusion_args_devicePfj15HIP_vector_typeIjLj3EEjjjS8_jjjS8_jjjj.uses_flat_scratch, 0
	.set _ZL13mul_mat_vec_qIL9ggml_type29ELi7ELb0ELb0EEvPKvS2_PKi31ggml_cuda_mm_fusion_args_devicePfj15HIP_vector_typeIjLj3EEjjjS8_jjjS8_jjjj.has_dyn_sized_stack, 0
	.set _ZL13mul_mat_vec_qIL9ggml_type29ELi7ELb0ELb0EEvPKvS2_PKi31ggml_cuda_mm_fusion_args_devicePfj15HIP_vector_typeIjLj3EEjjjS8_jjjS8_jjjj.has_recursion, 0
	.set _ZL13mul_mat_vec_qIL9ggml_type29ELi7ELb0ELb0EEvPKvS2_PKi31ggml_cuda_mm_fusion_args_devicePfj15HIP_vector_typeIjLj3EEjjjS8_jjjS8_jjjj.has_indirect_call, 0
	.section	.AMDGPU.csdata,"",@progbits
; Kernel info:
; codeLenInByte = 4484
; TotalNumSgprs: 32
; NumVgprs: 96
; ScratchSize: 0
; MemoryBound: 0
; FloatMode: 240
; IeeeMode: 1
; LDSByteSize: 0 bytes/workgroup (compile time only)
; SGPRBlocks: 0
; VGPRBlocks: 11
; NumSGPRsForWavesPerEU: 32
; NumVGPRsForWavesPerEU: 96
; Occupancy: 16
; WaveLimiterHint : 0
; COMPUTE_PGM_RSRC2:SCRATCH_EN: 0
; COMPUTE_PGM_RSRC2:USER_SGPR: 2
; COMPUTE_PGM_RSRC2:TRAP_HANDLER: 0
; COMPUTE_PGM_RSRC2:TGID_X_EN: 1
; COMPUTE_PGM_RSRC2:TGID_Y_EN: 1
; COMPUTE_PGM_RSRC2:TGID_Z_EN: 1
; COMPUTE_PGM_RSRC2:TIDIG_COMP_CNT: 1
	.section	.text._ZL13mul_mat_vec_qIL9ggml_type29ELi8ELb0ELb0EEvPKvS2_PKi31ggml_cuda_mm_fusion_args_devicePfj15HIP_vector_typeIjLj3EEjjjS8_jjjS8_jjjj,"axG",@progbits,_ZL13mul_mat_vec_qIL9ggml_type29ELi8ELb0ELb0EEvPKvS2_PKi31ggml_cuda_mm_fusion_args_devicePfj15HIP_vector_typeIjLj3EEjjjS8_jjjS8_jjjj,comdat
	.globl	_ZL13mul_mat_vec_qIL9ggml_type29ELi8ELb0ELb0EEvPKvS2_PKi31ggml_cuda_mm_fusion_args_devicePfj15HIP_vector_typeIjLj3EEjjjS8_jjjS8_jjjj ; -- Begin function _ZL13mul_mat_vec_qIL9ggml_type29ELi8ELb0ELb0EEvPKvS2_PKi31ggml_cuda_mm_fusion_args_devicePfj15HIP_vector_typeIjLj3EEjjjS8_jjjS8_jjjj
	.p2align	8
	.type	_ZL13mul_mat_vec_qIL9ggml_type29ELi8ELb0ELb0EEvPKvS2_PKi31ggml_cuda_mm_fusion_args_devicePfj15HIP_vector_typeIjLj3EEjjjS8_jjjS8_jjjj,@function
_ZL13mul_mat_vec_qIL9ggml_type29ELi8ELb0ELb0EEvPKvS2_PKi31ggml_cuda_mm_fusion_args_devicePfj15HIP_vector_typeIjLj3EEjjjS8_jjjS8_jjjj: ; @_ZL13mul_mat_vec_qIL9ggml_type29ELi8ELb0ELb0EEvPKvS2_PKi31ggml_cuda_mm_fusion_args_devicePfj15HIP_vector_typeIjLj3EEjjjS8_jjjS8_jjjj
; %bb.0:
	s_clause 0x5
	s_load_b96 s[16:18], s[0:1], 0x80
	s_load_b32 s2, s[0:1], 0x40
	s_load_b128 s[4:7], s[0:1], 0x50
	s_load_b32 s23, s[0:1], 0x60
	s_load_b128 s[8:11], s[0:1], 0x68
	s_load_b32 s24, s[0:1], 0x78
	v_bfe_u32 v11, v0, 10, 10
	v_dual_mov_b32 v4, 0 :: v_dual_and_b32 v7, 0x3ff, v0
	v_dual_mov_b32 v5, 0 :: v_dual_mov_b32 v6, 0
	v_dual_mov_b32 v8, 0 :: v_dual_mov_b32 v9, 0
	s_delay_alu instid0(VALU_DEP_3)
	v_lshl_or_b32 v0, v11, 5, v7
	v_mov_b32_e32 v10, 0
	v_mov_b32_e32 v12, 0
	;; [unrolled: 1-line block ×3, first 2 shown]
	s_and_b32 s19, ttmp7, 0xffff
	v_lshrrev_b32_e32 v13, 3, v0
	s_lshr_b32 s20, ttmp7, 16
	s_mov_b32 s21, exec_lo
	s_wait_kmcnt 0x0
	s_lshr_b32 s22, s2, 8
	s_delay_alu instid0(SALU_CYCLE_1)
	v_cmpx_gt_u32_e64 s22, v13
	s_cbranch_execz .LBB227_4
; %bb.1:
	v_lshl_add_u32 v0, v11, 5, v7
	s_mov_b32 s3, 0
	s_mul_i32 s26, s9, s19
	s_mov_b32 s27, s3
	s_load_b128 s[12:15], s[0:1], 0x0
	v_lshrrev_b32_e32 v0, 3, v0
	s_mul_u64 s[26:27], s[26:27], 36
	s_mul_i32 s2, s17, s20
	v_dual_mov_b32 v5, 0 :: v_dual_and_b32 v4, 7, v7
	s_delay_alu instid0(VALU_DEP_2) | instskip(SKIP_4) | instid1(VALU_DEP_1)
	v_mad_co_u64_u32 v[0:1], null, 0x120, v0, s[26:27]
	v_dual_mov_b32 v9, 0 :: v_dual_and_b32 v6, 1, v7
	s_mul_hi_u32 s7, s7, s19
	s_mul_hi_u32 s11, s11, s20
	s_add_co_i32 s7, s19, s7
	v_cmp_eq_u32_e32 vcc_lo, 1, v6
	s_delay_alu instid0(VALU_DEP_3)
	v_mad_co_u64_u32 v[2:3], null, s2, 36, v[0:1]
	s_add_co_i32 s9, s20, s11
	s_mul_u64 s[28:29], s[2:3], 36
	s_lshr_b32 s7, s7, s23
	s_lshr_b32 s9, s9, s24
	s_mul_i32 s7, s7, s8
	s_mul_i32 s11, s9, s16
	v_mad_co_u64_u32 v[2:3], null, v4, 36, v[2:3]
	s_wait_kmcnt 0x0
	s_add_nc_u64 s[8:9], s[14:15], s[28:29]
	v_cndmask_b32_e64 v16, 0, 6, vcc_lo
	s_add_nc_u64 s[8:9], s[8:9], s[26:27]
	v_bfe_u32 v8, v7, 1, 2
	v_mad_co_u64_u32 v[0:1], null, v4, 36, s[8:9]
	s_delay_alu instid0(VALU_DEP_4)
	v_add_co_u32 v2, vcc_lo, s14, v2
	s_wait_alu 0xfffd
	v_add_co_ci_u32_e64 v3, null, s15, v3, vcc_lo
	s_mul_i32 s4, s4, ttmp9
	v_add_co_u32 v2, vcc_lo, v2, 16
	v_lshlrev_b32_e32 v15, 1, v4
	v_lshlrev_b32_e32 v17, 3, v13
	s_wait_alu 0xfffd
	v_add_co_ci_u32_e64 v3, null, 0, v3, vcc_lo
	v_lshlrev_b32_e32 v18, 2, v4
	v_dual_mov_b32 v6, 0 :: v_dual_lshlrev_b32 v19, 1, v8
	v_mov_b32_e32 v4, 0
	v_mov_b32_e32 v8, 0
	;; [unrolled: 1-line block ×5, first 2 shown]
	s_add_co_i32 s7, s7, s4
	s_mul_i32 s2, s5, 7
	s_add_co_i32 s4, s11, s7
	s_mul_i32 s7, s5, 6
	s_mul_i32 s8, s5, 5
	s_lshl_b32 s9, s5, 2
	s_mul_i32 s11, s5, 3
	s_lshl_b32 s14, s5, 1
	s_mov_b32 s15, 0xbd000000
.LBB227_2:                              ; =>This Inner Loop Header: Depth=1
	v_add_nc_u32_e32 v20, s4, v13
	s_getpc_b64 s[16:17]
	s_sext_i32_i16 s17, s17
	s_add_co_u32 s16, s16, _ZL13iq1s_grid_gpu@rel32@lo+8
	s_add_co_ci_u32 s17, s17, _ZL13iq1s_grid_gpu@rel32@hi+16
	v_add_nc_u32_e32 v13, 4, v13
	v_mad_co_i64_i32 v[21:22], null, v20, 56, s[12:13]
	s_delay_alu instid0(VALU_DEP_1) | instskip(SKIP_1) | instid1(VALU_DEP_2)
	v_add_co_u32 v23, vcc_lo, v21, v18
	s_wait_alu 0xfffd
	v_add_co_ci_u32_e64 v24, null, 0, v22, vcc_lo
	global_load_b32 v20, v[23:24], off
	v_add_co_u32 v23, vcc_lo, v21, v15
	s_wait_alu 0xfffd
	v_add_co_ci_u32_e64 v24, null, 0, v22, vcc_lo
	global_load_u16 v23, v[23:24], off offset:32
	s_wait_loadcnt 0x1
	v_and_b32_e32 v26, 0xff, v20
	v_lshrrev_b32_e32 v25, 24, v20
	s_wait_loadcnt 0x0
	v_lshlrev_b32_e32 v27, 8, v23
	v_lshrrev_b16 v24, 8, v23
	v_and_b32_e32 v38, 8, v23
	v_bfe_u32 v39, v23, 4, 4
	v_lshlrev_b32_e32 v23, 4, v23
	v_and_or_b32 v26, 0x700, v27, v26
	s_delay_alu instid0(VALU_DEP_1) | instskip(SKIP_4) | instid1(VALU_DEP_1)
	v_lshlrev_b32_e32 v26, 2, v26
	global_load_b32 v26, v26, s[16:17]
	s_wait_loadcnt 0x0
	v_and_b32_e32 v36, 0xf0f0f0f, v26
	v_lshrrev_b32_e32 v26, 4, v26
	v_and_b32_e32 v37, 0xf0f0f0f, v26
	v_bfe_u32 v26, v20, 8, 8
	v_bfe_u32 v20, v20, 16, 8
	s_delay_alu instid0(VALU_DEP_2) | instskip(NEXT) | instid1(VALU_DEP_1)
	v_and_or_b32 v23, 0x700, v23, v26
	v_lshlrev_b32_e32 v23, 2, v23
	global_load_b32 v23, v23, s[16:17]
	s_wait_loadcnt 0x0
	v_and_b32_e32 v40, 0xf0f0f0f, v23
	v_lshrrev_b32_e32 v23, 4, v23
	s_delay_alu instid0(VALU_DEP_1) | instskip(SKIP_1) | instid1(VALU_DEP_1)
	v_and_b32_e32 v41, 0xf0f0f0f, v23
	v_and_b32_e32 v23, 0xffff, v24
	v_lshlrev_b32_e32 v24, 8, v23
	v_and_b32_e32 v44, 8, v23
	v_lshrrev_b32_e32 v45, 4, v23
	s_delay_alu instid0(VALU_DEP_3) | instskip(NEXT) | instid1(VALU_DEP_1)
	v_and_or_b32 v20, 0x700, v24, v20
	v_lshlrev_b32_e32 v20, 2, v20
	global_load_b32 v20, v20, s[16:17]
	s_wait_loadcnt 0x0
	v_and_b32_e32 v42, 0xf0f0f0f, v20
	v_lshrrev_b32_e32 v20, 4, v20
	s_delay_alu instid0(VALU_DEP_1)
	v_and_b32_e32 v43, 0xf0f0f0f, v20
	v_lshlrev_b32_e32 v20, 4, v23
	global_load_b64 v[23:24], v[21:22], off offset:48
	v_add_co_u32 v21, vcc_lo, v21, v19
	s_wait_alu 0xfffd
	v_add_co_ci_u32_e64 v22, null, 0, v22, vcc_lo
	v_and_or_b32 v20, 0x700, v20, v25
	global_load_u16 v21, v[21:22], off offset:48
	v_lshlrev_b32_e32 v20, 2, v20
	global_load_b32 v20, v20, s[16:17]
	s_wait_loadcnt 0x1
	v_lshrrev_b32_e32 v21, v16, v21
	s_delay_alu instid0(VALU_DEP_1) | instskip(SKIP_4) | instid1(VALU_DEP_1)
	v_lshlrev_b32_e32 v48, 1, v21
	v_lshrrev_b32_e32 v49, 2, v21
	s_wait_loadcnt 0x0
	v_and_b32_e32 v46, 0xf0f0f0f, v20
	v_lshrrev_b32_e32 v20, 4, v20
	v_and_b32_e32 v47, 0xf0f0f0f, v20
	v_pk_lshrrev_b16 v20, 0x8000c, v23
	s_delay_alu instid0(VALU_DEP_1) | instskip(NEXT) | instid1(VALU_DEP_1)
	v_lshrrev_b32_e32 v23, 16, v20
	v_and_b32_e32 v23, 0xf0, v23
	s_delay_alu instid0(VALU_DEP_1) | instskip(SKIP_1) | instid1(VALU_DEP_1)
	v_or_b32_e32 v20, v23, v20
	v_pk_lshrrev_b16 v23, 4, v24
	v_and_b32_e32 v23, 0xf0000f00, v23
	s_delay_alu instid0(VALU_DEP_1) | instskip(SKIP_1) | instid1(VALU_DEP_1)
	v_or_b32_e32 v20, v20, v23
	v_lshrrev_b32_e32 v23, 16, v23
	v_or_b32_e32 v20, v20, v23
	s_clause 0x2
	global_load_b128 v[21:24], v[2:3], off offset:-16
	global_load_b32 v29, v[2:3], off offset:16
	global_load_b128 v[25:28], v[2:3], off
	v_add_co_u32 v2, vcc_lo, 0x480, v2
	s_wait_alu 0xfffd
	v_add_co_ci_u32_e64 v3, null, 0, v3, vcc_lo
	v_cvt_f32_f16_e32 v20, v20
	v_cmp_le_u32_e32 vcc_lo, s22, v13
	s_or_b32 s3, vcc_lo, s3
	s_wait_loadcnt 0x2
	v_dot4_i32_iu8 v30, v36, v22, 0 neg_lo:[1,1,0]
	v_dot4_i32_iu8 v22, v22, 0x1010101, 0 neg_lo:[1,1,0]
	v_cvt_f32_f16_e32 v21, v21
	s_delay_alu instid0(VALU_DEP_3) | instskip(NEXT) | instid1(VALU_DEP_3)
	v_dot4_i32_iu8 v30, v37, v23, v30 neg_lo:[1,1,0]
	v_dot4_i32_iu8 v50, v23, 0x1010101, v22 neg_lo:[1,1,0]
	s_wait_loadcnt 0x0
	v_dot4_i32_iu8 v23, v26, 0x1010101, 0 neg_lo:[1,1,0]
	v_mul_f32_e32 v21, v20, v21
	v_dot4_i32_iu8 v22, v40, v24, v30 neg_lo:[1,1,0]
	s_delay_alu instid0(VALU_DEP_3) | instskip(NEXT) | instid1(VALU_DEP_2)
	v_dot4_i32_iu8 v53, v27, 0x1010101, v23 neg_lo:[1,1,0]
	v_dot4_i32_iu8 v51, v41, v25, v22 neg_lo:[1,1,0]
	;; [unrolled: 1-line block ×3, first 2 shown]
	s_delay_alu instid0(VALU_DEP_2) | instskip(NEXT) | instid1(VALU_DEP_2)
	v_cvt_f32_i32_e32 v51, v51
	v_dot4_i32_iu8 v52, v25, 0x1010101, v22 neg_lo:[1,1,0]
	v_dot4_i32_iu8 v22, v42, v26, 0 neg_lo:[1,1,0]
	s_delay_alu instid0(VALU_DEP_1) | instskip(NEXT) | instid1(VALU_DEP_1)
	v_dot4_i32_iu8 v22, v43, v27, v22 neg_lo:[1,1,0]
	v_dot4_i32_iu8 v22, v46, v28, v22 neg_lo:[1,1,0]
	s_delay_alu instid0(VALU_DEP_1) | instskip(SKIP_1) | instid1(VALU_DEP_1)
	v_dot4_i32_iu8 v54, v47, v29, v22 neg_lo:[1,1,0]
	v_dot4_i32_iu8 v22, v28, 0x1010101, 0 neg_lo:[1,1,0]
	;; [unrolled: 1-line block ×3, first 2 shown]
	v_add_nc_u32_e32 v22, s5, v17
	s_delay_alu instid0(VALU_DEP_1)
	v_mad_co_u64_u32 v[26:27], null, v22, 36, v[0:1]
	s_clause 0x2
	global_load_b128 v[22:25], v[26:27], off
	global_load_b32 v30, v[26:27], off offset:32
	global_load_b128 v[26:29], v[26:27], off offset:16
	s_wait_loadcnt 0x2
	v_dot4_i32_iu8 v31, v36, v23, 0 neg_lo:[1,1,0]
	v_dot4_i32_iu8 v23, v23, 0x1010101, 0 neg_lo:[1,1,0]
	v_cvt_f32_f16_e32 v22, v22
	s_delay_alu instid0(VALU_DEP_3) | instskip(NEXT) | instid1(VALU_DEP_3)
	v_dot4_i32_iu8 v31, v37, v24, v31 neg_lo:[1,1,0]
	v_dot4_i32_iu8 v56, v24, 0x1010101, v23 neg_lo:[1,1,0]
	s_wait_loadcnt 0x0
	v_dot4_i32_iu8 v24, v27, 0x1010101, 0 neg_lo:[1,1,0]
	v_mul_f32_e32 v22, v20, v22
	v_dot4_i32_iu8 v23, v40, v25, v31 neg_lo:[1,1,0]
	s_delay_alu instid0(VALU_DEP_3) | instskip(NEXT) | instid1(VALU_DEP_2)
	v_dot4_i32_iu8 v59, v28, 0x1010101, v24 neg_lo:[1,1,0]
	v_dot4_i32_iu8 v57, v41, v26, v23 neg_lo:[1,1,0]
	;; [unrolled: 1-line block ×3, first 2 shown]
	s_delay_alu instid0(VALU_DEP_1) | instskip(SKIP_1) | instid1(VALU_DEP_1)
	v_dot4_i32_iu8 v58, v26, 0x1010101, v23 neg_lo:[1,1,0]
	v_dot4_i32_iu8 v23, v42, v27, 0 neg_lo:[1,1,0]
	;; [unrolled: 1-line block ×3, first 2 shown]
	s_delay_alu instid0(VALU_DEP_1) | instskip(NEXT) | instid1(VALU_DEP_1)
	v_dot4_i32_iu8 v23, v46, v29, v23 neg_lo:[1,1,0]
	v_dot4_i32_iu8 v60, v47, v30, v23 neg_lo:[1,1,0]
	;; [unrolled: 1-line block ×3, first 2 shown]
	s_delay_alu instid0(VALU_DEP_1) | instskip(SKIP_2) | instid1(VALU_DEP_1)
	v_dot4_i32_iu8 v61, v30, 0x1010101, v23 neg_lo:[1,1,0]
	s_wait_alu 0xfffe
	v_add_nc_u32_e32 v23, s14, v17
	v_mad_co_u64_u32 v[27:28], null, v23, 36, v[0:1]
	s_clause 0x2
	global_load_b128 v[23:26], v[27:28], off
	global_load_b32 v31, v[27:28], off offset:32
	global_load_b128 v[27:30], v[27:28], off offset:16
	s_wait_loadcnt 0x2
	v_dot4_i32_iu8 v32, v36, v24, 0 neg_lo:[1,1,0]
	v_dot4_i32_iu8 v24, v24, 0x1010101, 0 neg_lo:[1,1,0]
	v_cvt_f32_f16_e32 v23, v23
	s_delay_alu instid0(VALU_DEP_3) | instskip(NEXT) | instid1(VALU_DEP_3)
	v_dot4_i32_iu8 v32, v37, v25, v32 neg_lo:[1,1,0]
	v_dot4_i32_iu8 v62, v25, 0x1010101, v24 neg_lo:[1,1,0]
	s_delay_alu instid0(VALU_DEP_3) | instskip(SKIP_3) | instid1(VALU_DEP_2)
	v_mul_f32_e32 v23, v20, v23
	s_wait_loadcnt 0x0
	v_dot4_i32_iu8 v25, v28, 0x1010101, 0 neg_lo:[1,1,0]
	v_dot4_i32_iu8 v24, v40, v26, v32 neg_lo:[1,1,0]
	;; [unrolled: 1-line block ×3, first 2 shown]
	s_delay_alu instid0(VALU_DEP_2) | instskip(SKIP_1) | instid1(VALU_DEP_1)
	v_dot4_i32_iu8 v63, v41, v27, v24 neg_lo:[1,1,0]
	v_dot4_i32_iu8 v24, v26, 0x1010101, 0 neg_lo:[1,1,0]
	;; [unrolled: 1-line block ×4, first 2 shown]
	s_delay_alu instid0(VALU_DEP_1) | instskip(NEXT) | instid1(VALU_DEP_1)
	v_dot4_i32_iu8 v24, v43, v29, v24 neg_lo:[1,1,0]
	v_dot4_i32_iu8 v24, v46, v30, v24 neg_lo:[1,1,0]
	s_delay_alu instid0(VALU_DEP_1) | instskip(SKIP_1) | instid1(VALU_DEP_1)
	v_dot4_i32_iu8 v66, v47, v31, v24 neg_lo:[1,1,0]
	v_dot4_i32_iu8 v24, v30, 0x1010101, 0 neg_lo:[1,1,0]
	v_dot4_i32_iu8 v67, v31, 0x1010101, v24 neg_lo:[1,1,0]
	v_add_nc_u32_e32 v24, s11, v17
	s_delay_alu instid0(VALU_DEP_1)
	v_mad_co_u64_u32 v[28:29], null, v24, 36, v[0:1]
	s_clause 0x2
	global_load_b128 v[24:27], v[28:29], off
	global_load_b32 v32, v[28:29], off offset:32
	global_load_b128 v[28:31], v[28:29], off offset:16
	s_wait_loadcnt 0x2
	v_dot4_i32_iu8 v33, v36, v25, 0 neg_lo:[1,1,0]
	v_dot4_i32_iu8 v25, v25, 0x1010101, 0 neg_lo:[1,1,0]
	v_cvt_f32_f16_e32 v24, v24
	s_delay_alu instid0(VALU_DEP_3) | instskip(NEXT) | instid1(VALU_DEP_3)
	v_dot4_i32_iu8 v33, v37, v26, v33 neg_lo:[1,1,0]
	v_dot4_i32_iu8 v68, v26, 0x1010101, v25 neg_lo:[1,1,0]
	s_wait_loadcnt 0x0
	v_dot4_i32_iu8 v26, v29, 0x1010101, 0 neg_lo:[1,1,0]
	v_mul_f32_e32 v24, v20, v24
	v_dot4_i32_iu8 v25, v40, v27, v33 neg_lo:[1,1,0]
	s_delay_alu instid0(VALU_DEP_3) | instskip(NEXT) | instid1(VALU_DEP_2)
	v_dot4_i32_iu8 v71, v30, 0x1010101, v26 neg_lo:[1,1,0]
	v_dot4_i32_iu8 v69, v41, v28, v25 neg_lo:[1,1,0]
	;; [unrolled: 1-line block ×3, first 2 shown]
	s_delay_alu instid0(VALU_DEP_1) | instskip(SKIP_1) | instid1(VALU_DEP_1)
	v_dot4_i32_iu8 v70, v28, 0x1010101, v25 neg_lo:[1,1,0]
	v_dot4_i32_iu8 v25, v42, v29, 0 neg_lo:[1,1,0]
	;; [unrolled: 1-line block ×3, first 2 shown]
	s_delay_alu instid0(VALU_DEP_1) | instskip(NEXT) | instid1(VALU_DEP_1)
	v_dot4_i32_iu8 v25, v46, v31, v25 neg_lo:[1,1,0]
	v_dot4_i32_iu8 v72, v47, v32, v25 neg_lo:[1,1,0]
	;; [unrolled: 1-line block ×3, first 2 shown]
	s_delay_alu instid0(VALU_DEP_1) | instskip(SKIP_1) | instid1(VALU_DEP_1)
	v_dot4_i32_iu8 v73, v32, 0x1010101, v25 neg_lo:[1,1,0]
	v_add_nc_u32_e32 v25, s9, v17
	v_mad_co_u64_u32 v[29:30], null, v25, 36, v[0:1]
	s_clause 0x2
	global_load_b128 v[25:28], v[29:30], off
	global_load_b32 v33, v[29:30], off offset:32
	global_load_b128 v[29:32], v[29:30], off offset:16
	s_wait_loadcnt 0x2
	v_dot4_i32_iu8 v34, v36, v26, 0 neg_lo:[1,1,0]
	v_dot4_i32_iu8 v26, v26, 0x1010101, 0 neg_lo:[1,1,0]
	v_cvt_f32_f16_e32 v25, v25
	s_delay_alu instid0(VALU_DEP_3) | instskip(NEXT) | instid1(VALU_DEP_3)
	v_dot4_i32_iu8 v34, v37, v27, v34 neg_lo:[1,1,0]
	v_dot4_i32_iu8 v74, v27, 0x1010101, v26 neg_lo:[1,1,0]
	s_wait_loadcnt 0x0
	v_dot4_i32_iu8 v27, v30, 0x1010101, 0 neg_lo:[1,1,0]
	v_mul_f32_e32 v25, v20, v25
	v_dot4_i32_iu8 v26, v40, v28, v34 neg_lo:[1,1,0]
	s_delay_alu instid0(VALU_DEP_3) | instskip(NEXT) | instid1(VALU_DEP_2)
	v_dot4_i32_iu8 v77, v31, 0x1010101, v27 neg_lo:[1,1,0]
	v_dot4_i32_iu8 v75, v41, v29, v26 neg_lo:[1,1,0]
	v_dot4_i32_iu8 v26, v28, 0x1010101, 0 neg_lo:[1,1,0]
	s_delay_alu instid0(VALU_DEP_1) | instskip(SKIP_1) | instid1(VALU_DEP_1)
	v_dot4_i32_iu8 v76, v29, 0x1010101, v26 neg_lo:[1,1,0]
	v_dot4_i32_iu8 v26, v42, v30, 0 neg_lo:[1,1,0]
	;; [unrolled: 1-line block ×3, first 2 shown]
	s_delay_alu instid0(VALU_DEP_1) | instskip(NEXT) | instid1(VALU_DEP_1)
	v_dot4_i32_iu8 v26, v46, v32, v26 neg_lo:[1,1,0]
	v_dot4_i32_iu8 v78, v47, v33, v26 neg_lo:[1,1,0]
	;; [unrolled: 1-line block ×3, first 2 shown]
	s_delay_alu instid0(VALU_DEP_1) | instskip(SKIP_1) | instid1(VALU_DEP_1)
	v_dot4_i32_iu8 v79, v33, 0x1010101, v26 neg_lo:[1,1,0]
	v_add_nc_u32_e32 v26, s8, v17
	v_mad_co_u64_u32 v[30:31], null, v26, 36, v[0:1]
	s_clause 0x2
	global_load_b128 v[26:29], v[30:31], off
	global_load_b32 v34, v[30:31], off offset:32
	global_load_b128 v[30:33], v[30:31], off offset:16
	s_wait_loadcnt 0x2
	v_dot4_i32_iu8 v35, v36, v27, 0 neg_lo:[1,1,0]
	v_dot4_i32_iu8 v27, v27, 0x1010101, 0 neg_lo:[1,1,0]
	v_cvt_f32_f16_e32 v26, v26
	s_delay_alu instid0(VALU_DEP_3) | instskip(NEXT) | instid1(VALU_DEP_3)
	v_dot4_i32_iu8 v35, v37, v28, v35 neg_lo:[1,1,0]
	v_dot4_i32_iu8 v80, v28, 0x1010101, v27 neg_lo:[1,1,0]
	s_wait_loadcnt 0x0
	v_dot4_i32_iu8 v28, v31, 0x1010101, 0 neg_lo:[1,1,0]
	s_delay_alu instid0(VALU_DEP_3) | instskip(NEXT) | instid1(VALU_DEP_2)
	v_dot4_i32_iu8 v27, v40, v29, v35 neg_lo:[1,1,0]
	v_dot4_i32_iu8 v83, v32, 0x1010101, v28 neg_lo:[1,1,0]
	s_delay_alu instid0(VALU_DEP_2) | instskip(SKIP_1) | instid1(VALU_DEP_1)
	v_dot4_i32_iu8 v81, v41, v30, v27 neg_lo:[1,1,0]
	v_dot4_i32_iu8 v27, v29, 0x1010101, 0 neg_lo:[1,1,0]
	;; [unrolled: 1-line block ×4, first 2 shown]
	s_delay_alu instid0(VALU_DEP_1) | instskip(NEXT) | instid1(VALU_DEP_1)
	v_dot4_i32_iu8 v27, v43, v32, v27 neg_lo:[1,1,0]
	v_dot4_i32_iu8 v27, v46, v33, v27 neg_lo:[1,1,0]
	s_delay_alu instid0(VALU_DEP_1) | instskip(SKIP_1) | instid1(VALU_DEP_1)
	v_dot4_i32_iu8 v84, v47, v34, v27 neg_lo:[1,1,0]
	v_dot4_i32_iu8 v27, v33, 0x1010101, 0 neg_lo:[1,1,0]
	v_dot4_i32_iu8 v85, v34, 0x1010101, v27 neg_lo:[1,1,0]
	v_add_nc_u32_e32 v27, s7, v17
	s_delay_alu instid0(VALU_DEP_1)
	v_mad_co_u64_u32 v[31:32], null, v27, 36, v[0:1]
	s_clause 0x2
	global_load_b128 v[27:30], v[31:32], off
	global_load_b32 v35, v[31:32], off offset:32
	global_load_b128 v[31:34], v[31:32], off offset:16
	s_wait_loadcnt 0x2
	v_dot4_i32_iu8 v86, v36, v28, 0 neg_lo:[1,1,0]
	v_dot4_i32_iu8 v28, v28, 0x1010101, 0 neg_lo:[1,1,0]
	s_delay_alu instid0(VALU_DEP_2) | instskip(NEXT) | instid1(VALU_DEP_2)
	v_dot4_i32_iu8 v86, v37, v29, v86 neg_lo:[1,1,0]
	v_dot4_i32_iu8 v87, v29, 0x1010101, v28 neg_lo:[1,1,0]
	s_wait_loadcnt 0x0
	v_dot4_i32_iu8 v29, v32, 0x1010101, 0 neg_lo:[1,1,0]
	s_delay_alu instid0(VALU_DEP_3) | instskip(NEXT) | instid1(VALU_DEP_2)
	v_dot4_i32_iu8 v28, v40, v30, v86 neg_lo:[1,1,0]
	v_dot4_i32_iu8 v89, v33, 0x1010101, v29 neg_lo:[1,1,0]
	s_delay_alu instid0(VALU_DEP_2) | instskip(SKIP_1) | instid1(VALU_DEP_1)
	v_dot4_i32_iu8 v86, v41, v31, v28 neg_lo:[1,1,0]
	v_dot4_i32_iu8 v28, v30, 0x1010101, 0 neg_lo:[1,1,0]
	;; [unrolled: 1-line block ×4, first 2 shown]
	s_delay_alu instid0(VALU_DEP_1) | instskip(NEXT) | instid1(VALU_DEP_1)
	v_dot4_i32_iu8 v28, v43, v33, v28 neg_lo:[1,1,0]
	v_dot4_i32_iu8 v28, v46, v34, v28 neg_lo:[1,1,0]
	s_delay_alu instid0(VALU_DEP_1) | instskip(SKIP_1) | instid1(VALU_DEP_1)
	v_dot4_i32_iu8 v90, v47, v35, v28 neg_lo:[1,1,0]
	v_dot4_i32_iu8 v28, v34, 0x1010101, 0 neg_lo:[1,1,0]
	;; [unrolled: 1-line block ×3, first 2 shown]
	v_add_nc_u32_e32 v28, s2, v17
	v_add_nc_u32_e32 v17, 32, v17
	s_delay_alu instid0(VALU_DEP_2)
	v_mad_co_u64_u32 v[32:33], null, v28, 36, v[0:1]
	s_clause 0x2
	global_load_b128 v[28:31], v[32:33], off
	global_load_b32 v92, v[32:33], off offset:32
	global_load_b128 v[32:35], v[32:33], off offset:16
	s_wait_loadcnt 0x2
	v_dot4_i32_iu8 v36, v36, v29, 0 neg_lo:[1,1,0]
	v_dot4_i32_iu8 v29, v29, 0x1010101, 0 neg_lo:[1,1,0]
	s_delay_alu instid0(VALU_DEP_2) | instskip(NEXT) | instid1(VALU_DEP_2)
	v_dot4_i32_iu8 v36, v37, v30, v36 neg_lo:[1,1,0]
	v_dot4_i32_iu8 v29, v30, 0x1010101, v29 neg_lo:[1,1,0]
	v_and_b32_e32 v37, 8, v45
	v_cvt_f32_i32_e32 v45, v59
	s_delay_alu instid0(VALU_DEP_4) | instskip(SKIP_1) | instid1(VALU_DEP_4)
	v_dot4_i32_iu8 v30, v40, v31, v36 neg_lo:[1,1,0]
	v_dot4_i32_iu8 v31, v31, 0x1010101, 0 neg_lo:[1,1,0]
	v_cvt_f32_ubyte0_e32 v37, v37
	v_cvt_f32_ubyte0_e32 v36, v44
	v_cvt_f32_i32_e32 v44, v55
	s_wait_loadcnt 0x0
	v_dot4_i32_iu8 v30, v41, v32, v30 neg_lo:[1,1,0]
	v_dot4_i32_iu8 v31, v32, 0x1010101, v31 neg_lo:[1,1,0]
	;; [unrolled: 1-line block ×4, first 2 shown]
	v_dual_fmaak_f32 v37, s15, v37, 0xbf600000 :: v_dual_fmaak_f32 v36, s15, v36, 0xbf600000
	v_cvt_f32_i32_e32 v41, v53
	s_delay_alu instid0(VALU_DEP_4) | instskip(NEXT) | instid1(VALU_DEP_4)
	v_dot4_i32_iu8 v32, v43, v34, v32 neg_lo:[1,1,0]
	v_dot4_i32_iu8 v33, v34, 0x1010101, v33 neg_lo:[1,1,0]
	;; [unrolled: 1-line block ×3, first 2 shown]
	v_cvt_f32_i32_e32 v42, v56
	v_cvt_f32_i32_e32 v43, v58
	v_dot4_i32_iu8 v32, v46, v35, v32 neg_lo:[1,1,0]
	v_cvt_f32_ubyte0_e32 v35, v38
	v_and_b32_e32 v38, 8, v39
	v_cvt_f32_i32_e32 v46, v50
	v_fma_f32 v41, v36, v41, 0
	v_dot4_i32_iu8 v32, v47, v92, v32 neg_lo:[1,1,0]
	v_fmaak_f32 v35, s15, v35, 0xbf600000
	v_cvt_f32_ubyte0_e32 v38, v38
	v_cvt_f32_i32_e32 v47, v52
	v_cvt_f32_i32_e32 v50, v57
	v_fmac_f32_e32 v41, v37, v44
	v_fma_f32 v42, v35, v42, 0
	v_fmaak_f32 v38, s15, v38, 0xbf600000
	v_and_b32_e32 v40, 14, v48
	v_cvt_f32_i32_e32 v48, v61
	v_fma_f32 v44, v36, v45, 0
	v_cvt_f32_i32_e32 v52, v60
	v_fmac_f32_e32 v42, v38, v43
	v_or_b32_e32 v40, 1, v40
	v_fma_f32 v43, v35, v46, 0
	v_fmac_f32_e32 v44, v37, v48
	v_cvt_f32_i32_e32 v45, v64
	v_add_f32_e32 v42, v42, v50
	v_cvt_f32_ubyte0_e32 v40, v40
	v_and_b32_e32 v39, 14, v49
	v_cvt_f32_i32_e32 v49, v54
	v_dual_fmac_f32 v43, v38, v47 :: v_dual_add_f32 v44, v44, v52
	s_delay_alu instid0(VALU_DEP_4) | instskip(NEXT) | instid1(VALU_DEP_4)
	v_mul_f32_e32 v42, v42, v40
	v_or_b32_e32 v39, 1, v39
	s_delay_alu instid0(VALU_DEP_4) | instskip(NEXT) | instid1(VALU_DEP_4)
	v_add_f32_e32 v41, v41, v49
	v_add_f32_e32 v43, v43, v51
	v_cvt_f32_i32_e32 v46, v73
	v_cvt_f32_i32_e32 v47, v66
	v_cvt_f32_ubyte0_e32 v39, v39
	v_cvt_f32_i32_e32 v48, v69
	v_cvt_f32_i32_e32 v49, v72
	;; [unrolled: 1-line block ×3, first 2 shown]
	v_dot4_i32_iu8 v34, v92, 0x1010101, v34 neg_lo:[1,1,0]
	v_mul_f32_e32 v41, v41, v39
	v_fmac_f32_e32 v42, v44, v39
	v_cvt_f32_i32_e32 v44, v62
	s_delay_alu instid0(VALU_DEP_2) | instskip(SKIP_3) | instid1(VALU_DEP_4)
	v_dual_fmac_f32 v41, v43, v40 :: v_dual_fmac_f32 v12, v22, v42
	v_cvt_f32_i32_e32 v22, v68
	v_cvt_f32_i32_e32 v42, v67
	v_cvt_f32_i32_e32 v43, v71
	v_fmac_f32_e32 v14, v21, v41
	v_cvt_f32_i32_e32 v21, v65
	v_cvt_f32_i32_e32 v41, v70
	v_fma_f32 v22, v35, v22, 0
	s_delay_alu instid0(VALU_DEP_3) | instskip(NEXT) | instid1(VALU_DEP_2)
	v_fma_f32 v21, v36, v21, 0
	v_fmac_f32_e32 v22, v38, v41
	v_fma_f32 v41, v35, v44, 0
	v_cvt_f32_i32_e32 v44, v85
	s_delay_alu instid0(VALU_DEP_4)
	v_fmac_f32_e32 v21, v37, v42
	v_fma_f32 v42, v36, v43, 0
	v_add_f32_e32 v22, v22, v48
	v_fmac_f32_e32 v41, v38, v45
	v_cvt_f32_i32_e32 v48, v75
	v_add_f32_e32 v21, v21, v47
	v_fmac_f32_e32 v42, v37, v46
	s_delay_alu instid0(VALU_DEP_4) | instskip(SKIP_1) | instid1(VALU_DEP_3)
	v_dual_mul_f32 v22, v22, v40 :: v_dual_add_f32 v41, v41, v50
	v_cvt_f32_i32_e32 v45, v78
	v_dual_mul_f32 v21, v21, v39 :: v_dual_add_f32 v42, v42, v49
	v_cvt_f32_i32_e32 v43, v76
	v_cvt_f32_i32_e32 v46, v81
	;; [unrolled: 1-line block ×3, first 2 shown]
	s_delay_alu instid0(VALU_DEP_4) | instskip(SKIP_2) | instid1(VALU_DEP_3)
	v_dual_fmac_f32 v21, v41, v40 :: v_dual_fmac_f32 v22, v42, v39
	v_cvt_f32_i32_e32 v41, v83
	v_cvt_f32_i32_e32 v42, v74
	v_dual_fmac_f32 v10, v23, v21 :: v_dual_fmac_f32 v9, v24, v22
	v_cvt_f32_i32_e32 v21, v77
	v_cvt_f32_i32_e32 v22, v80
	;; [unrolled: 1-line block ×4, first 2 shown]
	s_delay_alu instid0(VALU_DEP_4) | instskip(NEXT) | instid1(VALU_DEP_4)
	v_fma_f32 v21, v36, v21, 0
	v_fma_f32 v22, v35, v22, 0
	s_delay_alu instid0(VALU_DEP_1) | instskip(SKIP_2) | instid1(VALU_DEP_3)
	v_dual_fmac_f32 v21, v37, v24 :: v_dual_fmac_f32 v22, v38, v23
	v_fma_f32 v23, v35, v42, 0
	v_fma_f32 v24, v36, v41, 0
	v_dual_add_f32 v21, v21, v45 :: v_dual_add_f32 v22, v22, v46
	s_delay_alu instid0(VALU_DEP_2) | instskip(NEXT) | instid1(VALU_DEP_2)
	v_dual_fmac_f32 v23, v38, v43 :: v_dual_fmac_f32 v24, v37, v44
	v_dual_mul_f32 v21, v21, v39 :: v_dual_mul_f32 v22, v22, v40
	s_delay_alu instid0(VALU_DEP_2) | instskip(NEXT) | instid1(VALU_DEP_1)
	v_dual_add_f32 v23, v23, v48 :: v_dual_add_f32 v24, v24, v47
	v_dual_mul_f32 v26, v20, v26 :: v_dual_fmac_f32 v21, v23, v40
	s_delay_alu instid0(VALU_DEP_2) | instskip(SKIP_2) | instid1(VALU_DEP_4)
	v_fmac_f32_e32 v22, v24, v39
	v_cvt_f32_i32_e32 v23, v31
	v_cvt_f32_i32_e32 v24, v91
	v_fmac_f32_e32 v8, v25, v21
	s_delay_alu instid0(VALU_DEP_4) | instskip(SKIP_4) | instid1(VALU_DEP_4)
	v_fmac_f32_e32 v6, v26, v22
	v_cvt_f32_i32_e32 v21, v89
	v_cvt_f32_i32_e32 v22, v29
	;; [unrolled: 1-line block ×4, first 2 shown]
	v_fma_f32 v21, v36, v21, 0
	s_delay_alu instid0(VALU_DEP_4) | instskip(NEXT) | instid1(VALU_DEP_1)
	v_fma_f32 v22, v35, v22, 0
	v_dual_fmac_f32 v21, v37, v24 :: v_dual_fmac_f32 v22, v38, v23
	v_cvt_f32_i32_e32 v23, v33
	v_cvt_f32_i32_e32 v24, v87
	s_delay_alu instid0(VALU_DEP_2) | instskip(NEXT) | instid1(VALU_DEP_2)
	v_fma_f32 v23, v36, v23, 0
	v_fma_f32 v24, v35, v24, 0
	s_delay_alu instid0(VALU_DEP_1) | instskip(SKIP_3) | instid1(VALU_DEP_2)
	v_dual_fmac_f32 v23, v37, v26 :: v_dual_fmac_f32 v24, v38, v25
	v_cvt_f32_f16_e32 v25, v27
	v_cvt_f32_f16_e32 v26, v28
	v_cvt_f32_i32_e32 v27, v30
	v_mul_f32_e32 v26, v20, v26
	s_delay_alu instid0(VALU_DEP_4) | instskip(SKIP_1) | instid1(VALU_DEP_4)
	v_mul_f32_e32 v20, v20, v25
	v_cvt_f32_i32_e32 v25, v90
	v_add_f32_e32 v22, v22, v27
	v_cvt_f32_i32_e32 v27, v86
	s_delay_alu instid0(VALU_DEP_3) | instskip(SKIP_1) | instid1(VALU_DEP_4)
	v_add_f32_e32 v21, v21, v25
	v_cvt_f32_i32_e32 v25, v32
	v_mul_f32_e32 v22, v22, v40
	s_delay_alu instid0(VALU_DEP_4) | instskip(NEXT) | instid1(VALU_DEP_4)
	v_add_f32_e32 v24, v24, v27
	v_mul_f32_e32 v21, v21, v39
	s_delay_alu instid0(VALU_DEP_4) | instskip(NEXT) | instid1(VALU_DEP_1)
	v_add_f32_e32 v23, v23, v25
	v_dual_fmac_f32 v21, v24, v40 :: v_dual_fmac_f32 v22, v23, v39
	s_delay_alu instid0(VALU_DEP_1)
	v_dual_fmac_f32 v5, v20, v21 :: v_dual_fmac_f32 v4, v26, v22
	s_and_not1_b32 exec_lo, exec_lo, s3
	s_cbranch_execnz .LBB227_2
; %bb.3:
	s_or_b32 exec_lo, exec_lo, s3
.LBB227_4:
	s_delay_alu instid0(SALU_CYCLE_1)
	s_or_b32 exec_lo, exec_lo, s21
	s_mov_b32 s3, 0
	; wave barrier
	global_inv scope:SCOPE_SE
	s_mov_b32 s2, exec_lo
	v_cmpx_eq_u32_e32 0, v11
	s_cbranch_execz .LBB227_21
; %bb.5:
	v_mbcnt_lo_u32_b32 v11, -1, 0
	s_load_b64 s[0:1], s[0:1], 0x38
	s_mul_i32 s2, s10, s19
	s_mul_i32 s4, s18, s20
	s_wait_alu 0xfffe
	s_add_co_i32 s2, s2, ttmp9
	v_xor_b32_e32 v0, 16, v11
	v_xor_b32_e32 v1, 8, v11
	;; [unrolled: 1-line block ×3, first 2 shown]
	s_wait_alu 0xfffe
	s_add_co_i32 s2, s2, s4
	s_wait_alu 0xfffe
	s_lshl_b64 s[2:3], s[2:3], 2
	v_cmp_gt_i32_e32 vcc_lo, 32, v0
	s_wait_alu 0xfffd
	v_cndmask_b32_e32 v0, v11, v0, vcc_lo
	v_cmp_gt_i32_e32 vcc_lo, 32, v1
	s_wait_kmcnt 0x0
	s_wait_alu 0xfffe
	s_add_nc_u64 s[0:1], s[0:1], s[2:3]
	s_wait_alu 0xfffd
	v_cndmask_b32_e32 v1, v11, v1, vcc_lo
	s_delay_alu instid0(VALU_DEP_1)
	v_lshlrev_b32_e32 v1, 2, v1
	v_lshlrev_b32_e32 v0, 2, v0
	ds_bpermute_b32 v2, v0, v14
	s_wait_dscnt 0x0
	v_add_f32_e32 v3, v14, v2
	v_xor_b32_e32 v2, 4, v11
	ds_bpermute_b32 v13, v1, v3
	v_cmp_gt_i32_e32 vcc_lo, 32, v2
	s_wait_alu 0xfffd
	v_cndmask_b32_e32 v2, v11, v2, vcc_lo
	s_wait_dscnt 0x0
	v_add_f32_e32 v13, v3, v13
	v_xor_b32_e32 v3, 2, v11
	s_delay_alu instid0(VALU_DEP_1) | instskip(SKIP_3) | instid1(VALU_DEP_2)
	v_cmp_gt_i32_e32 vcc_lo, 32, v3
	s_wait_alu 0xfffd
	v_cndmask_b32_e32 v3, v11, v3, vcc_lo
	v_cmp_gt_i32_e32 vcc_lo, 32, v15
	v_lshlrev_b32_e32 v3, 2, v3
	s_wait_alu 0xfffd
	v_dual_cndmask_b32 v11, v11, v15 :: v_dual_lshlrev_b32 v2, 2, v2
	v_cmp_eq_u32_e32 vcc_lo, 0, v7
	ds_bpermute_b32 v14, v2, v13
	v_lshlrev_b32_e32 v11, 2, v11
	s_wait_dscnt 0x0
	v_add_f32_e32 v13, v13, v14
	ds_bpermute_b32 v14, v3, v13
	s_wait_dscnt 0x0
	v_add_f32_e32 v13, v13, v14
	ds_bpermute_b32 v14, v11, v13
	s_and_saveexec_b32 s2, vcc_lo
	s_cbranch_execz .LBB227_7
; %bb.6:
	s_wait_dscnt 0x0
	v_add_f32_e32 v7, v13, v14
	v_mov_b32_e32 v13, 0
	global_store_b32 v13, v7, s[0:1]
.LBB227_7:
	s_wait_alu 0xfffe
	s_or_b32 exec_lo, exec_lo, s2
	ds_bpermute_b32 v7, v0, v12
	s_wait_dscnt 0x0
	v_add_f32_e32 v7, v12, v7
	ds_bpermute_b32 v12, v1, v7
	s_wait_dscnt 0x0
	v_add_f32_e32 v7, v7, v12
	;; [unrolled: 3-line block ×4, first 2 shown]
	ds_bpermute_b32 v12, v11, v7
	s_and_saveexec_b32 s2, vcc_lo
	s_cbranch_execz .LBB227_9
; %bb.8:
	s_mov_b32 s7, 0
	s_wait_dscnt 0x0
	v_dual_add_f32 v7, v7, v12 :: v_dual_mov_b32 v12, 0
	s_wait_alu 0xfffe
	s_lshl_b64 s[4:5], s[6:7], 2
	s_wait_alu 0xfffe
	s_add_nc_u64 s[4:5], s[0:1], s[4:5]
	global_store_b32 v12, v7, s[4:5]
.LBB227_9:
	s_wait_alu 0xfffe
	s_or_b32 exec_lo, exec_lo, s2
	ds_bpermute_b32 v7, v0, v10
	s_wait_dscnt 0x0
	v_add_f32_e32 v7, v10, v7
	ds_bpermute_b32 v10, v1, v7
	s_wait_dscnt 0x0
	v_add_f32_e32 v7, v7, v10
	;; [unrolled: 3-line block ×4, first 2 shown]
	ds_bpermute_b32 v10, v11, v7
	s_and_saveexec_b32 s2, vcc_lo
	s_cbranch_execz .LBB227_11
; %bb.10:
	s_lshl_b32 s4, s6, 1
	s_mov_b32 s5, 0
	s_wait_dscnt 0x0
	v_dual_add_f32 v7, v7, v10 :: v_dual_mov_b32 v10, 0
	s_wait_alu 0xfffe
	s_lshl_b64 s[4:5], s[4:5], 2
	s_wait_alu 0xfffe
	s_add_nc_u64 s[4:5], s[0:1], s[4:5]
	global_store_b32 v10, v7, s[4:5]
.LBB227_11:
	s_wait_alu 0xfffe
	s_or_b32 exec_lo, exec_lo, s2
	ds_bpermute_b32 v7, v0, v9
	s_wait_dscnt 0x0
	v_add_f32_e32 v7, v9, v7
	ds_bpermute_b32 v9, v1, v7
	s_wait_dscnt 0x0
	v_add_f32_e32 v7, v7, v9
	;; [unrolled: 3-line block ×4, first 2 shown]
	ds_bpermute_b32 v9, v11, v7
	s_and_saveexec_b32 s2, vcc_lo
	s_cbranch_execz .LBB227_13
; %bb.12:
	s_mul_i32 s4, s6, 3
	s_mov_b32 s5, 0
	s_wait_dscnt 0x0
	v_add_f32_e32 v7, v7, v9
	v_mov_b32_e32 v9, 0
	s_wait_alu 0xfffe
	s_lshl_b64 s[4:5], s[4:5], 2
	s_wait_alu 0xfffe
	s_add_nc_u64 s[4:5], s[0:1], s[4:5]
	global_store_b32 v9, v7, s[4:5]
.LBB227_13:
	s_wait_alu 0xfffe
	s_or_b32 exec_lo, exec_lo, s2
	ds_bpermute_b32 v7, v0, v8
	s_wait_dscnt 0x0
	v_add_f32_e32 v7, v8, v7
	ds_bpermute_b32 v8, v1, v7
	s_wait_dscnt 0x0
	v_add_f32_e32 v7, v7, v8
	;; [unrolled: 3-line block ×4, first 2 shown]
	ds_bpermute_b32 v8, v11, v7
	s_and_saveexec_b32 s2, vcc_lo
	s_cbranch_execz .LBB227_15
; %bb.14:
	s_lshl_b32 s4, s6, 2
	s_mov_b32 s5, 0
	s_wait_dscnt 0x0
	v_dual_add_f32 v7, v7, v8 :: v_dual_mov_b32 v8, 0
	s_wait_alu 0xfffe
	s_lshl_b64 s[4:5], s[4:5], 2
	s_wait_alu 0xfffe
	s_add_nc_u64 s[4:5], s[0:1], s[4:5]
	global_store_b32 v8, v7, s[4:5]
.LBB227_15:
	s_wait_alu 0xfffe
	s_or_b32 exec_lo, exec_lo, s2
	ds_bpermute_b32 v7, v0, v6
	s_wait_dscnt 0x0
	v_add_f32_e32 v6, v6, v7
	ds_bpermute_b32 v7, v1, v6
	s_wait_dscnt 0x0
	v_add_f32_e32 v6, v6, v7
	;; [unrolled: 3-line block ×4, first 2 shown]
	ds_bpermute_b32 v7, v11, v6
	s_and_saveexec_b32 s2, vcc_lo
	s_cbranch_execz .LBB227_17
; %bb.16:
	s_mul_i32 s4, s6, 5
	s_mov_b32 s5, 0
	s_wait_dscnt 0x0
	v_dual_add_f32 v6, v6, v7 :: v_dual_mov_b32 v7, 0
	s_wait_alu 0xfffe
	s_lshl_b64 s[4:5], s[4:5], 2
	s_wait_alu 0xfffe
	s_add_nc_u64 s[4:5], s[0:1], s[4:5]
	global_store_b32 v7, v6, s[4:5]
.LBB227_17:
	s_wait_alu 0xfffe
	s_or_b32 exec_lo, exec_lo, s2
	ds_bpermute_b32 v6, v0, v5
	s_wait_dscnt 0x0
	v_add_f32_e32 v5, v5, v6
	ds_bpermute_b32 v6, v1, v5
	s_wait_dscnt 0x0
	v_add_f32_e32 v5, v5, v6
	;; [unrolled: 3-line block ×4, first 2 shown]
	ds_bpermute_b32 v6, v11, v5
	s_and_saveexec_b32 s2, vcc_lo
	s_cbranch_execz .LBB227_19
; %bb.18:
	s_mul_i32 s4, s6, 6
	s_mov_b32 s5, 0
	s_wait_dscnt 0x0
	v_dual_add_f32 v5, v5, v6 :: v_dual_mov_b32 v6, 0
	s_wait_alu 0xfffe
	s_lshl_b64 s[4:5], s[4:5], 2
	s_wait_alu 0xfffe
	s_add_nc_u64 s[4:5], s[0:1], s[4:5]
	global_store_b32 v6, v5, s[4:5]
.LBB227_19:
	s_wait_alu 0xfffe
	s_or_b32 exec_lo, exec_lo, s2
	ds_bpermute_b32 v0, v0, v4
	s_wait_dscnt 0x0
	v_add_f32_e32 v0, v4, v0
	ds_bpermute_b32 v1, v1, v0
	s_wait_dscnt 0x0
	v_add_f32_e32 v0, v0, v1
	;; [unrolled: 3-line block ×4, first 2 shown]
	ds_bpermute_b32 v1, v11, v0
	s_and_b32 exec_lo, exec_lo, vcc_lo
	s_cbranch_execz .LBB227_21
; %bb.20:
	s_mul_i32 s2, s6, 7
	s_mov_b32 s3, 0
	s_wait_dscnt 0x0
	v_dual_add_f32 v0, v0, v1 :: v_dual_mov_b32 v1, 0
	s_wait_alu 0xfffe
	s_lshl_b64 s[2:3], s[2:3], 2
	s_wait_alu 0xfffe
	s_add_nc_u64 s[0:1], s[0:1], s[2:3]
	global_store_b32 v1, v0, s[0:1]
.LBB227_21:
	s_endpgm
	.section	.rodata,"a",@progbits
	.p2align	6, 0x0
	.amdhsa_kernel _ZL13mul_mat_vec_qIL9ggml_type29ELi8ELb0ELb0EEvPKvS2_PKi31ggml_cuda_mm_fusion_args_devicePfj15HIP_vector_typeIjLj3EEjjjS8_jjjS8_jjjj
		.amdhsa_group_segment_fixed_size 0
		.amdhsa_private_segment_fixed_size 0
		.amdhsa_kernarg_size 144
		.amdhsa_user_sgpr_count 2
		.amdhsa_user_sgpr_dispatch_ptr 0
		.amdhsa_user_sgpr_queue_ptr 0
		.amdhsa_user_sgpr_kernarg_segment_ptr 1
		.amdhsa_user_sgpr_dispatch_id 0
		.amdhsa_user_sgpr_private_segment_size 0
		.amdhsa_wavefront_size32 1
		.amdhsa_uses_dynamic_stack 0
		.amdhsa_enable_private_segment 0
		.amdhsa_system_sgpr_workgroup_id_x 1
		.amdhsa_system_sgpr_workgroup_id_y 1
		.amdhsa_system_sgpr_workgroup_id_z 1
		.amdhsa_system_sgpr_workgroup_info 0
		.amdhsa_system_vgpr_workitem_id 1
		.amdhsa_next_free_vgpr 93
		.amdhsa_next_free_sgpr 30
		.amdhsa_reserve_vcc 1
		.amdhsa_float_round_mode_32 0
		.amdhsa_float_round_mode_16_64 0
		.amdhsa_float_denorm_mode_32 3
		.amdhsa_float_denorm_mode_16_64 3
		.amdhsa_fp16_overflow 0
		.amdhsa_workgroup_processor_mode 1
		.amdhsa_memory_ordered 1
		.amdhsa_forward_progress 1
		.amdhsa_inst_pref_size 40
		.amdhsa_round_robin_scheduling 0
		.amdhsa_exception_fp_ieee_invalid_op 0
		.amdhsa_exception_fp_denorm_src 0
		.amdhsa_exception_fp_ieee_div_zero 0
		.amdhsa_exception_fp_ieee_overflow 0
		.amdhsa_exception_fp_ieee_underflow 0
		.amdhsa_exception_fp_ieee_inexact 0
		.amdhsa_exception_int_div_zero 0
	.end_amdhsa_kernel
	.section	.text._ZL13mul_mat_vec_qIL9ggml_type29ELi8ELb0ELb0EEvPKvS2_PKi31ggml_cuda_mm_fusion_args_devicePfj15HIP_vector_typeIjLj3EEjjjS8_jjjS8_jjjj,"axG",@progbits,_ZL13mul_mat_vec_qIL9ggml_type29ELi8ELb0ELb0EEvPKvS2_PKi31ggml_cuda_mm_fusion_args_devicePfj15HIP_vector_typeIjLj3EEjjjS8_jjjS8_jjjj,comdat
.Lfunc_end227:
	.size	_ZL13mul_mat_vec_qIL9ggml_type29ELi8ELb0ELb0EEvPKvS2_PKi31ggml_cuda_mm_fusion_args_devicePfj15HIP_vector_typeIjLj3EEjjjS8_jjjS8_jjjj, .Lfunc_end227-_ZL13mul_mat_vec_qIL9ggml_type29ELi8ELb0ELb0EEvPKvS2_PKi31ggml_cuda_mm_fusion_args_devicePfj15HIP_vector_typeIjLj3EEjjjS8_jjjS8_jjjj
                                        ; -- End function
	.set _ZL13mul_mat_vec_qIL9ggml_type29ELi8ELb0ELb0EEvPKvS2_PKi31ggml_cuda_mm_fusion_args_devicePfj15HIP_vector_typeIjLj3EEjjjS8_jjjS8_jjjj.num_vgpr, 93
	.set _ZL13mul_mat_vec_qIL9ggml_type29ELi8ELb0ELb0EEvPKvS2_PKi31ggml_cuda_mm_fusion_args_devicePfj15HIP_vector_typeIjLj3EEjjjS8_jjjS8_jjjj.num_agpr, 0
	.set _ZL13mul_mat_vec_qIL9ggml_type29ELi8ELb0ELb0EEvPKvS2_PKi31ggml_cuda_mm_fusion_args_devicePfj15HIP_vector_typeIjLj3EEjjjS8_jjjS8_jjjj.numbered_sgpr, 30
	.set _ZL13mul_mat_vec_qIL9ggml_type29ELi8ELb0ELb0EEvPKvS2_PKi31ggml_cuda_mm_fusion_args_devicePfj15HIP_vector_typeIjLj3EEjjjS8_jjjS8_jjjj.num_named_barrier, 0
	.set _ZL13mul_mat_vec_qIL9ggml_type29ELi8ELb0ELb0EEvPKvS2_PKi31ggml_cuda_mm_fusion_args_devicePfj15HIP_vector_typeIjLj3EEjjjS8_jjjS8_jjjj.private_seg_size, 0
	.set _ZL13mul_mat_vec_qIL9ggml_type29ELi8ELb0ELb0EEvPKvS2_PKi31ggml_cuda_mm_fusion_args_devicePfj15HIP_vector_typeIjLj3EEjjjS8_jjjS8_jjjj.uses_vcc, 1
	.set _ZL13mul_mat_vec_qIL9ggml_type29ELi8ELb0ELb0EEvPKvS2_PKi31ggml_cuda_mm_fusion_args_devicePfj15HIP_vector_typeIjLj3EEjjjS8_jjjS8_jjjj.uses_flat_scratch, 0
	.set _ZL13mul_mat_vec_qIL9ggml_type29ELi8ELb0ELb0EEvPKvS2_PKi31ggml_cuda_mm_fusion_args_devicePfj15HIP_vector_typeIjLj3EEjjjS8_jjjS8_jjjj.has_dyn_sized_stack, 0
	.set _ZL13mul_mat_vec_qIL9ggml_type29ELi8ELb0ELb0EEvPKvS2_PKi31ggml_cuda_mm_fusion_args_devicePfj15HIP_vector_typeIjLj3EEjjjS8_jjjS8_jjjj.has_recursion, 0
	.set _ZL13mul_mat_vec_qIL9ggml_type29ELi8ELb0ELb0EEvPKvS2_PKi31ggml_cuda_mm_fusion_args_devicePfj15HIP_vector_typeIjLj3EEjjjS8_jjjS8_jjjj.has_indirect_call, 0
	.section	.AMDGPU.csdata,"",@progbits
; Kernel info:
; codeLenInByte = 5012
; TotalNumSgprs: 32
; NumVgprs: 93
; ScratchSize: 0
; MemoryBound: 0
; FloatMode: 240
; IeeeMode: 1
; LDSByteSize: 0 bytes/workgroup (compile time only)
; SGPRBlocks: 0
; VGPRBlocks: 11
; NumSGPRsForWavesPerEU: 32
; NumVGPRsForWavesPerEU: 93
; Occupancy: 16
; WaveLimiterHint : 0
; COMPUTE_PGM_RSRC2:SCRATCH_EN: 0
; COMPUTE_PGM_RSRC2:USER_SGPR: 2
; COMPUTE_PGM_RSRC2:TRAP_HANDLER: 0
; COMPUTE_PGM_RSRC2:TGID_X_EN: 1
; COMPUTE_PGM_RSRC2:TGID_Y_EN: 1
; COMPUTE_PGM_RSRC2:TGID_Z_EN: 1
; COMPUTE_PGM_RSRC2:TIDIG_COMP_CNT: 1
	.section	.text._ZL17mul_mat_vec_q_moeIL9ggml_type20ELi2EEvPKvS2_PKiPfj15HIP_vector_typeIjLj3EEjjjjjjjjj,"axG",@progbits,_ZL17mul_mat_vec_q_moeIL9ggml_type20ELi2EEvPKvS2_PKiPfj15HIP_vector_typeIjLj3EEjjjjjjjjj,comdat
	.globl	_ZL17mul_mat_vec_q_moeIL9ggml_type20ELi2EEvPKvS2_PKiPfj15HIP_vector_typeIjLj3EEjjjjjjjjj ; -- Begin function _ZL17mul_mat_vec_q_moeIL9ggml_type20ELi2EEvPKvS2_PKiPfj15HIP_vector_typeIjLj3EEjjjjjjjjj
	.p2align	8
	.type	_ZL17mul_mat_vec_q_moeIL9ggml_type20ELi2EEvPKvS2_PKiPfj15HIP_vector_typeIjLj3EEjjjjjjjjj,@function
_ZL17mul_mat_vec_q_moeIL9ggml_type20ELi2EEvPKvS2_PKiPfj15HIP_vector_typeIjLj3EEjjjjjjjjj: ; @_ZL17mul_mat_vec_q_moeIL9ggml_type20ELi2EEvPKvS2_PKiPfj15HIP_vector_typeIjLj3EEjjjjjjjjj
; %bb.0:
	s_load_b256 s[4:11], s[0:1], 0x30
	v_bfe_u32 v6, v0, 10, 10
	s_mov_b32 s2, exec_lo
	s_wait_kmcnt 0x0
	s_delay_alu instid0(VALU_DEP_1)
	v_cmpx_gt_u32_e64 s11, v6
	s_cbranch_execz .LBB228_7
; %bb.1:
	s_clause 0x2
	s_load_b32 s2, s[0:1], 0x20
	s_load_b32 s20, s[0:1], 0x50
	s_load_b256 s[12:19], s[0:1], 0x0
	v_bfe_u32 v8, v0, 1, 9
	v_dual_mov_b32 v0, 0 :: v_dual_and_b32 v7, 0x3ff, v0
	v_mov_b32_e32 v1, 0
	s_mov_b32 s11, exec_lo
	s_wait_kmcnt 0x0
	s_lshr_b32 s3, s2, 5
	s_lshl_b32 s2, ttmp9, 1
	v_cmpx_gt_u32_e64 s3, v8
	s_cbranch_execz .LBB228_5
; %bb.2:
	s_mov_b32 s22, ttmp7
	v_lshrrev_b32_e32 v9, 1, v7
	v_mad_co_u64_u32 v[0:1], null, s20, v6, s[22:23]
	v_dual_mov_b32 v1, 0 :: v_dual_lshlrev_b32 v4, 2, v7
	s_load_b96 s[20:22], s[0:1], 0x24
	s_mov_b32 s1, 0
	v_and_b32_e32 v5, 1, v7
	s_delay_alu instid0(VALU_DEP_2) | instskip(NEXT) | instid1(VALU_DEP_4)
	v_and_b32_e32 v12, 4, v4
	v_lshlrev_b64_e32 v[2:3], 2, v[0:1]
	s_delay_alu instid0(VALU_DEP_1) | instskip(NEXT) | instid1(VALU_DEP_1)
	v_add_co_u32 v2, vcc_lo, s16, v2
	v_add_co_ci_u32_e64 v3, null, s17, v3, vcc_lo
	global_load_b32 v0, v[2:3], off
	v_mul_lo_u32 v2, s6, v6
	s_wait_kmcnt 0x0
	s_mul_hi_u32 s0, s20, ttmp7
	s_add_co_i32 s6, s2, 1
	s_add_co_i32 s0, ttmp7, s0
	s_delay_alu instid0(SALU_CYCLE_1) | instskip(NEXT) | instid1(SALU_CYCLE_1)
	s_lshr_b32 s0, s0, s21
	s_mul_i32 s0, s0, s22
	s_delay_alu instid0(VALU_DEP_1) | instskip(SKIP_1) | instid1(SALU_CYCLE_1)
	v_mad_co_u64_u32 v[2:3], null, v2, 36, 0
	s_sub_co_i32 s0, ttmp7, s0
	s_mul_i32 s0, s0, s9
	v_mad_co_u64_u32 v[10:11], null, v9, 36, v[2:3]
	s_wait_loadcnt 0x0
	v_mul_lo_u32 v0, v0, s8
	s_mul_u64 s[8:9], s[0:1], 36
	s_wait_alu 0xfffe
	s_add_nc_u64 s[8:9], s[14:15], s[8:9]
	s_delay_alu instid0(VALU_DEP_1)
	v_mad_co_u64_u32 v[2:3], null, s2, s5, v[0:1]
	v_mad_co_u64_u32 v[3:4], null, s5, s6, v[0:1]
	s_wait_alu 0xfffe
	v_add_co_u32 v4, vcc_lo, s8, v10
	v_lshlrev_b32_e32 v10, 1, v12
	v_dual_mov_b32 v0, v1 :: v_dual_lshlrev_b32 v9, 3, v5
	s_wait_alu 0xfffd
	v_add_co_ci_u32_e64 v5, null, s9, v11, vcc_lo
	s_mov_b32 s5, 0xf6eaddcf
	s_mov_b32 s6, 0x71594535
	;; [unrolled: 1-line block ×3, first 2 shown]
.LBB228_3:                              ; =>This Inner Loop Header: Depth=1
	v_add_nc_u32_e32 v13, v2, v8
	v_add_nc_u32_e32 v15, v3, v8
	v_add_co_u32 v11, vcc_lo, v4, v9
	s_wait_alu 0xfffd
	v_add_co_ci_u32_e64 v12, null, 0, v5, vcc_lo
	v_mad_co_i64_i32 v[13:14], null, v13, 18, s[12:13]
	v_mad_co_i64_i32 v[15:16], null, v15, 18, s[12:13]
	s_clause 0x1
	global_load_b64 v[17:18], v[11:12], off offset:4
	global_load_b64 v[11:12], v[11:12], off offset:20
	v_add_co_u32 v19, vcc_lo, v13, v10
	s_wait_alu 0xfffd
	v_add_co_ci_u32_e64 v20, null, 0, v14, vcc_lo
	v_add_co_u32 v21, vcc_lo, v15, v10
	s_wait_alu 0xfffd
	v_add_co_ci_u32_e64 v22, null, 0, v16, vcc_lo
	s_clause 0x1
	global_load_b64 v[19:20], v[19:20], off offset:2
	global_load_b64 v[21:22], v[21:22], off offset:2
	global_load_b32 v23, v[4:5], off
	s_clause 0x1
	global_load_u16 v15, v[15:16], off
	global_load_u16 v13, v[13:14], off
	v_add_co_u32 v4, vcc_lo, 0x240, v4
	s_wait_alu 0xfffd
	v_add_co_ci_u32_e64 v5, null, 0, v5, vcc_lo
	s_wait_loadcnt 0x4
	v_ashrrev_i32_e32 v16, 4, v19
	v_ashrrev_i32_e32 v24, 4, v20
	s_wait_loadcnt 0x2
	v_cvt_f32_f16_e32 v14, v23
	v_and_b32_e32 v23, 0x7070707, v19
	v_lshrrev_b32_e32 v19, 1, v19
	v_and_b32_e32 v25, 0x7070707, v20
	v_lshrrev_b32_e32 v20, 1, v20
	v_ashrrev_i32_e32 v26, 4, v21
	v_and_b32_e32 v27, 0x7070707, v21
	v_lshrrev_b32_e32 v21, 1, v21
	s_wait_alu 0xfffe
	v_perm_b32 v30, s5, 0xbfad9881, v23
	v_and_b32_e32 v31, 0x7070707, v16
	v_perm_b32 v23, s6, 0x26190d01, v23
	v_and_or_b32 v19, v19, s8, 0x3020100
	v_lshrrev_b32_e32 v16, 1, v16
	v_perm_b32 v32, s5, 0xbfad9881, v25
	v_perm_b32 v25, s6, 0x26190d01, v25
	v_and_or_b32 v20, v20, s8, 0x3020100
	v_perm_b32 v34, s5, 0xbfad9881, v27
	v_and_b32_e32 v35, 0x7070707, v26
	v_perm_b32 v27, s6, 0x26190d01, v27
	v_and_or_b32 v21, v21, s8, 0x3020100
	v_lshrrev_b32_e32 v26, 1, v26
	v_ashrrev_i32_e32 v28, 4, v22
	v_and_b32_e32 v29, 0x7070707, v22
	v_lshrrev_b32_e32 v22, 1, v22
	v_perm_b32 v38, s5, 0xbfad9881, v31
	v_perm_b32 v31, s6, 0x26190d01, v31
	;; [unrolled: 1-line block ×3, first 2 shown]
	v_and_or_b32 v16, v16, s8, 0x3020100
	v_perm_b32 v20, v25, v32, v20
	v_perm_b32 v25, s5, 0xbfad9881, v35
	;; [unrolled: 1-line block ×4, first 2 shown]
	v_and_or_b32 v26, v26, s8, 0x3020100
	v_and_b32_e32 v33, 0x7070707, v24
	v_lshrrev_b32_e32 v24, 1, v24
	v_perm_b32 v36, s5, 0xbfad9881, v29
	v_and_b32_e32 v37, 0x7070707, v28
	v_perm_b32 v29, s6, 0x26190d01, v29
	v_and_or_b32 v22, v22, s8, 0x3020100
	v_lshrrev_b32_e32 v28, 1, v28
	v_perm_b32 v16, v31, v38, v16
	v_dot4_i32_iu8 v19, v19, v17, 0 neg_lo:[1,1,0]
	v_perm_b32 v25, v32, v25, v26
	v_dot4_i32_iu8 v17, v21, v17, 0 neg_lo:[1,1,0]
	v_perm_b32 v23, s5, 0xbfad9881, v33
	v_perm_b32 v30, s6, 0x26190d01, v33
	v_and_or_b32 v24, v24, s8, 0x3020100
	v_perm_b32 v27, s5, 0xbfad9881, v37
	v_perm_b32 v33, s6, 0x26190d01, v37
	;; [unrolled: 1-line block ×3, first 2 shown]
	v_and_or_b32 v22, v28, s8, 0x3020100
	v_dot4_i32_iu8 v16, v16, v11, v19 neg_lo:[1,1,0]
	v_dot4_i32_iu8 v11, v25, v11, v17 neg_lo:[1,1,0]
	v_perm_b32 v17, v30, v23, v24
	s_wait_loadcnt 0x0
	v_cvt_f32_f16_e32 v13, v13
	v_perm_b32 v19, v33, v27, v22
	v_dot4_i32_iu8 v16, v20, v18, v16 neg_lo:[1,1,0]
	v_dot4_i32_iu8 v11, v21, v18, v11 neg_lo:[1,1,0]
	v_cvt_f32_f16_e32 v15, v15
	v_add_nc_u32_e32 v8, 16, v8
	s_delay_alu instid0(VALU_DEP_4) | instskip(NEXT) | instid1(VALU_DEP_4)
	v_dot4_i32_iu8 v16, v17, v12, v16 neg_lo:[1,1,0]
	v_dot4_i32_iu8 v11, v19, v12, v11 neg_lo:[1,1,0]
	v_mul_f32_e32 v12, v13, v14
	v_mul_f32_e32 v13, v15, v14
	v_cmp_le_u32_e64 s0, s3, v8
	v_cvt_f32_i32_e32 v14, v16
	v_cvt_f32_i32_e32 v11, v11
	s_or_b32 s1, s0, s1
	s_delay_alu instid0(VALU_DEP_1)
	v_dual_fmac_f32 v1, v12, v14 :: v_dual_fmac_f32 v0, v13, v11
	s_and_not1_b32 exec_lo, exec_lo, s1
	s_cbranch_execnz .LBB228_3
; %bb.4:
	s_or_b32 exec_lo, exec_lo, s1
.LBB228_5:
	s_wait_alu 0xfffe
	s_or_b32 exec_lo, exec_lo, s11
	v_mbcnt_lo_u32_b32 v2, -1, 0
	s_delay_alu instid0(VALU_DEP_1) | instskip(SKIP_1) | instid1(VALU_DEP_2)
	v_xor_b32_e32 v3, 16, v2
	v_xor_b32_e32 v5, 8, v2
	v_cmp_gt_i32_e32 vcc_lo, 32, v3
	s_wait_alu 0xfffd
	v_cndmask_b32_e32 v3, v2, v3, vcc_lo
	s_delay_alu instid0(VALU_DEP_3) | instskip(NEXT) | instid1(VALU_DEP_2)
	v_cmp_gt_i32_e32 vcc_lo, 32, v5
	v_lshlrev_b32_e32 v3, 2, v3
	ds_bpermute_b32 v4, v3, v1
	ds_bpermute_b32 v3, v3, v0
	s_wait_alu 0xfffd
	v_cndmask_b32_e32 v5, v2, v5, vcc_lo
	s_wait_dscnt 0x0
	v_dual_add_f32 v1, v1, v4 :: v_dual_add_f32 v0, v0, v3
	s_delay_alu instid0(VALU_DEP_2) | instskip(SKIP_3) | instid1(VALU_DEP_1)
	v_lshlrev_b32_e32 v5, 2, v5
	ds_bpermute_b32 v3, v5, v1
	ds_bpermute_b32 v4, v5, v0
	v_xor_b32_e32 v5, 4, v2
	v_cmp_gt_i32_e32 vcc_lo, 32, v5
	s_wait_alu 0xfffd
	v_cndmask_b32_e32 v5, v2, v5, vcc_lo
	s_delay_alu instid0(VALU_DEP_1)
	v_lshlrev_b32_e32 v5, 2, v5
	s_wait_dscnt 0x0
	v_dual_add_f32 v1, v1, v3 :: v_dual_add_f32 v0, v0, v4
	ds_bpermute_b32 v3, v5, v1
	ds_bpermute_b32 v4, v5, v0
	v_xor_b32_e32 v5, 2, v2
	s_delay_alu instid0(VALU_DEP_1) | instskip(SKIP_2) | instid1(VALU_DEP_1)
	v_cmp_gt_i32_e32 vcc_lo, 32, v5
	s_wait_alu 0xfffd
	v_cndmask_b32_e32 v5, v2, v5, vcc_lo
	v_lshlrev_b32_e32 v5, 2, v5
	s_wait_dscnt 0x1
	v_add_f32_e32 v1, v1, v3
	s_wait_dscnt 0x0
	v_add_f32_e32 v3, v0, v4
	ds_bpermute_b32 v0, v5, v1
	ds_bpermute_b32 v4, v5, v3
	v_xor_b32_e32 v5, 1, v2
	s_delay_alu instid0(VALU_DEP_1) | instskip(SKIP_4) | instid1(VALU_DEP_2)
	v_cmp_gt_i32_e32 vcc_lo, 32, v5
	s_wait_alu 0xfffd
	v_cndmask_b32_e32 v2, v2, v5, vcc_lo
	v_cmp_gt_u32_e32 vcc_lo, 2, v7
	s_wait_dscnt 0x1
	v_dual_add_f32 v0, v1, v0 :: v_dual_lshlrev_b32 v5, 2, v2
	s_wait_dscnt 0x0
	v_dual_add_f32 v1, v3, v4 :: v_dual_add_nc_u32 v4, s2, v7
	ds_bpermute_b32 v2, v5, v0
	ds_bpermute_b32 v3, v5, v1
	v_cmp_gt_u32_e64 s0, s4, v4
	s_and_b32 s0, vcc_lo, s0
	s_delay_alu instid0(SALU_CYCLE_1)
	s_and_b32 exec_lo, exec_lo, s0
	s_cbranch_execz .LBB228_7
; %bb.6:
	v_mul_lo_u32 v4, s7, v6
	v_or_b32_e32 v6, s2, v7
	s_mul_i32 s0, s10, ttmp7
	s_wait_dscnt 0x1
	v_dual_mov_b32 v5, 0 :: v_dual_add_f32 v2, v0, v2
	s_wait_dscnt 0x0
	v_add_f32_e32 v3, v1, v3
	v_cmp_eq_u32_e32 vcc_lo, 1, v7
	v_add3_u32 v4, v6, v4, s0
	s_wait_alu 0xfffd
	s_delay_alu instid0(VALU_DEP_3) | instskip(NEXT) | instid1(VALU_DEP_2)
	v_cndmask_b32_e32 v2, v2, v3, vcc_lo
	v_lshlrev_b64_e32 v[0:1], 2, v[4:5]
	s_delay_alu instid0(VALU_DEP_1) | instskip(SKIP_1) | instid1(VALU_DEP_2)
	v_add_co_u32 v0, vcc_lo, s18, v0
	s_wait_alu 0xfffd
	v_add_co_ci_u32_e64 v1, null, s19, v1, vcc_lo
	global_store_b32 v[0:1], v2, off
.LBB228_7:
	s_endpgm
	.section	.rodata,"a",@progbits
	.p2align	6, 0x0
	.amdhsa_kernel _ZL17mul_mat_vec_q_moeIL9ggml_type20ELi2EEvPKvS2_PKiPfj15HIP_vector_typeIjLj3EEjjjjjjjjj
		.amdhsa_group_segment_fixed_size 0
		.amdhsa_private_segment_fixed_size 0
		.amdhsa_kernarg_size 84
		.amdhsa_user_sgpr_count 2
		.amdhsa_user_sgpr_dispatch_ptr 0
		.amdhsa_user_sgpr_queue_ptr 0
		.amdhsa_user_sgpr_kernarg_segment_ptr 1
		.amdhsa_user_sgpr_dispatch_id 0
		.amdhsa_user_sgpr_private_segment_size 0
		.amdhsa_wavefront_size32 1
		.amdhsa_uses_dynamic_stack 0
		.amdhsa_enable_private_segment 0
		.amdhsa_system_sgpr_workgroup_id_x 1
		.amdhsa_system_sgpr_workgroup_id_y 1
		.amdhsa_system_sgpr_workgroup_id_z 0
		.amdhsa_system_sgpr_workgroup_info 0
		.amdhsa_system_vgpr_workitem_id 1
		.amdhsa_next_free_vgpr 39
		.amdhsa_next_free_sgpr 24
		.amdhsa_reserve_vcc 1
		.amdhsa_float_round_mode_32 0
		.amdhsa_float_round_mode_16_64 0
		.amdhsa_float_denorm_mode_32 3
		.amdhsa_float_denorm_mode_16_64 3
		.amdhsa_fp16_overflow 0
		.amdhsa_workgroup_processor_mode 1
		.amdhsa_memory_ordered 1
		.amdhsa_forward_progress 1
		.amdhsa_inst_pref_size 13
		.amdhsa_round_robin_scheduling 0
		.amdhsa_exception_fp_ieee_invalid_op 0
		.amdhsa_exception_fp_denorm_src 0
		.amdhsa_exception_fp_ieee_div_zero 0
		.amdhsa_exception_fp_ieee_overflow 0
		.amdhsa_exception_fp_ieee_underflow 0
		.amdhsa_exception_fp_ieee_inexact 0
		.amdhsa_exception_int_div_zero 0
	.end_amdhsa_kernel
	.section	.text._ZL17mul_mat_vec_q_moeIL9ggml_type20ELi2EEvPKvS2_PKiPfj15HIP_vector_typeIjLj3EEjjjjjjjjj,"axG",@progbits,_ZL17mul_mat_vec_q_moeIL9ggml_type20ELi2EEvPKvS2_PKiPfj15HIP_vector_typeIjLj3EEjjjjjjjjj,comdat
.Lfunc_end228:
	.size	_ZL17mul_mat_vec_q_moeIL9ggml_type20ELi2EEvPKvS2_PKiPfj15HIP_vector_typeIjLj3EEjjjjjjjjj, .Lfunc_end228-_ZL17mul_mat_vec_q_moeIL9ggml_type20ELi2EEvPKvS2_PKiPfj15HIP_vector_typeIjLj3EEjjjjjjjjj
                                        ; -- End function
	.set _ZL17mul_mat_vec_q_moeIL9ggml_type20ELi2EEvPKvS2_PKiPfj15HIP_vector_typeIjLj3EEjjjjjjjjj.num_vgpr, 39
	.set _ZL17mul_mat_vec_q_moeIL9ggml_type20ELi2EEvPKvS2_PKiPfj15HIP_vector_typeIjLj3EEjjjjjjjjj.num_agpr, 0
	.set _ZL17mul_mat_vec_q_moeIL9ggml_type20ELi2EEvPKvS2_PKiPfj15HIP_vector_typeIjLj3EEjjjjjjjjj.numbered_sgpr, 24
	.set _ZL17mul_mat_vec_q_moeIL9ggml_type20ELi2EEvPKvS2_PKiPfj15HIP_vector_typeIjLj3EEjjjjjjjjj.num_named_barrier, 0
	.set _ZL17mul_mat_vec_q_moeIL9ggml_type20ELi2EEvPKvS2_PKiPfj15HIP_vector_typeIjLj3EEjjjjjjjjj.private_seg_size, 0
	.set _ZL17mul_mat_vec_q_moeIL9ggml_type20ELi2EEvPKvS2_PKiPfj15HIP_vector_typeIjLj3EEjjjjjjjjj.uses_vcc, 1
	.set _ZL17mul_mat_vec_q_moeIL9ggml_type20ELi2EEvPKvS2_PKiPfj15HIP_vector_typeIjLj3EEjjjjjjjjj.uses_flat_scratch, 0
	.set _ZL17mul_mat_vec_q_moeIL9ggml_type20ELi2EEvPKvS2_PKiPfj15HIP_vector_typeIjLj3EEjjjjjjjjj.has_dyn_sized_stack, 0
	.set _ZL17mul_mat_vec_q_moeIL9ggml_type20ELi2EEvPKvS2_PKiPfj15HIP_vector_typeIjLj3EEjjjjjjjjj.has_recursion, 0
	.set _ZL17mul_mat_vec_q_moeIL9ggml_type20ELi2EEvPKvS2_PKiPfj15HIP_vector_typeIjLj3EEjjjjjjjjj.has_indirect_call, 0
	.section	.AMDGPU.csdata,"",@progbits
; Kernel info:
; codeLenInByte = 1604
; TotalNumSgprs: 26
; NumVgprs: 39
; ScratchSize: 0
; MemoryBound: 0
; FloatMode: 240
; IeeeMode: 1
; LDSByteSize: 0 bytes/workgroup (compile time only)
; SGPRBlocks: 0
; VGPRBlocks: 4
; NumSGPRsForWavesPerEU: 26
; NumVGPRsForWavesPerEU: 39
; Occupancy: 16
; WaveLimiterHint : 1
; COMPUTE_PGM_RSRC2:SCRATCH_EN: 0
; COMPUTE_PGM_RSRC2:USER_SGPR: 2
; COMPUTE_PGM_RSRC2:TRAP_HANDLER: 0
; COMPUTE_PGM_RSRC2:TGID_X_EN: 1
; COMPUTE_PGM_RSRC2:TGID_Y_EN: 1
; COMPUTE_PGM_RSRC2:TGID_Z_EN: 0
; COMPUTE_PGM_RSRC2:TIDIG_COMP_CNT: 1
	.section	.text._ZL13mul_mat_vec_qIL9ggml_type20ELi1ELb1ELb1EEvPKvS2_PKi31ggml_cuda_mm_fusion_args_devicePfj15HIP_vector_typeIjLj3EEjjjS8_jjjS8_jjjj,"axG",@progbits,_ZL13mul_mat_vec_qIL9ggml_type20ELi1ELb1ELb1EEvPKvS2_PKi31ggml_cuda_mm_fusion_args_devicePfj15HIP_vector_typeIjLj3EEjjjS8_jjjS8_jjjj,comdat
	.globl	_ZL13mul_mat_vec_qIL9ggml_type20ELi1ELb1ELb1EEvPKvS2_PKi31ggml_cuda_mm_fusion_args_devicePfj15HIP_vector_typeIjLj3EEjjjS8_jjjS8_jjjj ; -- Begin function _ZL13mul_mat_vec_qIL9ggml_type20ELi1ELb1ELb1EEvPKvS2_PKi31ggml_cuda_mm_fusion_args_devicePfj15HIP_vector_typeIjLj3EEjjjS8_jjjS8_jjjj
	.p2align	8
	.type	_ZL13mul_mat_vec_qIL9ggml_type20ELi1ELb1ELb1EEvPKvS2_PKi31ggml_cuda_mm_fusion_args_devicePfj15HIP_vector_typeIjLj3EEjjjS8_jjjS8_jjjj,@function
_ZL13mul_mat_vec_qIL9ggml_type20ELi1ELb1ELb1EEvPKvS2_PKi31ggml_cuda_mm_fusion_args_devicePfj15HIP_vector_typeIjLj3EEjjjS8_jjjS8_jjjj: ; @_ZL13mul_mat_vec_qIL9ggml_type20ELi1ELb1ELb1EEvPKvS2_PKi31ggml_cuda_mm_fusion_args_devicePfj15HIP_vector_typeIjLj3EEjjjS8_jjjS8_jjjj
; %bb.0:
	s_clause 0x3
	s_load_b256 s[8:15], s[0:1], 0x0
	s_load_b128 s[16:19], s[0:1], 0x20
	s_load_b128 s[20:23], s[0:1], 0x40
	;; [unrolled: 1-line block ×3, first 2 shown]
	s_and_b32 s27, ttmp7, 0xffff
	s_wait_kmcnt 0x0
	s_cmp_lg_u64 s[12:13], 0
	s_cselect_b32 s2, -1, 0
	s_cmp_eq_u64 s[12:13], 0
	s_cbranch_scc1 .LBB229_42
; %bb.1:
	s_lshl_b32 s3, s27, 2
	s_load_b32 s28, s[12:13], s3 offset:0x0
	s_clause 0x1
	s_load_b32 s29, s[0:1], 0x50
	s_load_b32 s30, s[0:1], 0x78
	s_cbranch_execnz .LBB229_3
.LBB229_2:
	s_load_b64 s[12:13], s[0:1], 0x5c
	s_wait_kmcnt 0x0
	s_mul_hi_u32 s3, s12, s27
	s_delay_alu instid0(SALU_CYCLE_1) | instskip(NEXT) | instid1(SALU_CYCLE_1)
	s_add_co_i32 s3, s27, s3
	s_lshr_b32 s28, s3, s13
.LBB229_3:
	s_and_not1_b32 vcc_lo, exec_lo, s2
	s_mov_b32 s3, s27
	s_mov_b32 s31, s27
	s_cbranch_vccnz .LBB229_5
; %bb.4:
	s_mul_hi_u32 s2, s21, s27
	s_wait_kmcnt 0x0
	s_mov_b32 s3, s28
	s_add_co_i32 s2, s27, s2
	s_delay_alu instid0(SALU_CYCLE_1) | instskip(NEXT) | instid1(SALU_CYCLE_1)
	s_lshr_b32 s2, s2, s22
	s_mul_i32 s2, s2, s23
	s_delay_alu instid0(SALU_CYCLE_1)
	s_sub_co_i32 s31, s27, s2
.LBB229_5:
	s_load_b96 s[24:26], s[0:1], 0x80
	v_bfe_u32 v14, v0, 10, 10
	v_dual_mov_b32 v10, 0 :: v_dual_and_b32 v9, 0x3ff, v0
	s_lshr_b32 s21, ttmp7, 16
	s_cmp_lg_u64 s[14:15], 0
	s_delay_alu instid0(VALU_DEP_1) | instskip(SKIP_4) | instid1(VALU_DEP_1)
	v_dual_mov_b32 v11, 0 :: v_dual_lshlrev_b32 v8, 2, v9
	v_or_b32_e32 v0, v9, v14
	s_cselect_b32 s2, -1, 0
	s_mov_b32 s23, 0
	s_mul_i32 s12, s3, s6
	v_cmp_eq_u32_e32 vcc_lo, 0, v0
	s_and_b32 s13, s2, vcc_lo
	s_delay_alu instid0(SALU_CYCLE_1)
	s_and_saveexec_b32 s3, s13
	s_cbranch_execz .LBB229_7
; %bb.6:
	s_wait_kmcnt 0x0
	s_mul_i32 s22, s26, s21
	s_mov_b32 s13, s23
	s_lshl_b64 s[36:37], s[22:23], 2
	s_mov_b32 s34, ttmp9
	s_add_nc_u64 s[14:15], s[14:15], s[36:37]
	s_lshl_b64 s[22:23], s[12:13], 2
	s_ashr_i32 s35, ttmp9, 31
	s_add_nc_u64 s[14:15], s[14:15], s[22:23]
	s_lshl_b64 s[22:23], s[34:35], 2
	s_delay_alu instid0(SALU_CYCLE_1)
	s_add_nc_u64 s[14:15], s[14:15], s[22:23]
	global_load_b32 v11, v8, s[14:15]
.LBB229_7:
	s_or_b32 exec_lo, exec_lo, s3
	s_cmp_lg_u64 s[16:17], 0
	s_cselect_b32 s14, -1, 0
	s_cmp_lg_u64 s[18:19], 0
	s_cselect_b32 s3, -1, 0
	s_delay_alu instid0(SALU_CYCLE_1) | instskip(NEXT) | instid1(SALU_CYCLE_1)
	s_and_b32 s13, s3, s14
	s_and_b32 s13, s13, vcc_lo
	s_delay_alu instid0(SALU_CYCLE_1)
	s_and_saveexec_b32 s15, s13
	s_cbranch_execz .LBB229_9
; %bb.8:
	s_wait_kmcnt 0x0
	s_mul_i32 s34, s26, s21
	s_mov_b32 s35, 0
	s_mov_b32 s22, ttmp9
	s_lshl_b64 s[36:37], s[34:35], 2
	s_mov_b32 s13, s35
	s_add_nc_u64 s[18:19], s[18:19], s[36:37]
	s_lshl_b64 s[12:13], s[12:13], 2
	s_ashr_i32 s23, ttmp9, 31
	s_add_nc_u64 s[12:13], s[18:19], s[12:13]
	s_lshl_b64 s[18:19], s[22:23], 2
	s_delay_alu instid0(SALU_CYCLE_1)
	s_add_nc_u64 s[12:13], s[12:13], s[18:19]
	global_load_b32 v10, v8, s[12:13]
.LBB229_9:
	s_or_b32 exec_lo, exec_lo, s15
	v_dual_mov_b32 v15, 0 :: v_dual_lshlrev_b32 v0, 5, v14
	v_cndmask_b32_e64 v12, 0, 1, s14
	s_lshr_b32 s15, s20, 5
	s_mov_b32 s18, exec_lo
	s_delay_alu instid0(VALU_DEP_2) | instskip(SKIP_1) | instid1(VALU_DEP_2)
	v_add_nc_u16 v1, v0, v9
	v_mov_b32_e32 v13, 0
	v_lshrrev_b16 v1, 1, v1
	s_delay_alu instid0(VALU_DEP_1) | instskip(SKIP_1) | instid1(VALU_DEP_1)
	v_and_b32_e32 v16, 0xffff, v1
	s_wait_alu 0xfffe
	v_cmpx_gt_u32_e64 s15, v16
	s_cbranch_execz .LBB229_15
; %bb.10:
	s_mul_hi_u32 s7, s7, s21
	v_dual_mov_b32 v15, 0 :: v_dual_add_nc_u32 v0, v0, v9
	s_add_co_i32 s7, s21, s7
	s_wait_kmcnt 0x0
	s_mul_i32 s12, s25, s21
	s_mov_b32 s13, 0
	s_mul_i32 s22, s31, s5
	s_lshr_b32 s5, s7, s30
	s_mov_b32 s23, s13
	s_mul_i32 s5, s5, s24
	s_mul_u64 s[24:25], s[12:13], 36
	v_lshrrev_b32_e32 v0, 1, v0
	s_mul_u64 s[22:23], s[22:23], 36
	s_add_nc_u64 s[10:11], s[10:11], s[24:25]
	v_dual_mov_b32 v13, 0 :: v_dual_and_b32 v2, 4, v8
	v_and_b32_e32 v3, 1, v9
	s_add_nc_u64 s[10:11], s[10:11], s[22:23]
	s_mul_i32 s29, s29, ttmp9
	v_mad_co_u64_u32 v[0:1], null, v0, 36, s[10:11]
	s_delay_alu instid0(VALU_DEP_2)
	v_lshlrev_b32_e32 v17, 3, v3
	v_lshlrev_b32_e32 v18, 1, v2
	s_mul_i32 s4, s28, s4
	s_add_co_i32 s5, s5, s29
	s_mov_b32 s7, 0xf6eaddcf
	s_add_co_i32 s5, s4, s5
	s_mov_b32 s10, 0x71594535
	s_mov_b32 s11, 0x4040404
	s_branch .LBB229_12
.LBB229_11:                             ;   in Loop: Header=BB229_12 Depth=1
	s_wait_loadcnt 0x1
	v_and_b32_e32 v21, 0x7070707, v6
	v_ashrrev_i32_e32 v22, 4, v6
	v_lshrrev_b32_e32 v6, 1, v6
	v_add_nc_u32_e32 v16, 0x80, v16
	v_add_co_u32 v0, s4, 0x1200, v0
	v_perm_b32 v23, s7, 0xbfad9881, v21
	v_perm_b32 v21, s10, 0x26190d01, v21
	v_and_or_b32 v6, v6, s11, 0x3020100
	v_and_b32_e32 v24, 0x7070707, v22
	v_lshrrev_b32_e32 v22, 1, v22
	v_cmp_le_u32_e32 vcc_lo, s15, v16
	s_wait_alu 0xf1ff
	v_add_co_ci_u32_e64 v1, null, 0, v1, s4
	v_perm_b32 v6, v21, v23, v6
	v_perm_b32 v25, s7, 0xbfad9881, v24
	;; [unrolled: 1-line block ×3, first 2 shown]
	v_and_or_b32 v22, v22, s11, 0x3020100
	v_and_b32_e32 v21, 0x7070707, v7
	v_ashrrev_i32_e32 v23, 4, v7
	v_dot4_i32_iu8 v4, v6, v4, 0 neg_lo:[1,1,0]
	v_lshrrev_b32_e32 v6, 1, v7
	v_perm_b32 v22, v24, v25, v22
	v_perm_b32 v7, s7, 0xbfad9881, v21
	v_and_b32_e32 v24, 0x7070707, v23
	v_perm_b32 v21, s10, 0x26190d01, v21
	v_lshrrev_b32_e32 v23, 1, v23
	v_and_or_b32 v6, v6, s11, 0x3020100
	v_dot4_i32_iu8 v2, v22, v2, v4 neg_lo:[1,1,0]
	v_perm_b32 v4, s7, 0xbfad9881, v24
	v_perm_b32 v22, s10, 0x26190d01, v24
	v_and_or_b32 v23, v23, s11, 0x3020100
	v_perm_b32 v6, v21, v7, v6
	s_or_b32 s13, vcc_lo, s13
	s_delay_alu instid0(VALU_DEP_2) | instskip(NEXT) | instid1(VALU_DEP_2)
	v_perm_b32 v4, v22, v4, v23
	v_dot4_i32_iu8 v2, v6, v5, v2 neg_lo:[1,1,0]
	s_wait_loadcnt 0x0
	v_cvt_f32_f16_e32 v5, v20
	s_delay_alu instid0(VALU_DEP_2) | instskip(NEXT) | instid1(VALU_DEP_2)
	v_dot4_i32_iu8 v2, v4, v3, v2 neg_lo:[1,1,0]
	v_mul_f32_e32 v3, v5, v19
	s_delay_alu instid0(VALU_DEP_2) | instskip(NEXT) | instid1(VALU_DEP_1)
	v_cvt_f32_i32_e32 v2, v2
	v_fmac_f32_e32 v15, v3, v2
	s_and_not1_b32 exec_lo, exec_lo, s13
	s_cbranch_execz .LBB229_14
.LBB229_12:                             ; =>This Inner Loop Header: Depth=1
	v_add_nc_u32_e32 v21, s5, v16
	v_add_co_u32 v2, vcc_lo, v0, v17
	s_wait_alu 0xfffd
	v_add_co_ci_u32_e64 v3, null, 0, v1, vcc_lo
	s_delay_alu instid0(VALU_DEP_3) | instskip(NEXT) | instid1(VALU_DEP_1)
	v_mad_co_i64_i32 v[19:20], null, v21, 18, s[8:9]
	v_add_co_u32 v6, vcc_lo, v19, v18
	s_wait_alu 0xfffd
	s_delay_alu instid0(VALU_DEP_2)
	v_add_co_ci_u32_e64 v7, null, 0, v20, vcc_lo
	s_clause 0x2
	global_load_b32 v22, v[0:1], off
	global_load_b64 v[4:5], v[2:3], off offset:4
	global_load_b64 v[2:3], v[2:3], off offset:20
	s_clause 0x1
	global_load_b64 v[6:7], v[6:7], off offset:2
	global_load_u16 v20, v[19:20], off
	s_and_not1_b32 vcc_lo, exec_lo, s14
	s_wait_loadcnt 0x4
	v_cvt_f32_f16_e32 v19, v22
	s_wait_alu 0xfffe
	s_cbranch_vccnz .LBB229_11
; %bb.13:                               ;   in Loop: Header=BB229_12 Depth=1
	v_mad_co_i64_i32 v[21:22], null, v21, 18, s[16:17]
	s_delay_alu instid0(VALU_DEP_1) | instskip(SKIP_1) | instid1(VALU_DEP_2)
	v_add_co_u32 v23, vcc_lo, v21, v18
	s_wait_alu 0xfffd
	v_add_co_ci_u32_e64 v24, null, 0, v22, vcc_lo
	s_clause 0x1
	global_load_b64 v[23:24], v[23:24], off offset:2
	global_load_u16 v21, v[21:22], off
	s_wait_loadcnt 0x1
	v_ashrrev_i32_e32 v22, 4, v23
	v_and_b32_e32 v25, 0x7070707, v23
	v_lshrrev_b32_e32 v23, 1, v23
	v_ashrrev_i32_e32 v26, 4, v24
	v_and_b32_e32 v27, 0x7070707, v24
	v_and_b32_e32 v29, 0x7070707, v22
	v_perm_b32 v28, s7, 0xbfad9881, v25
	v_perm_b32 v25, s10, 0x26190d01, v25
	v_lshrrev_b32_e32 v22, 1, v22
	v_and_or_b32 v23, v23, s11, 0x3020100
	v_lshrrev_b32_e32 v24, 1, v24
	v_perm_b32 v31, s7, 0xbfad9881, v29
	v_perm_b32 v29, s10, 0x26190d01, v29
	v_and_or_b32 v22, v22, s11, 0x3020100
	v_perm_b32 v23, v25, v28, v23
	v_perm_b32 v30, s7, 0xbfad9881, v27
	v_and_b32_e32 v25, 0x7070707, v26
	v_perm_b32 v27, s10, 0x26190d01, v27
	v_lshrrev_b32_e32 v26, 1, v26
	v_perm_b32 v22, v29, v31, v22
	v_dot4_i32_iu8 v23, v23, v4, 0 neg_lo:[1,1,0]
	v_and_or_b32 v24, v24, s11, 0x3020100
	v_perm_b32 v28, s7, 0xbfad9881, v25
	v_perm_b32 v25, s10, 0x26190d01, v25
	v_and_or_b32 v26, v26, s11, 0x3020100
	v_dot4_i32_iu8 v22, v22, v2, v23 neg_lo:[1,1,0]
	v_perm_b32 v23, v27, v30, v24
	s_wait_loadcnt 0x0
	v_cvt_f32_f16_e32 v21, v21
	v_perm_b32 v24, v25, v28, v26
	s_delay_alu instid0(VALU_DEP_3) | instskip(NEXT) | instid1(VALU_DEP_3)
	v_dot4_i32_iu8 v22, v23, v5, v22 neg_lo:[1,1,0]
	v_mul_f32_e32 v21, v19, v21
	s_delay_alu instid0(VALU_DEP_2) | instskip(NEXT) | instid1(VALU_DEP_1)
	v_dot4_i32_iu8 v22, v24, v3, v22 neg_lo:[1,1,0]
	v_cvt_f32_i32_e32 v22, v22
	s_delay_alu instid0(VALU_DEP_1)
	v_fmac_f32_e32 v13, v21, v22
	s_branch .LBB229_11
.LBB229_14:
	s_or_b32 exec_lo, exec_lo, s13
.LBB229_15:
	s_delay_alu instid0(SALU_CYCLE_1)
	s_or_b32 exec_lo, exec_lo, s18
	s_load_b32 s5, s[0:1], 0x30
	v_cmp_eq_u32_e64 s4, 0, v14
	s_mov_b32 s7, exec_lo
	v_cmpx_ne_u32_e32 0, v14
	s_cbranch_execz .LBB229_19
; %bb.16:
	v_add_nc_u32_e32 v0, -1, v14
	s_and_b32 vcc_lo, exec_lo, s14
	s_delay_alu instid0(VALU_DEP_1)
	v_lshlrev_b32_e32 v0, 7, v0
	s_wait_alu 0xfffe
	s_cbranch_vccz .LBB229_18
; %bb.17:
	s_delay_alu instid0(VALU_DEP_1)
	v_lshl_add_u32 v1, v9, 2, v0
	ds_store_b32 v1, v13 offset:896
.LBB229_18:
	s_delay_alu instid0(VALU_DEP_1)
	v_lshl_add_u32 v0, v9, 2, v0
	ds_store_b32 v0, v15
.LBB229_19:
	s_wait_alu 0xfffe
	s_or_b32 exec_lo, exec_lo, s7
	s_wait_loadcnt_dscnt 0x0
	s_barrier_signal -1
	s_barrier_wait -1
	global_inv scope:SCOPE_SE
	s_and_saveexec_b32 s7, s4
	s_cbranch_execz .LBB229_61
; %bb.20:
	ds_load_b32 v0, v8
	v_cmp_ne_u32_e32 vcc_lo, 1, v12
	v_add_nc_u32_e32 v1, 0x380, v8
	s_cbranch_vccnz .LBB229_22
; %bb.21:
	ds_load_b32 v2, v1
	s_wait_dscnt 0x0
	v_add_f32_e32 v13, v13, v2
.LBB229_22:
	ds_load_b32 v2, v8 offset:128
	v_cmp_ne_u32_e32 vcc_lo, 1, v12
	s_cbranch_vccnz .LBB229_24
; %bb.23:
	ds_load_b32 v3, v1 offset:128
	s_wait_dscnt 0x0
	v_add_f32_e32 v13, v13, v3
.LBB229_24:
	ds_load_b32 v3, v8 offset:256
	v_cmp_ne_u32_e32 vcc_lo, 1, v12
	s_cbranch_vccnz .LBB229_26
; %bb.25:
	ds_load_b32 v4, v1 offset:256
	s_wait_dscnt 0x0
	v_add_f32_e32 v13, v13, v4
.LBB229_26:
	;; [unrolled: 8-line block ×6, first 2 shown]
	v_mbcnt_lo_u32_b32 v1, -1, 0
	s_wait_dscnt 0x6
	v_add_f32_e32 v0, v15, v0
	s_wait_dscnt 0x5
	s_delay_alu instid0(VALU_DEP_1) | instskip(SKIP_2) | instid1(VALU_DEP_2)
	v_add_f32_e32 v0, v0, v2
	v_xor_b32_e32 v2, 16, v1
	s_wait_dscnt 0x4
	v_add_f32_e32 v0, v0, v3
	s_delay_alu instid0(VALU_DEP_2) | instskip(SKIP_2) | instid1(VALU_DEP_3)
	v_cmp_gt_i32_e32 vcc_lo, 32, v2
	v_xor_b32_e32 v3, 8, v1
	s_wait_dscnt 0x3
	v_add_f32_e32 v0, v0, v4
	s_wait_alu 0xfffd
	v_cndmask_b32_e32 v2, v1, v2, vcc_lo
	v_cmp_gt_i32_e32 vcc_lo, 32, v3
	s_wait_dscnt 0x2
	s_wait_alu 0xfffd
	v_dual_add_f32 v0, v0, v5 :: v_dual_cndmask_b32 v3, v1, v3
	s_wait_dscnt 0x1
	s_delay_alu instid0(VALU_DEP_1) | instskip(SKIP_1) | instid1(VALU_DEP_1)
	v_dual_add_f32 v0, v0, v6 :: v_dual_lshlrev_b32 v3, 2, v3
	s_wait_dscnt 0x0
	v_add_f32_e32 v4, v0, v7
	v_lshlrev_b32_e32 v0, 2, v2
	ds_bpermute_b32 v2, v0, v4
	s_wait_dscnt 0x0
	v_add_f32_e32 v2, v4, v2
	v_xor_b32_e32 v4, 4, v1
	ds_bpermute_b32 v5, v3, v2
	v_cmp_gt_i32_e32 vcc_lo, 32, v4
	s_wait_alu 0xfffd
	v_cndmask_b32_e32 v4, v1, v4, vcc_lo
	s_delay_alu instid0(VALU_DEP_1)
	v_lshlrev_b32_e32 v4, 2, v4
	s_wait_dscnt 0x0
	v_add_f32_e32 v2, v2, v5
	v_xor_b32_e32 v5, 2, v1
	ds_bpermute_b32 v6, v4, v2
	v_cmp_gt_i32_e32 vcc_lo, 32, v5
	s_wait_alu 0xfffd
	v_cndmask_b32_e32 v5, v1, v5, vcc_lo
	s_wait_dscnt 0x0
	s_delay_alu instid0(VALU_DEP_1)
	v_dual_add_f32 v2, v2, v6 :: v_dual_lshlrev_b32 v5, 2, v5
	v_xor_b32_e32 v6, 1, v1
	ds_bpermute_b32 v7, v5, v2
	v_cmp_gt_i32_e32 vcc_lo, 32, v6
	s_wait_alu 0xfffd
	v_cndmask_b32_e32 v1, v1, v6, vcc_lo
	v_cmp_ne_u32_e32 vcc_lo, 1, v12
	s_delay_alu instid0(VALU_DEP_2)
	v_lshlrev_b32_e32 v6, 2, v1
	s_wait_dscnt 0x0
	v_add_f32_e32 v1, v2, v7
	ds_bpermute_b32 v2, v6, v1
	s_cbranch_vccnz .LBB229_36
; %bb.35:
	ds_bpermute_b32 v0, v0, v13
	s_wait_dscnt 0x0
	v_add_f32_e32 v0, v13, v0
	ds_bpermute_b32 v3, v3, v0
	s_wait_dscnt 0x0
	v_add_f32_e32 v0, v0, v3
	;; [unrolled: 3-line block ×5, first 2 shown]
.LBB229_36:
	v_cmp_eq_u32_e32 vcc_lo, 0, v9
	s_and_b32 exec_lo, exec_lo, vcc_lo
	s_cbranch_execz .LBB229_61
; %bb.37:
	s_wait_dscnt 0x0
	v_add_f32_e32 v0, v1, v2
	v_cmp_ne_u32_e32 vcc_lo, 1, v12
	s_delay_alu instid0(VALU_DEP_2) | instskip(NEXT) | instid1(VALU_DEP_1)
	v_add_f32_e32 v1, v11, v0
	v_cndmask_b32_e64 v0, v0, v1, s2
	s_cbranch_vccnz .LBB229_60
; %bb.38:
	v_add_f32_e32 v1, v10, v13
	s_wait_kmcnt 0x0
	s_cmp_lt_i32 s5, 2
	s_mov_b32 s2, 0
	s_delay_alu instid0(VALU_DEP_1)
	v_cndmask_b32_e64 v1, v13, v1, s3
	s_cbranch_scc1 .LBB229_43
; %bb.39:
	s_cmp_gt_i32 s5, 2
	s_cbranch_scc0 .LBB229_44
; %bb.40:
	s_cmp_eq_u32 s5, 3
	s_cbranch_scc0 .LBB229_45
; %bb.41:
	v_max_num_f32_e32 v2, v1, v1
	s_mov_b32 s3, 0xc0e00000
	s_delay_alu instid0(VALU_DEP_1) | instskip(NEXT) | instid1(VALU_DEP_1)
	v_min_num_f32_e32 v2, 0x40e00000, v2
	v_mul_f32_e32 v3, 0xbfd9db23, v2
	s_delay_alu instid0(VALU_DEP_1) | instskip(NEXT) | instid1(VALU_DEP_1)
	v_mul_f32_e32 v4, 0x3fb8aa3b, v3
	v_fma_f32 v5, 0x3fb8aa3b, v3, -v4
	v_rndne_f32_e32 v6, v4
	s_delay_alu instid0(VALU_DEP_1) | instskip(NEXT) | instid1(VALU_DEP_1)
	v_dual_fmamk_f32 v5, v3, 0x32a5705f, v5 :: v_dual_sub_f32 v4, v4, v6
	v_add_f32_e32 v4, v4, v5
	v_cvt_i32_f32_e32 v5, v6
	v_cmp_ngt_f32_e32 vcc_lo, 0xc2ce8ed0, v3
	s_delay_alu instid0(VALU_DEP_3) | instskip(NEXT) | instid1(TRANS32_DEP_1)
	v_exp_f32_e32 v4, v4
	v_ldexp_f32 v4, v4, v5
	s_wait_alu 0xfffd
	s_delay_alu instid0(VALU_DEP_1) | instskip(SKIP_2) | instid1(VALU_DEP_2)
	v_cndmask_b32_e32 v4, 0, v4, vcc_lo
	v_cmp_nlt_f32_e32 vcc_lo, 0x42b17218, v3
	s_wait_alu 0xfffd
	v_cndmask_b32_e32 v3, 0x7f800000, v4, vcc_lo
	s_delay_alu instid0(VALU_DEP_1) | instskip(NEXT) | instid1(VALU_DEP_1)
	v_add_f32_e32 v3, 1.0, v3
	v_div_scale_f32 v4, null, v3, v3, v2
	v_div_scale_f32 v7, vcc_lo, v2, v3, v2
	s_delay_alu instid0(VALU_DEP_2) | instskip(NEXT) | instid1(TRANS32_DEP_1)
	v_rcp_f32_e32 v5, v4
	v_fma_f32 v6, -v4, v5, 1.0
	s_delay_alu instid0(VALU_DEP_1) | instskip(NEXT) | instid1(VALU_DEP_1)
	v_fmac_f32_e32 v5, v6, v5
	v_mul_f32_e32 v6, v7, v5
	s_delay_alu instid0(VALU_DEP_1) | instskip(NEXT) | instid1(VALU_DEP_1)
	v_fma_f32 v9, -v4, v6, v7
	v_fmac_f32_e32 v6, v9, v5
	s_delay_alu instid0(VALU_DEP_1) | instskip(SKIP_2) | instid1(VALU_DEP_2)
	v_fma_f32 v4, -v4, v6, v7
	v_max_num_f32_e32 v7, v0, v0
	s_wait_alu 0xfffd
	v_div_fmas_f32 v4, v4, v5, v6
	s_wait_alu 0xfffe
	s_delay_alu instid0(VALU_DEP_2) | instskip(SKIP_1) | instid1(VALU_DEP_2)
	v_minmax_num_f32 v5, v7, 0x40e00000, s3
	s_mov_b32 s3, 0
	v_div_fixup_f32 v2, v4, v3, v2
	s_delay_alu instid0(VALU_DEP_2) | instskip(NEXT) | instid1(VALU_DEP_1)
	v_add_f32_e32 v3, 1.0, v5
	v_mul_f32_e32 v2, v3, v2
	s_branch .LBB229_46
.LBB229_42:
                                        ; implicit-def: $sgpr28
	s_clause 0x1
	s_load_b32 s29, s[0:1], 0x50
	s_load_b32 s30, s[0:1], 0x78
	s_branch .LBB229_2
.LBB229_43:
	s_mov_b32 s3, 0
                                        ; implicit-def: $vgpr2
	s_cbranch_execnz .LBB229_50
	s_branch .LBB229_51
.LBB229_44:
	s_mov_b32 s4, -1
	s_mov_b32 s3, 0
                                        ; implicit-def: $vgpr2
	s_branch .LBB229_47
.LBB229_45:
	s_mov_b32 s3, -1
                                        ; implicit-def: $vgpr2
.LBB229_46:
	s_mov_b32 s4, 0
.LBB229_47:
	s_wait_alu 0xfffe
	s_and_b32 vcc_lo, exec_lo, s4
	s_wait_alu 0xfffe
	s_cbranch_vccz .LBB229_49
; %bb.48:
	v_mul_f32_e32 v2, 0xbfb8aa3b, v1
	v_cmp_nlt_f32_e32 vcc_lo, 0x42ce8ed0, v1
	s_delay_alu instid0(VALU_DEP_2) | instskip(SKIP_1) | instid1(VALU_DEP_2)
	v_rndne_f32_e32 v3, v2
	v_fma_f32 v4, 0xbfb8aa3b, v1, -v2
	v_sub_f32_e32 v2, v2, v3
	s_delay_alu instid0(VALU_DEP_2) | instskip(SKIP_1) | instid1(VALU_DEP_2)
	v_fmamk_f32 v4, v1, 0xb2a5705f, v4
	v_cvt_i32_f32_e32 v3, v3
	v_add_f32_e32 v2, v2, v4
	s_delay_alu instid0(VALU_DEP_1) | instskip(NEXT) | instid1(TRANS32_DEP_1)
	v_exp_f32_e32 v2, v2
	v_ldexp_f32 v2, v2, v3
	s_wait_alu 0xfffd
	s_delay_alu instid0(VALU_DEP_1) | instskip(SKIP_2) | instid1(VALU_DEP_2)
	v_cndmask_b32_e32 v2, 0, v2, vcc_lo
	v_cmp_ngt_f32_e32 vcc_lo, 0xc2b17218, v1
	s_wait_alu 0xfffd
	v_cndmask_b32_e32 v2, 0x7f800000, v2, vcc_lo
	s_delay_alu instid0(VALU_DEP_1) | instskip(NEXT) | instid1(VALU_DEP_1)
	v_add_f32_e32 v2, 1.0, v2
	v_div_scale_f32 v3, null, v2, v2, v1
	s_delay_alu instid0(VALU_DEP_1) | instskip(NEXT) | instid1(TRANS32_DEP_1)
	v_rcp_f32_e32 v4, v3
	v_fma_f32 v5, -v3, v4, 1.0
	s_delay_alu instid0(VALU_DEP_1) | instskip(SKIP_1) | instid1(VALU_DEP_1)
	v_fmac_f32_e32 v4, v5, v4
	v_div_scale_f32 v5, vcc_lo, v1, v2, v1
	v_mul_f32_e32 v6, v5, v4
	s_delay_alu instid0(VALU_DEP_1) | instskip(NEXT) | instid1(VALU_DEP_1)
	v_fma_f32 v7, -v3, v6, v5
	v_fmac_f32_e32 v6, v7, v4
	s_delay_alu instid0(VALU_DEP_1) | instskip(SKIP_1) | instid1(VALU_DEP_1)
	v_fma_f32 v3, -v3, v6, v5
	s_wait_alu 0xfffd
	v_div_fmas_f32 v3, v3, v4, v6
	s_delay_alu instid0(VALU_DEP_1) | instskip(NEXT) | instid1(VALU_DEP_1)
	v_div_fixup_f32 v2, v3, v2, v1
	v_mul_f32_e32 v2, v0, v2
.LBB229_49:
	s_branch .LBB229_51
.LBB229_50:
	s_cmp_lg_u32 s5, 1
	s_mov_b32 s2, -1
	s_cselect_b32 s3, -1, 0
.LBB229_51:
	s_wait_alu 0xfffe
	s_and_not1_b32 vcc_lo, exec_lo, s3
	s_wait_alu 0xfffe
	s_cbranch_vccz .LBB229_53
; %bb.52:
	s_and_not1_b32 vcc_lo, exec_lo, s2
	s_wait_alu 0xfffe
	s_cbranch_vccz .LBB229_54
	s_branch .LBB229_59
.LBB229_53:
	v_mul_f32_e32 v2, v1, v0
	s_cbranch_execnz .LBB229_59
.LBB229_54:
	v_mul_f32_e32 v2, 0x3d372713, v1
	v_mul_f32_e32 v3, 0x3f4c422a, v1
	s_delay_alu instid0(VALU_DEP_2) | instskip(NEXT) | instid1(VALU_DEP_1)
	v_fma_f32 v2, v1, v2, 1.0
	v_mul_f32_e32 v2, v3, v2
                                        ; implicit-def: $vgpr3
	s_delay_alu instid0(VALU_DEP_1)
	v_cmp_ngt_f32_e64 s2, 0x3f200000, |v2|
	s_and_saveexec_b32 s3, s2
	s_wait_alu 0xfffe
	s_xor_b32 s2, exec_lo, s3
	s_cbranch_execz .LBB229_56
; %bb.55:
	v_add_f32_e64 v3, |v2|, |v2|
	s_delay_alu instid0(VALU_DEP_1) | instskip(SKIP_1) | instid1(VALU_DEP_2)
	v_mul_f32_e32 v4, 0x3fb8aa3b, v3
	v_cmp_ngt_f32_e32 vcc_lo, 0xc2ce8ed0, v3
	v_rndne_f32_e32 v5, v4
	v_fma_f32 v6, 0x3fb8aa3b, v3, -v4
	s_delay_alu instid0(VALU_DEP_2) | instskip(NEXT) | instid1(VALU_DEP_2)
	v_sub_f32_e32 v4, v4, v5
	v_fmamk_f32 v6, v3, 0x32a5705f, v6
	v_cvt_i32_f32_e32 v5, v5
	s_delay_alu instid0(VALU_DEP_2) | instskip(NEXT) | instid1(VALU_DEP_1)
	v_add_f32_e32 v4, v4, v6
	v_exp_f32_e32 v4, v4
	s_delay_alu instid0(TRANS32_DEP_1) | instskip(SKIP_1) | instid1(VALU_DEP_1)
	v_ldexp_f32 v4, v4, v5
	s_wait_alu 0xfffd
	v_cndmask_b32_e32 v4, 0, v4, vcc_lo
	v_cmp_nlt_f32_e32 vcc_lo, 0x42b17218, v3
	s_wait_alu 0xfffd
	s_delay_alu instid0(VALU_DEP_2) | instskip(NEXT) | instid1(VALU_DEP_1)
	v_cndmask_b32_e32 v3, 0x7f800000, v4, vcc_lo
	v_add_f32_e32 v3, 1.0, v3
	s_delay_alu instid0(VALU_DEP_1) | instskip(NEXT) | instid1(TRANS32_DEP_1)
	v_rcp_f32_e32 v3, v3
	v_fma_f32 v3, v3, -2.0, 1.0
.LBB229_56:
	s_wait_alu 0xfffe
	s_and_not1_saveexec_b32 s2, s2
	s_cbranch_execz .LBB229_58
; %bb.57:
	v_mul_f32_e32 v3, v2, v2
	s_mov_b32 s3, 0xbbbac73d
	s_wait_alu 0xfffe
	s_delay_alu instid0(VALU_DEP_1) | instskip(NEXT) | instid1(VALU_DEP_1)
	v_fmaak_f32 v4, s3, v3, 0x3ca908c9
	v_fmaak_f32 v4, v3, v4, 0xbd5c1c4e
	s_delay_alu instid0(VALU_DEP_1) | instskip(NEXT) | instid1(VALU_DEP_1)
	v_fmaak_f32 v4, v3, v4, 0x3e088382
	v_fmaak_f32 v4, v3, v4, 0xbeaaaa99
	s_delay_alu instid0(VALU_DEP_1) | instskip(NEXT) | instid1(VALU_DEP_1)
	v_mul_f32_e64 v4, |v2|, v4
	v_fma_f32 v3, v3, v4, |v2|
.LBB229_58:
	s_wait_alu 0xfffe
	s_or_b32 exec_lo, exec_lo, s2
	s_delay_alu instid0(VALU_DEP_1) | instskip(NEXT) | instid1(VALU_DEP_1)
	v_bfi_b32 v2, 0x7fffffff, v3, v2
	v_dual_mul_f32 v1, 0.5, v1 :: v_dual_add_f32 v2, 1.0, v2
	s_delay_alu instid0(VALU_DEP_1) | instskip(NEXT) | instid1(VALU_DEP_1)
	v_mul_f32_e32 v1, v1, v2
	v_mul_f32_e32 v2, v0, v1
.LBB229_59:
	s_delay_alu instid0(VALU_DEP_1)
	v_mov_b32_e32 v0, v2
.LBB229_60:
	s_load_b64 s[0:1], s[0:1], 0x38
	s_mul_i32 s2, s6, s27
	s_wait_kmcnt 0x0
	s_mul_i32 s3, s26, s21
	s_wait_alu 0xfffe
	s_add_co_i32 s2, s2, ttmp9
	s_wait_alu 0xfffe
	s_add_co_i32 s2, s2, s3
	s_mov_b32 s3, 0
	s_wait_alu 0xfffe
	s_lshl_b64 s[2:3], s[2:3], 2
	s_wait_alu 0xfffe
	s_add_nc_u64 s[0:1], s[0:1], s[2:3]
	global_store_b32 v8, v0, s[0:1]
.LBB229_61:
	s_endpgm
	.section	.rodata,"a",@progbits
	.p2align	6, 0x0
	.amdhsa_kernel _ZL13mul_mat_vec_qIL9ggml_type20ELi1ELb1ELb1EEvPKvS2_PKi31ggml_cuda_mm_fusion_args_devicePfj15HIP_vector_typeIjLj3EEjjjS8_jjjS8_jjjj
		.amdhsa_group_segment_fixed_size 1792
		.amdhsa_private_segment_fixed_size 0
		.amdhsa_kernarg_size 144
		.amdhsa_user_sgpr_count 2
		.amdhsa_user_sgpr_dispatch_ptr 0
		.amdhsa_user_sgpr_queue_ptr 0
		.amdhsa_user_sgpr_kernarg_segment_ptr 1
		.amdhsa_user_sgpr_dispatch_id 0
		.amdhsa_user_sgpr_private_segment_size 0
		.amdhsa_wavefront_size32 1
		.amdhsa_uses_dynamic_stack 0
		.amdhsa_enable_private_segment 0
		.amdhsa_system_sgpr_workgroup_id_x 1
		.amdhsa_system_sgpr_workgroup_id_y 1
		.amdhsa_system_sgpr_workgroup_id_z 1
		.amdhsa_system_sgpr_workgroup_info 0
		.amdhsa_system_vgpr_workitem_id 1
		.amdhsa_next_free_vgpr 32
		.amdhsa_next_free_sgpr 38
		.amdhsa_reserve_vcc 1
		.amdhsa_float_round_mode_32 0
		.amdhsa_float_round_mode_16_64 0
		.amdhsa_float_denorm_mode_32 3
		.amdhsa_float_denorm_mode_16_64 3
		.amdhsa_fp16_overflow 0
		.amdhsa_workgroup_processor_mode 1
		.amdhsa_memory_ordered 1
		.amdhsa_forward_progress 1
		.amdhsa_inst_pref_size 27
		.amdhsa_round_robin_scheduling 0
		.amdhsa_exception_fp_ieee_invalid_op 0
		.amdhsa_exception_fp_denorm_src 0
		.amdhsa_exception_fp_ieee_div_zero 0
		.amdhsa_exception_fp_ieee_overflow 0
		.amdhsa_exception_fp_ieee_underflow 0
		.amdhsa_exception_fp_ieee_inexact 0
		.amdhsa_exception_int_div_zero 0
	.end_amdhsa_kernel
	.section	.text._ZL13mul_mat_vec_qIL9ggml_type20ELi1ELb1ELb1EEvPKvS2_PKi31ggml_cuda_mm_fusion_args_devicePfj15HIP_vector_typeIjLj3EEjjjS8_jjjS8_jjjj,"axG",@progbits,_ZL13mul_mat_vec_qIL9ggml_type20ELi1ELb1ELb1EEvPKvS2_PKi31ggml_cuda_mm_fusion_args_devicePfj15HIP_vector_typeIjLj3EEjjjS8_jjjS8_jjjj,comdat
.Lfunc_end229:
	.size	_ZL13mul_mat_vec_qIL9ggml_type20ELi1ELb1ELb1EEvPKvS2_PKi31ggml_cuda_mm_fusion_args_devicePfj15HIP_vector_typeIjLj3EEjjjS8_jjjS8_jjjj, .Lfunc_end229-_ZL13mul_mat_vec_qIL9ggml_type20ELi1ELb1ELb1EEvPKvS2_PKi31ggml_cuda_mm_fusion_args_devicePfj15HIP_vector_typeIjLj3EEjjjS8_jjjS8_jjjj
                                        ; -- End function
	.set _ZL13mul_mat_vec_qIL9ggml_type20ELi1ELb1ELb1EEvPKvS2_PKi31ggml_cuda_mm_fusion_args_devicePfj15HIP_vector_typeIjLj3EEjjjS8_jjjS8_jjjj.num_vgpr, 32
	.set _ZL13mul_mat_vec_qIL9ggml_type20ELi1ELb1ELb1EEvPKvS2_PKi31ggml_cuda_mm_fusion_args_devicePfj15HIP_vector_typeIjLj3EEjjjS8_jjjS8_jjjj.num_agpr, 0
	.set _ZL13mul_mat_vec_qIL9ggml_type20ELi1ELb1ELb1EEvPKvS2_PKi31ggml_cuda_mm_fusion_args_devicePfj15HIP_vector_typeIjLj3EEjjjS8_jjjS8_jjjj.numbered_sgpr, 38
	.set _ZL13mul_mat_vec_qIL9ggml_type20ELi1ELb1ELb1EEvPKvS2_PKi31ggml_cuda_mm_fusion_args_devicePfj15HIP_vector_typeIjLj3EEjjjS8_jjjS8_jjjj.num_named_barrier, 0
	.set _ZL13mul_mat_vec_qIL9ggml_type20ELi1ELb1ELb1EEvPKvS2_PKi31ggml_cuda_mm_fusion_args_devicePfj15HIP_vector_typeIjLj3EEjjjS8_jjjS8_jjjj.private_seg_size, 0
	.set _ZL13mul_mat_vec_qIL9ggml_type20ELi1ELb1ELb1EEvPKvS2_PKi31ggml_cuda_mm_fusion_args_devicePfj15HIP_vector_typeIjLj3EEjjjS8_jjjS8_jjjj.uses_vcc, 1
	.set _ZL13mul_mat_vec_qIL9ggml_type20ELi1ELb1ELb1EEvPKvS2_PKi31ggml_cuda_mm_fusion_args_devicePfj15HIP_vector_typeIjLj3EEjjjS8_jjjS8_jjjj.uses_flat_scratch, 0
	.set _ZL13mul_mat_vec_qIL9ggml_type20ELi1ELb1ELb1EEvPKvS2_PKi31ggml_cuda_mm_fusion_args_devicePfj15HIP_vector_typeIjLj3EEjjjS8_jjjS8_jjjj.has_dyn_sized_stack, 0
	.set _ZL13mul_mat_vec_qIL9ggml_type20ELi1ELb1ELb1EEvPKvS2_PKi31ggml_cuda_mm_fusion_args_devicePfj15HIP_vector_typeIjLj3EEjjjS8_jjjS8_jjjj.has_recursion, 0
	.set _ZL13mul_mat_vec_qIL9ggml_type20ELi1ELb1ELb1EEvPKvS2_PKi31ggml_cuda_mm_fusion_args_devicePfj15HIP_vector_typeIjLj3EEjjjS8_jjjS8_jjjj.has_indirect_call, 0
	.section	.AMDGPU.csdata,"",@progbits
; Kernel info:
; codeLenInByte = 3372
; TotalNumSgprs: 40
; NumVgprs: 32
; ScratchSize: 0
; MemoryBound: 0
; FloatMode: 240
; IeeeMode: 1
; LDSByteSize: 1792 bytes/workgroup (compile time only)
; SGPRBlocks: 0
; VGPRBlocks: 3
; NumSGPRsForWavesPerEU: 40
; NumVGPRsForWavesPerEU: 32
; Occupancy: 16
; WaveLimiterHint : 0
; COMPUTE_PGM_RSRC2:SCRATCH_EN: 0
; COMPUTE_PGM_RSRC2:USER_SGPR: 2
; COMPUTE_PGM_RSRC2:TRAP_HANDLER: 0
; COMPUTE_PGM_RSRC2:TGID_X_EN: 1
; COMPUTE_PGM_RSRC2:TGID_Y_EN: 1
; COMPUTE_PGM_RSRC2:TGID_Z_EN: 1
; COMPUTE_PGM_RSRC2:TIDIG_COMP_CNT: 1
	.section	.text._ZL13mul_mat_vec_qIL9ggml_type20ELi1ELb0ELb1EEvPKvS2_PKi31ggml_cuda_mm_fusion_args_devicePfj15HIP_vector_typeIjLj3EEjjjS8_jjjS8_jjjj,"axG",@progbits,_ZL13mul_mat_vec_qIL9ggml_type20ELi1ELb0ELb1EEvPKvS2_PKi31ggml_cuda_mm_fusion_args_devicePfj15HIP_vector_typeIjLj3EEjjjS8_jjjS8_jjjj,comdat
	.globl	_ZL13mul_mat_vec_qIL9ggml_type20ELi1ELb0ELb1EEvPKvS2_PKi31ggml_cuda_mm_fusion_args_devicePfj15HIP_vector_typeIjLj3EEjjjS8_jjjS8_jjjj ; -- Begin function _ZL13mul_mat_vec_qIL9ggml_type20ELi1ELb0ELb1EEvPKvS2_PKi31ggml_cuda_mm_fusion_args_devicePfj15HIP_vector_typeIjLj3EEjjjS8_jjjS8_jjjj
	.p2align	8
	.type	_ZL13mul_mat_vec_qIL9ggml_type20ELi1ELb0ELb1EEvPKvS2_PKi31ggml_cuda_mm_fusion_args_devicePfj15HIP_vector_typeIjLj3EEjjjS8_jjjS8_jjjj,@function
_ZL13mul_mat_vec_qIL9ggml_type20ELi1ELb0ELb1EEvPKvS2_PKi31ggml_cuda_mm_fusion_args_devicePfj15HIP_vector_typeIjLj3EEjjjS8_jjjS8_jjjj: ; @_ZL13mul_mat_vec_qIL9ggml_type20ELi1ELb0ELb1EEvPKvS2_PKi31ggml_cuda_mm_fusion_args_devicePfj15HIP_vector_typeIjLj3EEjjjS8_jjjS8_jjjj
; %bb.0:
	s_clause 0x1
	s_load_b64 s[2:3], s[0:1], 0x10
	s_load_b128 s[8:11], s[0:1], 0x40
	s_and_b32 s15, ttmp7, 0xffff
	s_wait_kmcnt 0x0
	s_cmp_lg_u64 s[2:3], 0
	s_cselect_b32 s12, -1, 0
	s_cmp_eq_u64 s[2:3], 0
	s_cbranch_scc1 .LBB230_15
; %bb.1:
	s_lshl_b32 s4, s15, 2
	s_load_b32 s19, s[2:3], s4 offset:0x0
	s_clause 0x1
	s_load_b128 s[4:7], s[0:1], 0x68
	s_load_b32 s20, s[0:1], 0x50
	s_cbranch_execnz .LBB230_3
.LBB230_2:
	s_load_b64 s[2:3], s[0:1], 0x5c
	s_wait_kmcnt 0x0
	s_mul_hi_u32 s2, s2, s15
	s_delay_alu instid0(SALU_CYCLE_1) | instskip(NEXT) | instid1(SALU_CYCLE_1)
	s_add_co_i32 s2, s15, s2
	s_lshr_b32 s19, s2, s3
.LBB230_3:
	s_load_b32 s21, s[0:1], 0x78
	s_and_not1_b32 vcc_lo, exec_lo, s12
	s_mov_b32 s22, s15
	s_cbranch_vccnz .LBB230_5
; %bb.4:
	s_mul_hi_u32 s2, s9, s15
	s_delay_alu instid0(SALU_CYCLE_1) | instskip(NEXT) | instid1(SALU_CYCLE_1)
	s_add_co_i32 s2, s15, s2
	s_lshr_b32 s2, s2, s10
	s_delay_alu instid0(SALU_CYCLE_1) | instskip(NEXT) | instid1(SALU_CYCLE_1)
	s_mul_i32 s2, s2, s11
	s_sub_co_i32 s22, s15, s2
.LBB230_5:
	v_bfe_u32 v4, v0, 10, 10
	v_dual_mov_b32 v5, 0 :: v_dual_and_b32 v2, 0x3ff, v0
	s_load_b96 s[12:14], s[0:1], 0x80
	s_lshr_b32 s17, s8, 5
	s_delay_alu instid0(VALU_DEP_2) | instskip(NEXT) | instid1(VALU_DEP_2)
	v_lshlrev_b32_e32 v0, 5, v4
	v_lshlrev_b32_e32 v3, 2, v2
	s_lshr_b32 s16, ttmp7, 16
	s_mov_b32 s18, exec_lo
	s_delay_alu instid0(VALU_DEP_2) | instskip(NEXT) | instid1(VALU_DEP_1)
	v_add_nc_u16 v1, v0, v2
	v_lshrrev_b16 v1, 1, v1
	s_delay_alu instid0(VALU_DEP_1) | instskip(NEXT) | instid1(VALU_DEP_1)
	v_and_b32_e32 v6, 0xffff, v1
	v_cmpx_gt_u32_e64 s17, v6
	s_cbranch_execz .LBB230_9
; %bb.6:
	s_load_b128 s[8:11], s[0:1], 0x0
	s_wait_kmcnt 0x0
	s_mul_hi_u32 s7, s7, s16
	v_dual_mov_b32 v5, 0 :: v_dual_add_nc_u32 v0, v0, v2
	s_mul_i32 s22, s22, s5
	s_add_co_i32 s5, s16, s7
	s_mul_i32 s2, s13, s16
	s_mov_b32 s3, 0
	s_lshr_b32 s5, s5, s21
	s_mov_b32 s23, s3
	s_mul_i32 s20, s20, ttmp9
	s_mul_i32 s5, s5, s12
	s_mul_u64 s[12:13], s[2:3], 36
	v_lshrrev_b32_e32 v0, 1, v0
	s_add_co_i32 s5, s5, s20
	s_mul_u64 s[20:21], s[22:23], 36
	v_and_b32_e32 v8, 4, v3
	v_and_b32_e32 v7, 1, v2
	s_mul_i32 s4, s19, s4
	s_mov_b32 s7, 0x71594535
	s_add_nc_u64 s[10:11], s[10:11], s[12:13]
	v_lshlrev_b32_e32 v8, 1, v8
	s_add_nc_u64 s[10:11], s[10:11], s[20:21]
	v_lshlrev_b32_e32 v7, 3, v7
	v_mad_co_u64_u32 v[0:1], null, v0, 36, s[10:11]
	s_add_co_i32 s4, s4, s5
	s_mov_b32 s5, 0xf6eaddcf
	s_mov_b32 s10, 0x4040404
.LBB230_7:                              ; =>This Inner Loop Header: Depth=1
	v_add_nc_u32_e32 v9, s4, v6
	v_add_nc_u32_e32 v6, 0x80, v6
	s_delay_alu instid0(VALU_DEP_2) | instskip(NEXT) | instid1(VALU_DEP_2)
	v_mad_co_i64_i32 v[9:10], null, v9, 18, s[8:9]
	v_cmp_le_u32_e64 s2, s17, v6
	s_or_b32 s3, s2, s3
	v_add_co_u32 v11, vcc_lo, v9, v8
	s_wait_alu 0xfffd
	v_add_co_ci_u32_e64 v12, null, 0, v10, vcc_lo
	v_add_co_u32 v13, vcc_lo, v0, v7
	s_wait_alu 0xfffd
	v_add_co_ci_u32_e64 v14, null, 0, v1, vcc_lo
	global_load_b64 v[11:12], v[11:12], off offset:2
	s_clause 0x2
	global_load_b64 v[15:16], v[13:14], off offset:4
	global_load_b64 v[13:14], v[13:14], off offset:20
	global_load_b32 v17, v[0:1], off
	global_load_u16 v9, v[9:10], off
	v_add_co_u32 v0, vcc_lo, 0x1200, v0
	s_wait_alu 0xfffd
	v_add_co_ci_u32_e64 v1, null, 0, v1, vcc_lo
	s_wait_loadcnt 0x4
	v_ashrrev_i32_e32 v10, 4, v11
	v_ashrrev_i32_e32 v19, 4, v12
	v_and_b32_e32 v20, 0x7070707, v12
	s_wait_loadcnt 0x0
	v_cvt_f32_f16_e32 v9, v9
	v_and_b32_e32 v18, 0x7070707, v11
	v_lshrrev_b32_e32 v11, 1, v11
	v_and_b32_e32 v22, 0x7070707, v10
	v_lshrrev_b32_e32 v10, 1, v10
	v_lshrrev_b32_e32 v12, 1, v12
	v_perm_b32 v21, s5, 0xbfad9881, v18
	v_perm_b32 v18, s7, 0x26190d01, v18
	s_wait_alu 0xfffe
	v_and_or_b32 v11, v11, s10, 0x3020100
	v_perm_b32 v25, s5, 0xbfad9881, v22
	v_perm_b32 v22, s7, 0x26190d01, v22
	v_and_or_b32 v10, v10, s10, 0x3020100
	v_perm_b32 v23, s5, 0xbfad9881, v20
	v_perm_b32 v11, v18, v21, v11
	v_and_b32_e32 v24, 0x7070707, v19
	v_perm_b32 v20, s7, 0x26190d01, v20
	v_and_or_b32 v12, v12, s10, 0x3020100
	v_lshrrev_b32_e32 v18, 1, v19
	v_perm_b32 v10, v22, v25, v10
	v_dot4_i32_iu8 v11, v11, v15, 0 neg_lo:[1,1,0]
	v_perm_b32 v19, s5, 0xbfad9881, v24
	v_perm_b32 v15, s7, 0x26190d01, v24
	;; [unrolled: 1-line block ×3, first 2 shown]
	v_and_or_b32 v18, v18, s10, 0x3020100
	v_dot4_i32_iu8 v10, v10, v13, v11 neg_lo:[1,1,0]
	s_delay_alu instid0(VALU_DEP_2) | instskip(NEXT) | instid1(VALU_DEP_2)
	v_perm_b32 v11, v15, v19, v18
	v_dot4_i32_iu8 v10, v12, v16, v10 neg_lo:[1,1,0]
	v_cvt_f32_f16_e32 v12, v17
	s_delay_alu instid0(VALU_DEP_2) | instskip(NEXT) | instid1(VALU_DEP_2)
	v_dot4_i32_iu8 v10, v11, v14, v10 neg_lo:[1,1,0]
	v_mul_f32_e32 v9, v9, v12
	s_delay_alu instid0(VALU_DEP_2) | instskip(NEXT) | instid1(VALU_DEP_1)
	v_cvt_f32_i32_e32 v10, v10
	v_fmac_f32_e32 v5, v9, v10
	s_and_not1_b32 exec_lo, exec_lo, s3
	s_cbranch_execnz .LBB230_7
; %bb.8:
	s_or_b32 exec_lo, exec_lo, s3
.LBB230_9:
	s_delay_alu instid0(SALU_CYCLE_1) | instskip(NEXT) | instid1(SALU_CYCLE_1)
	s_or_b32 exec_lo, exec_lo, s18
	s_mov_b32 s3, exec_lo
	v_cmp_eq_u32_e32 vcc_lo, 0, v4
	v_cmpx_ne_u32_e32 0, v4
; %bb.10:
	v_lshlrev_b32_e32 v0, 7, v4
	s_delay_alu instid0(VALU_DEP_1)
	v_add3_u32 v0, v0, v3, 0xffffff80
	ds_store_b32 v0, v5
; %bb.11:
	s_or_b32 exec_lo, exec_lo, s3
	s_wait_dscnt 0x0
	s_barrier_signal -1
	s_barrier_wait -1
	global_inv scope:SCOPE_SE
	s_and_saveexec_b32 s2, vcc_lo
	s_cbranch_execz .LBB230_14
; %bb.12:
	ds_load_2addr_b32 v[0:1], v3 offset1:32
	ds_load_2addr_b32 v[6:7], v3 offset0:64 offset1:96
	ds_load_2addr_b32 v[8:9], v3 offset0:128 offset1:160
	s_mov_b32 s3, 0
	s_wait_dscnt 0x2
	v_add_f32_e32 v0, v5, v0
	s_delay_alu instid0(VALU_DEP_1) | instskip(SKIP_4) | instid1(VALU_DEP_2)
	v_add_f32_e32 v0, v0, v1
	ds_load_b32 v1, v3 offset:768
	v_mbcnt_lo_u32_b32 v3, -1, 0
	s_wait_dscnt 0x2
	v_add_f32_e32 v0, v0, v6
	v_xor_b32_e32 v4, 16, v3
	s_delay_alu instid0(VALU_DEP_2) | instskip(NEXT) | instid1(VALU_DEP_2)
	v_add_f32_e32 v0, v0, v7
	v_cmp_gt_i32_e32 vcc_lo, 32, v4
	s_wait_dscnt 0x1
	s_delay_alu instid0(VALU_DEP_2) | instskip(SKIP_2) | instid1(VALU_DEP_2)
	v_add_f32_e32 v0, v0, v8
	s_wait_alu 0xfffd
	v_cndmask_b32_e32 v4, v3, v4, vcc_lo
	v_add_f32_e32 v0, v0, v9
	s_wait_dscnt 0x0
	s_delay_alu instid0(VALU_DEP_1)
	v_dual_add_f32 v0, v0, v1 :: v_dual_lshlrev_b32 v1, 2, v4
	v_xor_b32_e32 v4, 8, v3
	ds_bpermute_b32 v1, v1, v0
	v_cmp_gt_i32_e32 vcc_lo, 32, v4
	s_wait_alu 0xfffd
	v_cndmask_b32_e32 v4, v3, v4, vcc_lo
	s_delay_alu instid0(VALU_DEP_1) | instskip(SKIP_4) | instid1(VALU_DEP_1)
	v_lshlrev_b32_e32 v4, 2, v4
	s_wait_dscnt 0x0
	v_add_f32_e32 v0, v0, v1
	ds_bpermute_b32 v1, v4, v0
	v_xor_b32_e32 v4, 4, v3
	v_cmp_gt_i32_e32 vcc_lo, 32, v4
	s_wait_alu 0xfffd
	v_cndmask_b32_e32 v4, v3, v4, vcc_lo
	s_delay_alu instid0(VALU_DEP_1) | instskip(SKIP_4) | instid1(VALU_DEP_1)
	v_lshlrev_b32_e32 v4, 2, v4
	s_wait_dscnt 0x0
	v_add_f32_e32 v0, v0, v1
	ds_bpermute_b32 v1, v4, v0
	v_xor_b32_e32 v4, 2, v3
	;; [unrolled: 9-line block ×3, first 2 shown]
	v_cmp_gt_i32_e32 vcc_lo, 32, v4
	s_wait_alu 0xfffd
	v_cndmask_b32_e32 v3, v3, v4, vcc_lo
	v_cmp_eq_u32_e32 vcc_lo, 0, v2
	s_wait_dscnt 0x0
	s_delay_alu instid0(VALU_DEP_2)
	v_dual_add_f32 v0, v0, v1 :: v_dual_lshlrev_b32 v3, 2, v3
	ds_bpermute_b32 v1, v3, v0
	s_and_b32 exec_lo, exec_lo, vcc_lo
	s_cbranch_execz .LBB230_14
; %bb.13:
	s_load_b64 s[0:1], s[0:1], 0x38
	s_wait_kmcnt 0x0
	s_mul_i32 s2, s6, s15
	s_mul_i32 s4, s14, s16
	s_add_co_i32 s2, s2, ttmp9
	v_mov_b32_e32 v2, 0
	s_wait_alu 0xfffe
	s_add_co_i32 s2, s2, s4
	s_wait_dscnt 0x0
	v_add_f32_e32 v0, v0, v1
	s_lshl_b64 s[2:3], s[2:3], 2
	s_delay_alu instid0(SALU_CYCLE_1)
	s_add_nc_u64 s[0:1], s[0:1], s[2:3]
	global_store_b32 v2, v0, s[0:1]
.LBB230_14:
	s_endpgm
.LBB230_15:
                                        ; implicit-def: $sgpr19
	s_clause 0x1
	s_load_b128 s[4:7], s[0:1], 0x68
	s_load_b32 s20, s[0:1], 0x50
	s_branch .LBB230_2
	.section	.rodata,"a",@progbits
	.p2align	6, 0x0
	.amdhsa_kernel _ZL13mul_mat_vec_qIL9ggml_type20ELi1ELb0ELb1EEvPKvS2_PKi31ggml_cuda_mm_fusion_args_devicePfj15HIP_vector_typeIjLj3EEjjjS8_jjjS8_jjjj
		.amdhsa_group_segment_fixed_size 896
		.amdhsa_private_segment_fixed_size 0
		.amdhsa_kernarg_size 144
		.amdhsa_user_sgpr_count 2
		.amdhsa_user_sgpr_dispatch_ptr 0
		.amdhsa_user_sgpr_queue_ptr 0
		.amdhsa_user_sgpr_kernarg_segment_ptr 1
		.amdhsa_user_sgpr_dispatch_id 0
		.amdhsa_user_sgpr_private_segment_size 0
		.amdhsa_wavefront_size32 1
		.amdhsa_uses_dynamic_stack 0
		.amdhsa_enable_private_segment 0
		.amdhsa_system_sgpr_workgroup_id_x 1
		.amdhsa_system_sgpr_workgroup_id_y 1
		.amdhsa_system_sgpr_workgroup_id_z 1
		.amdhsa_system_sgpr_workgroup_info 0
		.amdhsa_system_vgpr_workitem_id 1
		.amdhsa_next_free_vgpr 26
		.amdhsa_next_free_sgpr 24
		.amdhsa_reserve_vcc 1
		.amdhsa_float_round_mode_32 0
		.amdhsa_float_round_mode_16_64 0
		.amdhsa_float_denorm_mode_32 3
		.amdhsa_float_denorm_mode_16_64 3
		.amdhsa_fp16_overflow 0
		.amdhsa_workgroup_processor_mode 1
		.amdhsa_memory_ordered 1
		.amdhsa_forward_progress 1
		.amdhsa_inst_pref_size 11
		.amdhsa_round_robin_scheduling 0
		.amdhsa_exception_fp_ieee_invalid_op 0
		.amdhsa_exception_fp_denorm_src 0
		.amdhsa_exception_fp_ieee_div_zero 0
		.amdhsa_exception_fp_ieee_overflow 0
		.amdhsa_exception_fp_ieee_underflow 0
		.amdhsa_exception_fp_ieee_inexact 0
		.amdhsa_exception_int_div_zero 0
	.end_amdhsa_kernel
	.section	.text._ZL13mul_mat_vec_qIL9ggml_type20ELi1ELb0ELb1EEvPKvS2_PKi31ggml_cuda_mm_fusion_args_devicePfj15HIP_vector_typeIjLj3EEjjjS8_jjjS8_jjjj,"axG",@progbits,_ZL13mul_mat_vec_qIL9ggml_type20ELi1ELb0ELb1EEvPKvS2_PKi31ggml_cuda_mm_fusion_args_devicePfj15HIP_vector_typeIjLj3EEjjjS8_jjjS8_jjjj,comdat
.Lfunc_end230:
	.size	_ZL13mul_mat_vec_qIL9ggml_type20ELi1ELb0ELb1EEvPKvS2_PKi31ggml_cuda_mm_fusion_args_devicePfj15HIP_vector_typeIjLj3EEjjjS8_jjjS8_jjjj, .Lfunc_end230-_ZL13mul_mat_vec_qIL9ggml_type20ELi1ELb0ELb1EEvPKvS2_PKi31ggml_cuda_mm_fusion_args_devicePfj15HIP_vector_typeIjLj3EEjjjS8_jjjS8_jjjj
                                        ; -- End function
	.set _ZL13mul_mat_vec_qIL9ggml_type20ELi1ELb0ELb1EEvPKvS2_PKi31ggml_cuda_mm_fusion_args_devicePfj15HIP_vector_typeIjLj3EEjjjS8_jjjS8_jjjj.num_vgpr, 26
	.set _ZL13mul_mat_vec_qIL9ggml_type20ELi1ELb0ELb1EEvPKvS2_PKi31ggml_cuda_mm_fusion_args_devicePfj15HIP_vector_typeIjLj3EEjjjS8_jjjS8_jjjj.num_agpr, 0
	.set _ZL13mul_mat_vec_qIL9ggml_type20ELi1ELb0ELb1EEvPKvS2_PKi31ggml_cuda_mm_fusion_args_devicePfj15HIP_vector_typeIjLj3EEjjjS8_jjjS8_jjjj.numbered_sgpr, 24
	.set _ZL13mul_mat_vec_qIL9ggml_type20ELi1ELb0ELb1EEvPKvS2_PKi31ggml_cuda_mm_fusion_args_devicePfj15HIP_vector_typeIjLj3EEjjjS8_jjjS8_jjjj.num_named_barrier, 0
	.set _ZL13mul_mat_vec_qIL9ggml_type20ELi1ELb0ELb1EEvPKvS2_PKi31ggml_cuda_mm_fusion_args_devicePfj15HIP_vector_typeIjLj3EEjjjS8_jjjS8_jjjj.private_seg_size, 0
	.set _ZL13mul_mat_vec_qIL9ggml_type20ELi1ELb0ELb1EEvPKvS2_PKi31ggml_cuda_mm_fusion_args_devicePfj15HIP_vector_typeIjLj3EEjjjS8_jjjS8_jjjj.uses_vcc, 1
	.set _ZL13mul_mat_vec_qIL9ggml_type20ELi1ELb0ELb1EEvPKvS2_PKi31ggml_cuda_mm_fusion_args_devicePfj15HIP_vector_typeIjLj3EEjjjS8_jjjS8_jjjj.uses_flat_scratch, 0
	.set _ZL13mul_mat_vec_qIL9ggml_type20ELi1ELb0ELb1EEvPKvS2_PKi31ggml_cuda_mm_fusion_args_devicePfj15HIP_vector_typeIjLj3EEjjjS8_jjjS8_jjjj.has_dyn_sized_stack, 0
	.set _ZL13mul_mat_vec_qIL9ggml_type20ELi1ELb0ELb1EEvPKvS2_PKi31ggml_cuda_mm_fusion_args_devicePfj15HIP_vector_typeIjLj3EEjjjS8_jjjS8_jjjj.has_recursion, 0
	.set _ZL13mul_mat_vec_qIL9ggml_type20ELi1ELb0ELb1EEvPKvS2_PKi31ggml_cuda_mm_fusion_args_devicePfj15HIP_vector_typeIjLj3EEjjjS8_jjjS8_jjjj.has_indirect_call, 0
	.section	.AMDGPU.csdata,"",@progbits
; Kernel info:
; codeLenInByte = 1360
; TotalNumSgprs: 26
; NumVgprs: 26
; ScratchSize: 0
; MemoryBound: 0
; FloatMode: 240
; IeeeMode: 1
; LDSByteSize: 896 bytes/workgroup (compile time only)
; SGPRBlocks: 0
; VGPRBlocks: 3
; NumSGPRsForWavesPerEU: 26
; NumVGPRsForWavesPerEU: 26
; Occupancy: 16
; WaveLimiterHint : 0
; COMPUTE_PGM_RSRC2:SCRATCH_EN: 0
; COMPUTE_PGM_RSRC2:USER_SGPR: 2
; COMPUTE_PGM_RSRC2:TRAP_HANDLER: 0
; COMPUTE_PGM_RSRC2:TGID_X_EN: 1
; COMPUTE_PGM_RSRC2:TGID_Y_EN: 1
; COMPUTE_PGM_RSRC2:TGID_Z_EN: 1
; COMPUTE_PGM_RSRC2:TIDIG_COMP_CNT: 1
	.section	.text._ZL13mul_mat_vec_qIL9ggml_type20ELi1ELb1ELb0EEvPKvS2_PKi31ggml_cuda_mm_fusion_args_devicePfj15HIP_vector_typeIjLj3EEjjjS8_jjjS8_jjjj,"axG",@progbits,_ZL13mul_mat_vec_qIL9ggml_type20ELi1ELb1ELb0EEvPKvS2_PKi31ggml_cuda_mm_fusion_args_devicePfj15HIP_vector_typeIjLj3EEjjjS8_jjjS8_jjjj,comdat
	.globl	_ZL13mul_mat_vec_qIL9ggml_type20ELi1ELb1ELb0EEvPKvS2_PKi31ggml_cuda_mm_fusion_args_devicePfj15HIP_vector_typeIjLj3EEjjjS8_jjjS8_jjjj ; -- Begin function _ZL13mul_mat_vec_qIL9ggml_type20ELi1ELb1ELb0EEvPKvS2_PKi31ggml_cuda_mm_fusion_args_devicePfj15HIP_vector_typeIjLj3EEjjjS8_jjjS8_jjjj
	.p2align	8
	.type	_ZL13mul_mat_vec_qIL9ggml_type20ELi1ELb1ELb0EEvPKvS2_PKi31ggml_cuda_mm_fusion_args_devicePfj15HIP_vector_typeIjLj3EEjjjS8_jjjS8_jjjj,@function
_ZL13mul_mat_vec_qIL9ggml_type20ELi1ELb1ELb0EEvPKvS2_PKi31ggml_cuda_mm_fusion_args_devicePfj15HIP_vector_typeIjLj3EEjjjS8_jjjS8_jjjj: ; @_ZL13mul_mat_vec_qIL9ggml_type20ELi1ELb1ELb0EEvPKvS2_PKi31ggml_cuda_mm_fusion_args_devicePfj15HIP_vector_typeIjLj3EEjjjS8_jjjS8_jjjj
; %bb.0:
	s_clause 0x3
	s_load_b256 s[8:15], s[0:1], 0x0
	s_load_b128 s[16:19], s[0:1], 0x20
	s_load_b128 s[20:23], s[0:1], 0x40
	;; [unrolled: 1-line block ×3, first 2 shown]
	s_and_b32 s27, ttmp7, 0xffff
	s_wait_kmcnt 0x0
	s_cmp_lg_u64 s[12:13], 0
	s_cselect_b32 s2, -1, 0
	s_cmp_eq_u64 s[12:13], 0
	s_cbranch_scc1 .LBB231_42
; %bb.1:
	s_lshl_b32 s3, s27, 2
	s_load_b32 s28, s[12:13], s3 offset:0x0
	s_clause 0x1
	s_load_b32 s29, s[0:1], 0x50
	s_load_b32 s30, s[0:1], 0x78
	s_cbranch_execnz .LBB231_3
.LBB231_2:
	s_load_b64 s[12:13], s[0:1], 0x5c
	s_wait_kmcnt 0x0
	s_mul_hi_u32 s3, s12, s27
	s_delay_alu instid0(SALU_CYCLE_1) | instskip(NEXT) | instid1(SALU_CYCLE_1)
	s_add_co_i32 s3, s27, s3
	s_lshr_b32 s28, s3, s13
.LBB231_3:
	s_and_not1_b32 vcc_lo, exec_lo, s2
	s_mov_b32 s3, s27
	s_mov_b32 s31, s27
	s_cbranch_vccnz .LBB231_5
; %bb.4:
	s_mul_hi_u32 s2, s21, s27
	s_wait_kmcnt 0x0
	s_mov_b32 s3, s28
	s_add_co_i32 s2, s27, s2
	s_delay_alu instid0(SALU_CYCLE_1) | instskip(NEXT) | instid1(SALU_CYCLE_1)
	s_lshr_b32 s2, s2, s22
	s_mul_i32 s2, s2, s23
	s_delay_alu instid0(SALU_CYCLE_1)
	s_sub_co_i32 s31, s27, s2
.LBB231_5:
	s_load_b96 s[24:26], s[0:1], 0x80
	v_bfe_u32 v14, v0, 10, 10
	v_dual_mov_b32 v10, 0 :: v_dual_and_b32 v9, 0x3ff, v0
	s_lshr_b32 s21, ttmp7, 16
	s_cmp_lg_u64 s[14:15], 0
	s_delay_alu instid0(VALU_DEP_1) | instskip(SKIP_4) | instid1(VALU_DEP_1)
	v_dual_mov_b32 v11, 0 :: v_dual_lshlrev_b32 v8, 2, v9
	v_or_b32_e32 v0, v9, v14
	s_cselect_b32 s2, -1, 0
	s_mov_b32 s23, 0
	s_mul_i32 s12, s3, s6
	v_cmp_eq_u32_e32 vcc_lo, 0, v0
	s_and_b32 s13, s2, vcc_lo
	s_delay_alu instid0(SALU_CYCLE_1)
	s_and_saveexec_b32 s3, s13
	s_cbranch_execz .LBB231_7
; %bb.6:
	s_wait_kmcnt 0x0
	s_mul_i32 s22, s26, s21
	s_mov_b32 s13, s23
	s_lshl_b64 s[36:37], s[22:23], 2
	s_mov_b32 s34, ttmp9
	s_add_nc_u64 s[14:15], s[14:15], s[36:37]
	s_lshl_b64 s[22:23], s[12:13], 2
	s_ashr_i32 s35, ttmp9, 31
	s_add_nc_u64 s[14:15], s[14:15], s[22:23]
	s_lshl_b64 s[22:23], s[34:35], 2
	s_delay_alu instid0(SALU_CYCLE_1)
	s_add_nc_u64 s[14:15], s[14:15], s[22:23]
	global_load_b32 v11, v8, s[14:15]
.LBB231_7:
	s_or_b32 exec_lo, exec_lo, s3
	s_cmp_lg_u64 s[16:17], 0
	s_cselect_b32 s14, -1, 0
	s_cmp_lg_u64 s[18:19], 0
	s_cselect_b32 s3, -1, 0
	s_delay_alu instid0(SALU_CYCLE_1) | instskip(NEXT) | instid1(SALU_CYCLE_1)
	s_and_b32 s13, s3, s14
	s_and_b32 s13, s13, vcc_lo
	s_delay_alu instid0(SALU_CYCLE_1)
	s_and_saveexec_b32 s15, s13
	s_cbranch_execz .LBB231_9
; %bb.8:
	s_wait_kmcnt 0x0
	s_mul_i32 s34, s26, s21
	s_mov_b32 s35, 0
	s_mov_b32 s22, ttmp9
	s_lshl_b64 s[36:37], s[34:35], 2
	s_mov_b32 s13, s35
	s_add_nc_u64 s[18:19], s[18:19], s[36:37]
	s_lshl_b64 s[12:13], s[12:13], 2
	s_ashr_i32 s23, ttmp9, 31
	s_add_nc_u64 s[12:13], s[18:19], s[12:13]
	s_lshl_b64 s[18:19], s[22:23], 2
	s_delay_alu instid0(SALU_CYCLE_1)
	s_add_nc_u64 s[12:13], s[12:13], s[18:19]
	global_load_b32 v10, v8, s[12:13]
.LBB231_9:
	s_or_b32 exec_lo, exec_lo, s15
	v_dual_mov_b32 v15, 0 :: v_dual_lshlrev_b32 v0, 5, v14
	v_cndmask_b32_e64 v12, 0, 1, s14
	s_lshr_b32 s15, s20, 5
	s_mov_b32 s18, exec_lo
	s_delay_alu instid0(VALU_DEP_2) | instskip(SKIP_1) | instid1(VALU_DEP_2)
	v_add_nc_u16 v1, v0, v9
	v_mov_b32_e32 v13, 0
	v_lshrrev_b16 v1, 1, v1
	s_delay_alu instid0(VALU_DEP_1) | instskip(SKIP_1) | instid1(VALU_DEP_1)
	v_and_b32_e32 v16, 0xffff, v1
	s_wait_alu 0xfffe
	v_cmpx_gt_u32_e64 s15, v16
	s_cbranch_execz .LBB231_15
; %bb.10:
	s_mul_hi_u32 s7, s7, s21
	v_dual_mov_b32 v15, 0 :: v_dual_add_nc_u32 v0, v0, v9
	s_add_co_i32 s7, s21, s7
	s_wait_kmcnt 0x0
	s_mul_i32 s12, s25, s21
	s_mov_b32 s13, 0
	s_mul_i32 s22, s31, s5
	s_lshr_b32 s5, s7, s30
	s_mov_b32 s23, s13
	s_mul_i32 s5, s5, s24
	s_mul_u64 s[24:25], s[12:13], 36
	v_lshrrev_b32_e32 v0, 1, v0
	s_mul_u64 s[22:23], s[22:23], 36
	s_add_nc_u64 s[10:11], s[10:11], s[24:25]
	v_dual_mov_b32 v13, 0 :: v_dual_and_b32 v2, 4, v8
	v_and_b32_e32 v3, 1, v9
	s_add_nc_u64 s[10:11], s[10:11], s[22:23]
	s_mul_i32 s29, s29, ttmp9
	v_mad_co_u64_u32 v[0:1], null, v0, 36, s[10:11]
	s_delay_alu instid0(VALU_DEP_2)
	v_lshlrev_b32_e32 v17, 3, v3
	v_lshlrev_b32_e32 v18, 1, v2
	s_mul_i32 s4, s28, s4
	s_add_co_i32 s5, s5, s29
	s_mov_b32 s7, 0xf6eaddcf
	s_add_co_i32 s5, s4, s5
	s_mov_b32 s10, 0x71594535
	s_mov_b32 s11, 0x4040404
	s_branch .LBB231_12
.LBB231_11:                             ;   in Loop: Header=BB231_12 Depth=1
	s_wait_loadcnt 0x1
	v_and_b32_e32 v21, 0x7070707, v6
	v_ashrrev_i32_e32 v22, 4, v6
	v_lshrrev_b32_e32 v6, 1, v6
	v_add_nc_u32_e32 v16, 0x80, v16
	v_add_co_u32 v0, s4, 0x1200, v0
	v_perm_b32 v23, s7, 0xbfad9881, v21
	v_perm_b32 v21, s10, 0x26190d01, v21
	v_and_or_b32 v6, v6, s11, 0x3020100
	v_and_b32_e32 v24, 0x7070707, v22
	v_lshrrev_b32_e32 v22, 1, v22
	v_cmp_le_u32_e32 vcc_lo, s15, v16
	s_wait_alu 0xf1ff
	v_add_co_ci_u32_e64 v1, null, 0, v1, s4
	v_perm_b32 v6, v21, v23, v6
	v_perm_b32 v25, s7, 0xbfad9881, v24
	;; [unrolled: 1-line block ×3, first 2 shown]
	v_and_or_b32 v22, v22, s11, 0x3020100
	v_and_b32_e32 v21, 0x7070707, v7
	v_ashrrev_i32_e32 v23, 4, v7
	v_dot4_i32_iu8 v4, v6, v4, 0 neg_lo:[1,1,0]
	v_lshrrev_b32_e32 v6, 1, v7
	v_perm_b32 v22, v24, v25, v22
	v_perm_b32 v7, s7, 0xbfad9881, v21
	v_and_b32_e32 v24, 0x7070707, v23
	v_perm_b32 v21, s10, 0x26190d01, v21
	v_lshrrev_b32_e32 v23, 1, v23
	v_and_or_b32 v6, v6, s11, 0x3020100
	v_dot4_i32_iu8 v2, v22, v2, v4 neg_lo:[1,1,0]
	v_perm_b32 v4, s7, 0xbfad9881, v24
	v_perm_b32 v22, s10, 0x26190d01, v24
	v_and_or_b32 v23, v23, s11, 0x3020100
	v_perm_b32 v6, v21, v7, v6
	s_or_b32 s13, vcc_lo, s13
	s_delay_alu instid0(VALU_DEP_2) | instskip(NEXT) | instid1(VALU_DEP_2)
	v_perm_b32 v4, v22, v4, v23
	v_dot4_i32_iu8 v2, v6, v5, v2 neg_lo:[1,1,0]
	s_wait_loadcnt 0x0
	v_cvt_f32_f16_e32 v5, v20
	s_delay_alu instid0(VALU_DEP_2) | instskip(NEXT) | instid1(VALU_DEP_2)
	v_dot4_i32_iu8 v2, v4, v3, v2 neg_lo:[1,1,0]
	v_mul_f32_e32 v3, v5, v19
	s_delay_alu instid0(VALU_DEP_2) | instskip(NEXT) | instid1(VALU_DEP_1)
	v_cvt_f32_i32_e32 v2, v2
	v_fmac_f32_e32 v15, v3, v2
	s_and_not1_b32 exec_lo, exec_lo, s13
	s_cbranch_execz .LBB231_14
.LBB231_12:                             ; =>This Inner Loop Header: Depth=1
	v_add_nc_u32_e32 v21, s5, v16
	v_add_co_u32 v2, vcc_lo, v0, v17
	s_wait_alu 0xfffd
	v_add_co_ci_u32_e64 v3, null, 0, v1, vcc_lo
	s_delay_alu instid0(VALU_DEP_3) | instskip(NEXT) | instid1(VALU_DEP_1)
	v_mad_co_i64_i32 v[19:20], null, v21, 18, s[8:9]
	v_add_co_u32 v6, vcc_lo, v19, v18
	s_wait_alu 0xfffd
	s_delay_alu instid0(VALU_DEP_2)
	v_add_co_ci_u32_e64 v7, null, 0, v20, vcc_lo
	s_clause 0x2
	global_load_b32 v22, v[0:1], off
	global_load_b64 v[4:5], v[2:3], off offset:4
	global_load_b64 v[2:3], v[2:3], off offset:20
	s_clause 0x1
	global_load_b64 v[6:7], v[6:7], off offset:2
	global_load_u16 v20, v[19:20], off
	s_and_not1_b32 vcc_lo, exec_lo, s14
	s_wait_loadcnt 0x4
	v_cvt_f32_f16_e32 v19, v22
	s_wait_alu 0xfffe
	s_cbranch_vccnz .LBB231_11
; %bb.13:                               ;   in Loop: Header=BB231_12 Depth=1
	v_mad_co_i64_i32 v[21:22], null, v21, 18, s[16:17]
	s_delay_alu instid0(VALU_DEP_1) | instskip(SKIP_1) | instid1(VALU_DEP_2)
	v_add_co_u32 v23, vcc_lo, v21, v18
	s_wait_alu 0xfffd
	v_add_co_ci_u32_e64 v24, null, 0, v22, vcc_lo
	s_clause 0x1
	global_load_b64 v[23:24], v[23:24], off offset:2
	global_load_u16 v21, v[21:22], off
	s_wait_loadcnt 0x1
	v_ashrrev_i32_e32 v22, 4, v23
	v_and_b32_e32 v25, 0x7070707, v23
	v_lshrrev_b32_e32 v23, 1, v23
	v_ashrrev_i32_e32 v26, 4, v24
	v_and_b32_e32 v27, 0x7070707, v24
	v_and_b32_e32 v29, 0x7070707, v22
	v_perm_b32 v28, s7, 0xbfad9881, v25
	v_perm_b32 v25, s10, 0x26190d01, v25
	v_lshrrev_b32_e32 v22, 1, v22
	v_and_or_b32 v23, v23, s11, 0x3020100
	v_lshrrev_b32_e32 v24, 1, v24
	v_perm_b32 v31, s7, 0xbfad9881, v29
	v_perm_b32 v29, s10, 0x26190d01, v29
	v_and_or_b32 v22, v22, s11, 0x3020100
	v_perm_b32 v23, v25, v28, v23
	v_perm_b32 v30, s7, 0xbfad9881, v27
	v_and_b32_e32 v25, 0x7070707, v26
	v_perm_b32 v27, s10, 0x26190d01, v27
	v_lshrrev_b32_e32 v26, 1, v26
	v_perm_b32 v22, v29, v31, v22
	v_dot4_i32_iu8 v23, v23, v4, 0 neg_lo:[1,1,0]
	v_and_or_b32 v24, v24, s11, 0x3020100
	v_perm_b32 v28, s7, 0xbfad9881, v25
	v_perm_b32 v25, s10, 0x26190d01, v25
	v_and_or_b32 v26, v26, s11, 0x3020100
	v_dot4_i32_iu8 v22, v22, v2, v23 neg_lo:[1,1,0]
	v_perm_b32 v23, v27, v30, v24
	s_wait_loadcnt 0x0
	v_cvt_f32_f16_e32 v21, v21
	v_perm_b32 v24, v25, v28, v26
	s_delay_alu instid0(VALU_DEP_3) | instskip(NEXT) | instid1(VALU_DEP_3)
	v_dot4_i32_iu8 v22, v23, v5, v22 neg_lo:[1,1,0]
	v_mul_f32_e32 v21, v19, v21
	s_delay_alu instid0(VALU_DEP_2) | instskip(NEXT) | instid1(VALU_DEP_1)
	v_dot4_i32_iu8 v22, v24, v3, v22 neg_lo:[1,1,0]
	v_cvt_f32_i32_e32 v22, v22
	s_delay_alu instid0(VALU_DEP_1)
	v_fmac_f32_e32 v13, v21, v22
	s_branch .LBB231_11
.LBB231_14:
	s_or_b32 exec_lo, exec_lo, s13
.LBB231_15:
	s_delay_alu instid0(SALU_CYCLE_1)
	s_or_b32 exec_lo, exec_lo, s18
	s_load_b32 s5, s[0:1], 0x30
	v_cmp_eq_u32_e64 s4, 0, v14
	s_mov_b32 s7, exec_lo
	v_cmpx_ne_u32_e32 0, v14
	s_cbranch_execz .LBB231_19
; %bb.16:
	v_add_nc_u32_e32 v0, -1, v14
	s_and_b32 vcc_lo, exec_lo, s14
	s_delay_alu instid0(VALU_DEP_1)
	v_lshlrev_b32_e32 v0, 7, v0
	s_wait_alu 0xfffe
	s_cbranch_vccz .LBB231_18
; %bb.17:
	s_delay_alu instid0(VALU_DEP_1)
	v_lshl_add_u32 v1, v9, 2, v0
	ds_store_b32 v1, v13 offset:896
.LBB231_18:
	s_delay_alu instid0(VALU_DEP_1)
	v_lshl_add_u32 v0, v9, 2, v0
	ds_store_b32 v0, v15
.LBB231_19:
	s_wait_alu 0xfffe
	s_or_b32 exec_lo, exec_lo, s7
	s_wait_loadcnt_dscnt 0x0
	s_barrier_signal -1
	s_barrier_wait -1
	global_inv scope:SCOPE_SE
	s_and_saveexec_b32 s7, s4
	s_cbranch_execz .LBB231_61
; %bb.20:
	ds_load_b32 v0, v8
	v_cmp_ne_u32_e32 vcc_lo, 1, v12
	v_add_nc_u32_e32 v1, 0x380, v8
	s_cbranch_vccnz .LBB231_22
; %bb.21:
	ds_load_b32 v2, v1
	s_wait_dscnt 0x0
	v_add_f32_e32 v13, v13, v2
.LBB231_22:
	ds_load_b32 v2, v8 offset:128
	v_cmp_ne_u32_e32 vcc_lo, 1, v12
	s_cbranch_vccnz .LBB231_24
; %bb.23:
	ds_load_b32 v3, v1 offset:128
	s_wait_dscnt 0x0
	v_add_f32_e32 v13, v13, v3
.LBB231_24:
	ds_load_b32 v3, v8 offset:256
	v_cmp_ne_u32_e32 vcc_lo, 1, v12
	s_cbranch_vccnz .LBB231_26
; %bb.25:
	ds_load_b32 v4, v1 offset:256
	s_wait_dscnt 0x0
	v_add_f32_e32 v13, v13, v4
.LBB231_26:
	;; [unrolled: 8-line block ×6, first 2 shown]
	v_mbcnt_lo_u32_b32 v1, -1, 0
	s_wait_dscnt 0x6
	v_add_f32_e32 v0, v15, v0
	s_wait_dscnt 0x5
	s_delay_alu instid0(VALU_DEP_1) | instskip(SKIP_2) | instid1(VALU_DEP_2)
	v_add_f32_e32 v0, v0, v2
	v_xor_b32_e32 v2, 16, v1
	s_wait_dscnt 0x4
	v_add_f32_e32 v0, v0, v3
	s_delay_alu instid0(VALU_DEP_2) | instskip(SKIP_2) | instid1(VALU_DEP_3)
	v_cmp_gt_i32_e32 vcc_lo, 32, v2
	v_xor_b32_e32 v3, 8, v1
	s_wait_dscnt 0x3
	v_add_f32_e32 v0, v0, v4
	s_wait_alu 0xfffd
	v_cndmask_b32_e32 v2, v1, v2, vcc_lo
	v_cmp_gt_i32_e32 vcc_lo, 32, v3
	s_wait_dscnt 0x2
	s_wait_alu 0xfffd
	v_dual_add_f32 v0, v0, v5 :: v_dual_cndmask_b32 v3, v1, v3
	s_wait_dscnt 0x1
	s_delay_alu instid0(VALU_DEP_1) | instskip(SKIP_1) | instid1(VALU_DEP_1)
	v_dual_add_f32 v0, v0, v6 :: v_dual_lshlrev_b32 v3, 2, v3
	s_wait_dscnt 0x0
	v_add_f32_e32 v4, v0, v7
	v_lshlrev_b32_e32 v0, 2, v2
	ds_bpermute_b32 v2, v0, v4
	s_wait_dscnt 0x0
	v_add_f32_e32 v2, v4, v2
	v_xor_b32_e32 v4, 4, v1
	ds_bpermute_b32 v5, v3, v2
	v_cmp_gt_i32_e32 vcc_lo, 32, v4
	s_wait_alu 0xfffd
	v_cndmask_b32_e32 v4, v1, v4, vcc_lo
	s_delay_alu instid0(VALU_DEP_1)
	v_lshlrev_b32_e32 v4, 2, v4
	s_wait_dscnt 0x0
	v_add_f32_e32 v2, v2, v5
	v_xor_b32_e32 v5, 2, v1
	ds_bpermute_b32 v6, v4, v2
	v_cmp_gt_i32_e32 vcc_lo, 32, v5
	s_wait_alu 0xfffd
	v_cndmask_b32_e32 v5, v1, v5, vcc_lo
	s_wait_dscnt 0x0
	s_delay_alu instid0(VALU_DEP_1)
	v_dual_add_f32 v2, v2, v6 :: v_dual_lshlrev_b32 v5, 2, v5
	v_xor_b32_e32 v6, 1, v1
	ds_bpermute_b32 v7, v5, v2
	v_cmp_gt_i32_e32 vcc_lo, 32, v6
	s_wait_alu 0xfffd
	v_cndmask_b32_e32 v1, v1, v6, vcc_lo
	v_cmp_ne_u32_e32 vcc_lo, 1, v12
	s_delay_alu instid0(VALU_DEP_2)
	v_lshlrev_b32_e32 v6, 2, v1
	s_wait_dscnt 0x0
	v_add_f32_e32 v1, v2, v7
	ds_bpermute_b32 v2, v6, v1
	s_cbranch_vccnz .LBB231_36
; %bb.35:
	ds_bpermute_b32 v0, v0, v13
	s_wait_dscnt 0x0
	v_add_f32_e32 v0, v13, v0
	ds_bpermute_b32 v3, v3, v0
	s_wait_dscnt 0x0
	v_add_f32_e32 v0, v0, v3
	;; [unrolled: 3-line block ×5, first 2 shown]
.LBB231_36:
	v_cmp_eq_u32_e32 vcc_lo, 0, v9
	s_and_b32 exec_lo, exec_lo, vcc_lo
	s_cbranch_execz .LBB231_61
; %bb.37:
	s_wait_dscnt 0x0
	v_add_f32_e32 v0, v1, v2
	v_cmp_ne_u32_e32 vcc_lo, 1, v12
	s_delay_alu instid0(VALU_DEP_2) | instskip(NEXT) | instid1(VALU_DEP_1)
	v_add_f32_e32 v1, v11, v0
	v_cndmask_b32_e64 v0, v0, v1, s2
	s_cbranch_vccnz .LBB231_60
; %bb.38:
	v_add_f32_e32 v1, v10, v13
	s_wait_kmcnt 0x0
	s_cmp_lt_i32 s5, 2
	s_mov_b32 s2, 0
	s_delay_alu instid0(VALU_DEP_1)
	v_cndmask_b32_e64 v1, v13, v1, s3
	s_cbranch_scc1 .LBB231_43
; %bb.39:
	s_cmp_gt_i32 s5, 2
	s_cbranch_scc0 .LBB231_44
; %bb.40:
	s_cmp_eq_u32 s5, 3
	s_cbranch_scc0 .LBB231_45
; %bb.41:
	v_max_num_f32_e32 v2, v1, v1
	s_mov_b32 s3, 0xc0e00000
	s_delay_alu instid0(VALU_DEP_1) | instskip(NEXT) | instid1(VALU_DEP_1)
	v_min_num_f32_e32 v2, 0x40e00000, v2
	v_mul_f32_e32 v3, 0xbfd9db23, v2
	s_delay_alu instid0(VALU_DEP_1) | instskip(NEXT) | instid1(VALU_DEP_1)
	v_mul_f32_e32 v4, 0x3fb8aa3b, v3
	v_fma_f32 v5, 0x3fb8aa3b, v3, -v4
	v_rndne_f32_e32 v6, v4
	s_delay_alu instid0(VALU_DEP_1) | instskip(NEXT) | instid1(VALU_DEP_1)
	v_dual_fmamk_f32 v5, v3, 0x32a5705f, v5 :: v_dual_sub_f32 v4, v4, v6
	v_add_f32_e32 v4, v4, v5
	v_cvt_i32_f32_e32 v5, v6
	v_cmp_ngt_f32_e32 vcc_lo, 0xc2ce8ed0, v3
	s_delay_alu instid0(VALU_DEP_3) | instskip(NEXT) | instid1(TRANS32_DEP_1)
	v_exp_f32_e32 v4, v4
	v_ldexp_f32 v4, v4, v5
	s_wait_alu 0xfffd
	s_delay_alu instid0(VALU_DEP_1) | instskip(SKIP_2) | instid1(VALU_DEP_2)
	v_cndmask_b32_e32 v4, 0, v4, vcc_lo
	v_cmp_nlt_f32_e32 vcc_lo, 0x42b17218, v3
	s_wait_alu 0xfffd
	v_cndmask_b32_e32 v3, 0x7f800000, v4, vcc_lo
	s_delay_alu instid0(VALU_DEP_1) | instskip(NEXT) | instid1(VALU_DEP_1)
	v_add_f32_e32 v3, 1.0, v3
	v_div_scale_f32 v4, null, v3, v3, v2
	v_div_scale_f32 v7, vcc_lo, v2, v3, v2
	s_delay_alu instid0(VALU_DEP_2) | instskip(NEXT) | instid1(TRANS32_DEP_1)
	v_rcp_f32_e32 v5, v4
	v_fma_f32 v6, -v4, v5, 1.0
	s_delay_alu instid0(VALU_DEP_1) | instskip(NEXT) | instid1(VALU_DEP_1)
	v_fmac_f32_e32 v5, v6, v5
	v_mul_f32_e32 v6, v7, v5
	s_delay_alu instid0(VALU_DEP_1) | instskip(NEXT) | instid1(VALU_DEP_1)
	v_fma_f32 v9, -v4, v6, v7
	v_fmac_f32_e32 v6, v9, v5
	s_delay_alu instid0(VALU_DEP_1) | instskip(SKIP_2) | instid1(VALU_DEP_2)
	v_fma_f32 v4, -v4, v6, v7
	v_max_num_f32_e32 v7, v0, v0
	s_wait_alu 0xfffd
	v_div_fmas_f32 v4, v4, v5, v6
	s_wait_alu 0xfffe
	s_delay_alu instid0(VALU_DEP_2) | instskip(SKIP_1) | instid1(VALU_DEP_2)
	v_minmax_num_f32 v5, v7, 0x40e00000, s3
	s_mov_b32 s3, 0
	v_div_fixup_f32 v2, v4, v3, v2
	s_delay_alu instid0(VALU_DEP_2) | instskip(NEXT) | instid1(VALU_DEP_1)
	v_add_f32_e32 v3, 1.0, v5
	v_mul_f32_e32 v2, v3, v2
	s_branch .LBB231_46
.LBB231_42:
                                        ; implicit-def: $sgpr28
	s_clause 0x1
	s_load_b32 s29, s[0:1], 0x50
	s_load_b32 s30, s[0:1], 0x78
	s_branch .LBB231_2
.LBB231_43:
	s_mov_b32 s3, 0
                                        ; implicit-def: $vgpr2
	s_cbranch_execnz .LBB231_50
	s_branch .LBB231_51
.LBB231_44:
	s_mov_b32 s4, -1
	s_mov_b32 s3, 0
                                        ; implicit-def: $vgpr2
	s_branch .LBB231_47
.LBB231_45:
	s_mov_b32 s3, -1
                                        ; implicit-def: $vgpr2
.LBB231_46:
	s_mov_b32 s4, 0
.LBB231_47:
	s_wait_alu 0xfffe
	s_and_b32 vcc_lo, exec_lo, s4
	s_wait_alu 0xfffe
	s_cbranch_vccz .LBB231_49
; %bb.48:
	v_mul_f32_e32 v2, 0xbfb8aa3b, v1
	v_cmp_nlt_f32_e32 vcc_lo, 0x42ce8ed0, v1
	s_delay_alu instid0(VALU_DEP_2) | instskip(SKIP_1) | instid1(VALU_DEP_2)
	v_rndne_f32_e32 v3, v2
	v_fma_f32 v4, 0xbfb8aa3b, v1, -v2
	v_sub_f32_e32 v2, v2, v3
	s_delay_alu instid0(VALU_DEP_2) | instskip(SKIP_1) | instid1(VALU_DEP_2)
	v_fmamk_f32 v4, v1, 0xb2a5705f, v4
	v_cvt_i32_f32_e32 v3, v3
	v_add_f32_e32 v2, v2, v4
	s_delay_alu instid0(VALU_DEP_1) | instskip(NEXT) | instid1(TRANS32_DEP_1)
	v_exp_f32_e32 v2, v2
	v_ldexp_f32 v2, v2, v3
	s_wait_alu 0xfffd
	s_delay_alu instid0(VALU_DEP_1) | instskip(SKIP_2) | instid1(VALU_DEP_2)
	v_cndmask_b32_e32 v2, 0, v2, vcc_lo
	v_cmp_ngt_f32_e32 vcc_lo, 0xc2b17218, v1
	s_wait_alu 0xfffd
	v_cndmask_b32_e32 v2, 0x7f800000, v2, vcc_lo
	s_delay_alu instid0(VALU_DEP_1) | instskip(NEXT) | instid1(VALU_DEP_1)
	v_add_f32_e32 v2, 1.0, v2
	v_div_scale_f32 v3, null, v2, v2, v1
	s_delay_alu instid0(VALU_DEP_1) | instskip(NEXT) | instid1(TRANS32_DEP_1)
	v_rcp_f32_e32 v4, v3
	v_fma_f32 v5, -v3, v4, 1.0
	s_delay_alu instid0(VALU_DEP_1) | instskip(SKIP_1) | instid1(VALU_DEP_1)
	v_fmac_f32_e32 v4, v5, v4
	v_div_scale_f32 v5, vcc_lo, v1, v2, v1
	v_mul_f32_e32 v6, v5, v4
	s_delay_alu instid0(VALU_DEP_1) | instskip(NEXT) | instid1(VALU_DEP_1)
	v_fma_f32 v7, -v3, v6, v5
	v_fmac_f32_e32 v6, v7, v4
	s_delay_alu instid0(VALU_DEP_1) | instskip(SKIP_1) | instid1(VALU_DEP_1)
	v_fma_f32 v3, -v3, v6, v5
	s_wait_alu 0xfffd
	v_div_fmas_f32 v3, v3, v4, v6
	s_delay_alu instid0(VALU_DEP_1) | instskip(NEXT) | instid1(VALU_DEP_1)
	v_div_fixup_f32 v2, v3, v2, v1
	v_mul_f32_e32 v2, v0, v2
.LBB231_49:
	s_branch .LBB231_51
.LBB231_50:
	s_cmp_lg_u32 s5, 1
	s_mov_b32 s2, -1
	s_cselect_b32 s3, -1, 0
.LBB231_51:
	s_wait_alu 0xfffe
	s_and_not1_b32 vcc_lo, exec_lo, s3
	s_wait_alu 0xfffe
	s_cbranch_vccz .LBB231_53
; %bb.52:
	s_and_not1_b32 vcc_lo, exec_lo, s2
	s_wait_alu 0xfffe
	s_cbranch_vccz .LBB231_54
	s_branch .LBB231_59
.LBB231_53:
	v_mul_f32_e32 v2, v1, v0
	s_cbranch_execnz .LBB231_59
.LBB231_54:
	v_mul_f32_e32 v2, 0x3d372713, v1
	v_mul_f32_e32 v3, 0x3f4c422a, v1
	s_delay_alu instid0(VALU_DEP_2) | instskip(NEXT) | instid1(VALU_DEP_1)
	v_fma_f32 v2, v1, v2, 1.0
	v_mul_f32_e32 v2, v3, v2
                                        ; implicit-def: $vgpr3
	s_delay_alu instid0(VALU_DEP_1)
	v_cmp_ngt_f32_e64 s2, 0x3f200000, |v2|
	s_and_saveexec_b32 s3, s2
	s_wait_alu 0xfffe
	s_xor_b32 s2, exec_lo, s3
	s_cbranch_execz .LBB231_56
; %bb.55:
	v_add_f32_e64 v3, |v2|, |v2|
	s_delay_alu instid0(VALU_DEP_1) | instskip(SKIP_1) | instid1(VALU_DEP_2)
	v_mul_f32_e32 v4, 0x3fb8aa3b, v3
	v_cmp_ngt_f32_e32 vcc_lo, 0xc2ce8ed0, v3
	v_rndne_f32_e32 v5, v4
	v_fma_f32 v6, 0x3fb8aa3b, v3, -v4
	s_delay_alu instid0(VALU_DEP_2) | instskip(NEXT) | instid1(VALU_DEP_2)
	v_sub_f32_e32 v4, v4, v5
	v_fmamk_f32 v6, v3, 0x32a5705f, v6
	v_cvt_i32_f32_e32 v5, v5
	s_delay_alu instid0(VALU_DEP_2) | instskip(NEXT) | instid1(VALU_DEP_1)
	v_add_f32_e32 v4, v4, v6
	v_exp_f32_e32 v4, v4
	s_delay_alu instid0(TRANS32_DEP_1) | instskip(SKIP_1) | instid1(VALU_DEP_1)
	v_ldexp_f32 v4, v4, v5
	s_wait_alu 0xfffd
	v_cndmask_b32_e32 v4, 0, v4, vcc_lo
	v_cmp_nlt_f32_e32 vcc_lo, 0x42b17218, v3
	s_wait_alu 0xfffd
	s_delay_alu instid0(VALU_DEP_2) | instskip(NEXT) | instid1(VALU_DEP_1)
	v_cndmask_b32_e32 v3, 0x7f800000, v4, vcc_lo
	v_add_f32_e32 v3, 1.0, v3
	s_delay_alu instid0(VALU_DEP_1) | instskip(NEXT) | instid1(TRANS32_DEP_1)
	v_rcp_f32_e32 v3, v3
	v_fma_f32 v3, v3, -2.0, 1.0
.LBB231_56:
	s_wait_alu 0xfffe
	s_and_not1_saveexec_b32 s2, s2
	s_cbranch_execz .LBB231_58
; %bb.57:
	v_mul_f32_e32 v3, v2, v2
	s_mov_b32 s3, 0xbbbac73d
	s_wait_alu 0xfffe
	s_delay_alu instid0(VALU_DEP_1) | instskip(NEXT) | instid1(VALU_DEP_1)
	v_fmaak_f32 v4, s3, v3, 0x3ca908c9
	v_fmaak_f32 v4, v3, v4, 0xbd5c1c4e
	s_delay_alu instid0(VALU_DEP_1) | instskip(NEXT) | instid1(VALU_DEP_1)
	v_fmaak_f32 v4, v3, v4, 0x3e088382
	v_fmaak_f32 v4, v3, v4, 0xbeaaaa99
	s_delay_alu instid0(VALU_DEP_1) | instskip(NEXT) | instid1(VALU_DEP_1)
	v_mul_f32_e64 v4, |v2|, v4
	v_fma_f32 v3, v3, v4, |v2|
.LBB231_58:
	s_wait_alu 0xfffe
	s_or_b32 exec_lo, exec_lo, s2
	s_delay_alu instid0(VALU_DEP_1) | instskip(NEXT) | instid1(VALU_DEP_1)
	v_bfi_b32 v2, 0x7fffffff, v3, v2
	v_dual_mul_f32 v1, 0.5, v1 :: v_dual_add_f32 v2, 1.0, v2
	s_delay_alu instid0(VALU_DEP_1) | instskip(NEXT) | instid1(VALU_DEP_1)
	v_mul_f32_e32 v1, v1, v2
	v_mul_f32_e32 v2, v0, v1
.LBB231_59:
	s_delay_alu instid0(VALU_DEP_1)
	v_mov_b32_e32 v0, v2
.LBB231_60:
	s_load_b64 s[0:1], s[0:1], 0x38
	s_mul_i32 s2, s6, s27
	s_wait_kmcnt 0x0
	s_mul_i32 s3, s26, s21
	s_wait_alu 0xfffe
	s_add_co_i32 s2, s2, ttmp9
	s_wait_alu 0xfffe
	s_add_co_i32 s2, s2, s3
	s_mov_b32 s3, 0
	s_wait_alu 0xfffe
	s_lshl_b64 s[2:3], s[2:3], 2
	s_wait_alu 0xfffe
	s_add_nc_u64 s[0:1], s[0:1], s[2:3]
	global_store_b32 v8, v0, s[0:1]
.LBB231_61:
	s_endpgm
	.section	.rodata,"a",@progbits
	.p2align	6, 0x0
	.amdhsa_kernel _ZL13mul_mat_vec_qIL9ggml_type20ELi1ELb1ELb0EEvPKvS2_PKi31ggml_cuda_mm_fusion_args_devicePfj15HIP_vector_typeIjLj3EEjjjS8_jjjS8_jjjj
		.amdhsa_group_segment_fixed_size 1792
		.amdhsa_private_segment_fixed_size 0
		.amdhsa_kernarg_size 144
		.amdhsa_user_sgpr_count 2
		.amdhsa_user_sgpr_dispatch_ptr 0
		.amdhsa_user_sgpr_queue_ptr 0
		.amdhsa_user_sgpr_kernarg_segment_ptr 1
		.amdhsa_user_sgpr_dispatch_id 0
		.amdhsa_user_sgpr_private_segment_size 0
		.amdhsa_wavefront_size32 1
		.amdhsa_uses_dynamic_stack 0
		.amdhsa_enable_private_segment 0
		.amdhsa_system_sgpr_workgroup_id_x 1
		.amdhsa_system_sgpr_workgroup_id_y 1
		.amdhsa_system_sgpr_workgroup_id_z 1
		.amdhsa_system_sgpr_workgroup_info 0
		.amdhsa_system_vgpr_workitem_id 1
		.amdhsa_next_free_vgpr 32
		.amdhsa_next_free_sgpr 38
		.amdhsa_reserve_vcc 1
		.amdhsa_float_round_mode_32 0
		.amdhsa_float_round_mode_16_64 0
		.amdhsa_float_denorm_mode_32 3
		.amdhsa_float_denorm_mode_16_64 3
		.amdhsa_fp16_overflow 0
		.amdhsa_workgroup_processor_mode 1
		.amdhsa_memory_ordered 1
		.amdhsa_forward_progress 1
		.amdhsa_inst_pref_size 27
		.amdhsa_round_robin_scheduling 0
		.amdhsa_exception_fp_ieee_invalid_op 0
		.amdhsa_exception_fp_denorm_src 0
		.amdhsa_exception_fp_ieee_div_zero 0
		.amdhsa_exception_fp_ieee_overflow 0
		.amdhsa_exception_fp_ieee_underflow 0
		.amdhsa_exception_fp_ieee_inexact 0
		.amdhsa_exception_int_div_zero 0
	.end_amdhsa_kernel
	.section	.text._ZL13mul_mat_vec_qIL9ggml_type20ELi1ELb1ELb0EEvPKvS2_PKi31ggml_cuda_mm_fusion_args_devicePfj15HIP_vector_typeIjLj3EEjjjS8_jjjS8_jjjj,"axG",@progbits,_ZL13mul_mat_vec_qIL9ggml_type20ELi1ELb1ELb0EEvPKvS2_PKi31ggml_cuda_mm_fusion_args_devicePfj15HIP_vector_typeIjLj3EEjjjS8_jjjS8_jjjj,comdat
.Lfunc_end231:
	.size	_ZL13mul_mat_vec_qIL9ggml_type20ELi1ELb1ELb0EEvPKvS2_PKi31ggml_cuda_mm_fusion_args_devicePfj15HIP_vector_typeIjLj3EEjjjS8_jjjS8_jjjj, .Lfunc_end231-_ZL13mul_mat_vec_qIL9ggml_type20ELi1ELb1ELb0EEvPKvS2_PKi31ggml_cuda_mm_fusion_args_devicePfj15HIP_vector_typeIjLj3EEjjjS8_jjjS8_jjjj
                                        ; -- End function
	.set _ZL13mul_mat_vec_qIL9ggml_type20ELi1ELb1ELb0EEvPKvS2_PKi31ggml_cuda_mm_fusion_args_devicePfj15HIP_vector_typeIjLj3EEjjjS8_jjjS8_jjjj.num_vgpr, 32
	.set _ZL13mul_mat_vec_qIL9ggml_type20ELi1ELb1ELb0EEvPKvS2_PKi31ggml_cuda_mm_fusion_args_devicePfj15HIP_vector_typeIjLj3EEjjjS8_jjjS8_jjjj.num_agpr, 0
	.set _ZL13mul_mat_vec_qIL9ggml_type20ELi1ELb1ELb0EEvPKvS2_PKi31ggml_cuda_mm_fusion_args_devicePfj15HIP_vector_typeIjLj3EEjjjS8_jjjS8_jjjj.numbered_sgpr, 38
	.set _ZL13mul_mat_vec_qIL9ggml_type20ELi1ELb1ELb0EEvPKvS2_PKi31ggml_cuda_mm_fusion_args_devicePfj15HIP_vector_typeIjLj3EEjjjS8_jjjS8_jjjj.num_named_barrier, 0
	.set _ZL13mul_mat_vec_qIL9ggml_type20ELi1ELb1ELb0EEvPKvS2_PKi31ggml_cuda_mm_fusion_args_devicePfj15HIP_vector_typeIjLj3EEjjjS8_jjjS8_jjjj.private_seg_size, 0
	.set _ZL13mul_mat_vec_qIL9ggml_type20ELi1ELb1ELb0EEvPKvS2_PKi31ggml_cuda_mm_fusion_args_devicePfj15HIP_vector_typeIjLj3EEjjjS8_jjjS8_jjjj.uses_vcc, 1
	.set _ZL13mul_mat_vec_qIL9ggml_type20ELi1ELb1ELb0EEvPKvS2_PKi31ggml_cuda_mm_fusion_args_devicePfj15HIP_vector_typeIjLj3EEjjjS8_jjjS8_jjjj.uses_flat_scratch, 0
	.set _ZL13mul_mat_vec_qIL9ggml_type20ELi1ELb1ELb0EEvPKvS2_PKi31ggml_cuda_mm_fusion_args_devicePfj15HIP_vector_typeIjLj3EEjjjS8_jjjS8_jjjj.has_dyn_sized_stack, 0
	.set _ZL13mul_mat_vec_qIL9ggml_type20ELi1ELb1ELb0EEvPKvS2_PKi31ggml_cuda_mm_fusion_args_devicePfj15HIP_vector_typeIjLj3EEjjjS8_jjjS8_jjjj.has_recursion, 0
	.set _ZL13mul_mat_vec_qIL9ggml_type20ELi1ELb1ELb0EEvPKvS2_PKi31ggml_cuda_mm_fusion_args_devicePfj15HIP_vector_typeIjLj3EEjjjS8_jjjS8_jjjj.has_indirect_call, 0
	.section	.AMDGPU.csdata,"",@progbits
; Kernel info:
; codeLenInByte = 3372
; TotalNumSgprs: 40
; NumVgprs: 32
; ScratchSize: 0
; MemoryBound: 0
; FloatMode: 240
; IeeeMode: 1
; LDSByteSize: 1792 bytes/workgroup (compile time only)
; SGPRBlocks: 0
; VGPRBlocks: 3
; NumSGPRsForWavesPerEU: 40
; NumVGPRsForWavesPerEU: 32
; Occupancy: 16
; WaveLimiterHint : 0
; COMPUTE_PGM_RSRC2:SCRATCH_EN: 0
; COMPUTE_PGM_RSRC2:USER_SGPR: 2
; COMPUTE_PGM_RSRC2:TRAP_HANDLER: 0
; COMPUTE_PGM_RSRC2:TGID_X_EN: 1
; COMPUTE_PGM_RSRC2:TGID_Y_EN: 1
; COMPUTE_PGM_RSRC2:TGID_Z_EN: 1
; COMPUTE_PGM_RSRC2:TIDIG_COMP_CNT: 1
	.section	.text._ZL13mul_mat_vec_qIL9ggml_type20ELi1ELb0ELb0EEvPKvS2_PKi31ggml_cuda_mm_fusion_args_devicePfj15HIP_vector_typeIjLj3EEjjjS8_jjjS8_jjjj,"axG",@progbits,_ZL13mul_mat_vec_qIL9ggml_type20ELi1ELb0ELb0EEvPKvS2_PKi31ggml_cuda_mm_fusion_args_devicePfj15HIP_vector_typeIjLj3EEjjjS8_jjjS8_jjjj,comdat
	.globl	_ZL13mul_mat_vec_qIL9ggml_type20ELi1ELb0ELb0EEvPKvS2_PKi31ggml_cuda_mm_fusion_args_devicePfj15HIP_vector_typeIjLj3EEjjjS8_jjjS8_jjjj ; -- Begin function _ZL13mul_mat_vec_qIL9ggml_type20ELi1ELb0ELb0EEvPKvS2_PKi31ggml_cuda_mm_fusion_args_devicePfj15HIP_vector_typeIjLj3EEjjjS8_jjjS8_jjjj
	.p2align	8
	.type	_ZL13mul_mat_vec_qIL9ggml_type20ELi1ELb0ELb0EEvPKvS2_PKi31ggml_cuda_mm_fusion_args_devicePfj15HIP_vector_typeIjLj3EEjjjS8_jjjS8_jjjj,@function
_ZL13mul_mat_vec_qIL9ggml_type20ELi1ELb0ELb0EEvPKvS2_PKi31ggml_cuda_mm_fusion_args_devicePfj15HIP_vector_typeIjLj3EEjjjS8_jjjS8_jjjj: ; @_ZL13mul_mat_vec_qIL9ggml_type20ELi1ELb0ELb0EEvPKvS2_PKi31ggml_cuda_mm_fusion_args_devicePfj15HIP_vector_typeIjLj3EEjjjS8_jjjS8_jjjj
; %bb.0:
	s_clause 0x1
	s_load_b64 s[2:3], s[0:1], 0x10
	s_load_b128 s[8:11], s[0:1], 0x40
	s_and_b32 s15, ttmp7, 0xffff
	s_wait_kmcnt 0x0
	s_cmp_lg_u64 s[2:3], 0
	s_cselect_b32 s12, -1, 0
	s_cmp_eq_u64 s[2:3], 0
	s_cbranch_scc1 .LBB232_15
; %bb.1:
	s_lshl_b32 s4, s15, 2
	s_load_b32 s19, s[2:3], s4 offset:0x0
	s_clause 0x1
	s_load_b128 s[4:7], s[0:1], 0x68
	s_load_b32 s20, s[0:1], 0x50
	s_cbranch_execnz .LBB232_3
.LBB232_2:
	s_load_b64 s[2:3], s[0:1], 0x5c
	s_wait_kmcnt 0x0
	s_mul_hi_u32 s2, s2, s15
	s_delay_alu instid0(SALU_CYCLE_1) | instskip(NEXT) | instid1(SALU_CYCLE_1)
	s_add_co_i32 s2, s15, s2
	s_lshr_b32 s19, s2, s3
.LBB232_3:
	s_load_b32 s21, s[0:1], 0x78
	s_and_not1_b32 vcc_lo, exec_lo, s12
	s_mov_b32 s22, s15
	s_cbranch_vccnz .LBB232_5
; %bb.4:
	s_mul_hi_u32 s2, s9, s15
	s_delay_alu instid0(SALU_CYCLE_1) | instskip(NEXT) | instid1(SALU_CYCLE_1)
	s_add_co_i32 s2, s15, s2
	s_lshr_b32 s2, s2, s10
	s_delay_alu instid0(SALU_CYCLE_1) | instskip(NEXT) | instid1(SALU_CYCLE_1)
	s_mul_i32 s2, s2, s11
	s_sub_co_i32 s22, s15, s2
.LBB232_5:
	v_bfe_u32 v4, v0, 10, 10
	v_dual_mov_b32 v5, 0 :: v_dual_and_b32 v2, 0x3ff, v0
	s_load_b96 s[12:14], s[0:1], 0x80
	s_lshr_b32 s17, s8, 5
	s_delay_alu instid0(VALU_DEP_2) | instskip(NEXT) | instid1(VALU_DEP_2)
	v_lshlrev_b32_e32 v0, 5, v4
	v_lshlrev_b32_e32 v3, 2, v2
	s_lshr_b32 s16, ttmp7, 16
	s_mov_b32 s18, exec_lo
	s_delay_alu instid0(VALU_DEP_2) | instskip(NEXT) | instid1(VALU_DEP_1)
	v_add_nc_u16 v1, v0, v2
	v_lshrrev_b16 v1, 1, v1
	s_delay_alu instid0(VALU_DEP_1) | instskip(NEXT) | instid1(VALU_DEP_1)
	v_and_b32_e32 v6, 0xffff, v1
	v_cmpx_gt_u32_e64 s17, v6
	s_cbranch_execz .LBB232_9
; %bb.6:
	s_load_b128 s[8:11], s[0:1], 0x0
	s_wait_kmcnt 0x0
	s_mul_hi_u32 s7, s7, s16
	v_dual_mov_b32 v5, 0 :: v_dual_add_nc_u32 v0, v0, v2
	s_mul_i32 s22, s22, s5
	s_add_co_i32 s5, s16, s7
	s_mul_i32 s2, s13, s16
	s_mov_b32 s3, 0
	s_lshr_b32 s5, s5, s21
	s_mov_b32 s23, s3
	s_mul_i32 s20, s20, ttmp9
	s_mul_i32 s5, s5, s12
	s_mul_u64 s[12:13], s[2:3], 36
	v_lshrrev_b32_e32 v0, 1, v0
	s_add_co_i32 s5, s5, s20
	s_mul_u64 s[20:21], s[22:23], 36
	v_and_b32_e32 v8, 4, v3
	v_and_b32_e32 v7, 1, v2
	s_mul_i32 s4, s19, s4
	s_mov_b32 s7, 0x71594535
	s_add_nc_u64 s[10:11], s[10:11], s[12:13]
	v_lshlrev_b32_e32 v8, 1, v8
	s_add_nc_u64 s[10:11], s[10:11], s[20:21]
	v_lshlrev_b32_e32 v7, 3, v7
	v_mad_co_u64_u32 v[0:1], null, v0, 36, s[10:11]
	s_add_co_i32 s4, s4, s5
	s_mov_b32 s5, 0xf6eaddcf
	s_mov_b32 s10, 0x4040404
.LBB232_7:                              ; =>This Inner Loop Header: Depth=1
	v_add_nc_u32_e32 v9, s4, v6
	v_add_nc_u32_e32 v6, 0x80, v6
	s_delay_alu instid0(VALU_DEP_2) | instskip(NEXT) | instid1(VALU_DEP_2)
	v_mad_co_i64_i32 v[9:10], null, v9, 18, s[8:9]
	v_cmp_le_u32_e64 s2, s17, v6
	s_or_b32 s3, s2, s3
	v_add_co_u32 v11, vcc_lo, v9, v8
	s_wait_alu 0xfffd
	v_add_co_ci_u32_e64 v12, null, 0, v10, vcc_lo
	v_add_co_u32 v13, vcc_lo, v0, v7
	s_wait_alu 0xfffd
	v_add_co_ci_u32_e64 v14, null, 0, v1, vcc_lo
	global_load_b64 v[11:12], v[11:12], off offset:2
	s_clause 0x2
	global_load_b64 v[15:16], v[13:14], off offset:4
	global_load_b64 v[13:14], v[13:14], off offset:20
	global_load_b32 v17, v[0:1], off
	global_load_u16 v9, v[9:10], off
	v_add_co_u32 v0, vcc_lo, 0x1200, v0
	s_wait_alu 0xfffd
	v_add_co_ci_u32_e64 v1, null, 0, v1, vcc_lo
	s_wait_loadcnt 0x4
	v_ashrrev_i32_e32 v10, 4, v11
	v_ashrrev_i32_e32 v19, 4, v12
	v_and_b32_e32 v20, 0x7070707, v12
	s_wait_loadcnt 0x0
	v_cvt_f32_f16_e32 v9, v9
	v_and_b32_e32 v18, 0x7070707, v11
	v_lshrrev_b32_e32 v11, 1, v11
	v_and_b32_e32 v22, 0x7070707, v10
	v_lshrrev_b32_e32 v10, 1, v10
	v_lshrrev_b32_e32 v12, 1, v12
	v_perm_b32 v21, s5, 0xbfad9881, v18
	v_perm_b32 v18, s7, 0x26190d01, v18
	s_wait_alu 0xfffe
	v_and_or_b32 v11, v11, s10, 0x3020100
	v_perm_b32 v25, s5, 0xbfad9881, v22
	v_perm_b32 v22, s7, 0x26190d01, v22
	v_and_or_b32 v10, v10, s10, 0x3020100
	v_perm_b32 v23, s5, 0xbfad9881, v20
	v_perm_b32 v11, v18, v21, v11
	v_and_b32_e32 v24, 0x7070707, v19
	v_perm_b32 v20, s7, 0x26190d01, v20
	v_and_or_b32 v12, v12, s10, 0x3020100
	v_lshrrev_b32_e32 v18, 1, v19
	v_perm_b32 v10, v22, v25, v10
	v_dot4_i32_iu8 v11, v11, v15, 0 neg_lo:[1,1,0]
	v_perm_b32 v19, s5, 0xbfad9881, v24
	v_perm_b32 v15, s7, 0x26190d01, v24
	;; [unrolled: 1-line block ×3, first 2 shown]
	v_and_or_b32 v18, v18, s10, 0x3020100
	v_dot4_i32_iu8 v10, v10, v13, v11 neg_lo:[1,1,0]
	s_delay_alu instid0(VALU_DEP_2) | instskip(NEXT) | instid1(VALU_DEP_2)
	v_perm_b32 v11, v15, v19, v18
	v_dot4_i32_iu8 v10, v12, v16, v10 neg_lo:[1,1,0]
	v_cvt_f32_f16_e32 v12, v17
	s_delay_alu instid0(VALU_DEP_2) | instskip(NEXT) | instid1(VALU_DEP_2)
	v_dot4_i32_iu8 v10, v11, v14, v10 neg_lo:[1,1,0]
	v_mul_f32_e32 v9, v9, v12
	s_delay_alu instid0(VALU_DEP_2) | instskip(NEXT) | instid1(VALU_DEP_1)
	v_cvt_f32_i32_e32 v10, v10
	v_fmac_f32_e32 v5, v9, v10
	s_and_not1_b32 exec_lo, exec_lo, s3
	s_cbranch_execnz .LBB232_7
; %bb.8:
	s_or_b32 exec_lo, exec_lo, s3
.LBB232_9:
	s_delay_alu instid0(SALU_CYCLE_1) | instskip(NEXT) | instid1(SALU_CYCLE_1)
	s_or_b32 exec_lo, exec_lo, s18
	s_mov_b32 s3, exec_lo
	v_cmp_eq_u32_e32 vcc_lo, 0, v4
	v_cmpx_ne_u32_e32 0, v4
; %bb.10:
	v_lshlrev_b32_e32 v0, 7, v4
	s_delay_alu instid0(VALU_DEP_1)
	v_add3_u32 v0, v0, v3, 0xffffff80
	ds_store_b32 v0, v5
; %bb.11:
	s_or_b32 exec_lo, exec_lo, s3
	s_wait_dscnt 0x0
	s_barrier_signal -1
	s_barrier_wait -1
	global_inv scope:SCOPE_SE
	s_and_saveexec_b32 s2, vcc_lo
	s_cbranch_execz .LBB232_14
; %bb.12:
	ds_load_2addr_b32 v[0:1], v3 offset1:32
	ds_load_2addr_b32 v[6:7], v3 offset0:64 offset1:96
	ds_load_2addr_b32 v[8:9], v3 offset0:128 offset1:160
	s_mov_b32 s3, 0
	s_wait_dscnt 0x2
	v_add_f32_e32 v0, v5, v0
	s_delay_alu instid0(VALU_DEP_1) | instskip(SKIP_4) | instid1(VALU_DEP_2)
	v_add_f32_e32 v0, v0, v1
	ds_load_b32 v1, v3 offset:768
	v_mbcnt_lo_u32_b32 v3, -1, 0
	s_wait_dscnt 0x2
	v_add_f32_e32 v0, v0, v6
	v_xor_b32_e32 v4, 16, v3
	s_delay_alu instid0(VALU_DEP_2) | instskip(NEXT) | instid1(VALU_DEP_2)
	v_add_f32_e32 v0, v0, v7
	v_cmp_gt_i32_e32 vcc_lo, 32, v4
	s_wait_dscnt 0x1
	s_delay_alu instid0(VALU_DEP_2) | instskip(SKIP_2) | instid1(VALU_DEP_2)
	v_add_f32_e32 v0, v0, v8
	s_wait_alu 0xfffd
	v_cndmask_b32_e32 v4, v3, v4, vcc_lo
	v_add_f32_e32 v0, v0, v9
	s_wait_dscnt 0x0
	s_delay_alu instid0(VALU_DEP_1)
	v_dual_add_f32 v0, v0, v1 :: v_dual_lshlrev_b32 v1, 2, v4
	v_xor_b32_e32 v4, 8, v3
	ds_bpermute_b32 v1, v1, v0
	v_cmp_gt_i32_e32 vcc_lo, 32, v4
	s_wait_alu 0xfffd
	v_cndmask_b32_e32 v4, v3, v4, vcc_lo
	s_delay_alu instid0(VALU_DEP_1) | instskip(SKIP_4) | instid1(VALU_DEP_1)
	v_lshlrev_b32_e32 v4, 2, v4
	s_wait_dscnt 0x0
	v_add_f32_e32 v0, v0, v1
	ds_bpermute_b32 v1, v4, v0
	v_xor_b32_e32 v4, 4, v3
	v_cmp_gt_i32_e32 vcc_lo, 32, v4
	s_wait_alu 0xfffd
	v_cndmask_b32_e32 v4, v3, v4, vcc_lo
	s_delay_alu instid0(VALU_DEP_1) | instskip(SKIP_4) | instid1(VALU_DEP_1)
	v_lshlrev_b32_e32 v4, 2, v4
	s_wait_dscnt 0x0
	v_add_f32_e32 v0, v0, v1
	ds_bpermute_b32 v1, v4, v0
	v_xor_b32_e32 v4, 2, v3
	;; [unrolled: 9-line block ×3, first 2 shown]
	v_cmp_gt_i32_e32 vcc_lo, 32, v4
	s_wait_alu 0xfffd
	v_cndmask_b32_e32 v3, v3, v4, vcc_lo
	v_cmp_eq_u32_e32 vcc_lo, 0, v2
	s_wait_dscnt 0x0
	s_delay_alu instid0(VALU_DEP_2)
	v_dual_add_f32 v0, v0, v1 :: v_dual_lshlrev_b32 v3, 2, v3
	ds_bpermute_b32 v1, v3, v0
	s_and_b32 exec_lo, exec_lo, vcc_lo
	s_cbranch_execz .LBB232_14
; %bb.13:
	s_load_b64 s[0:1], s[0:1], 0x38
	s_wait_kmcnt 0x0
	s_mul_i32 s2, s6, s15
	s_mul_i32 s4, s14, s16
	s_add_co_i32 s2, s2, ttmp9
	v_mov_b32_e32 v2, 0
	s_wait_alu 0xfffe
	s_add_co_i32 s2, s2, s4
	s_wait_dscnt 0x0
	v_add_f32_e32 v0, v0, v1
	s_lshl_b64 s[2:3], s[2:3], 2
	s_delay_alu instid0(SALU_CYCLE_1)
	s_add_nc_u64 s[0:1], s[0:1], s[2:3]
	global_store_b32 v2, v0, s[0:1]
.LBB232_14:
	s_endpgm
.LBB232_15:
                                        ; implicit-def: $sgpr19
	s_clause 0x1
	s_load_b128 s[4:7], s[0:1], 0x68
	s_load_b32 s20, s[0:1], 0x50
	s_branch .LBB232_2
	.section	.rodata,"a",@progbits
	.p2align	6, 0x0
	.amdhsa_kernel _ZL13mul_mat_vec_qIL9ggml_type20ELi1ELb0ELb0EEvPKvS2_PKi31ggml_cuda_mm_fusion_args_devicePfj15HIP_vector_typeIjLj3EEjjjS8_jjjS8_jjjj
		.amdhsa_group_segment_fixed_size 896
		.amdhsa_private_segment_fixed_size 0
		.amdhsa_kernarg_size 144
		.amdhsa_user_sgpr_count 2
		.amdhsa_user_sgpr_dispatch_ptr 0
		.amdhsa_user_sgpr_queue_ptr 0
		.amdhsa_user_sgpr_kernarg_segment_ptr 1
		.amdhsa_user_sgpr_dispatch_id 0
		.amdhsa_user_sgpr_private_segment_size 0
		.amdhsa_wavefront_size32 1
		.amdhsa_uses_dynamic_stack 0
		.amdhsa_enable_private_segment 0
		.amdhsa_system_sgpr_workgroup_id_x 1
		.amdhsa_system_sgpr_workgroup_id_y 1
		.amdhsa_system_sgpr_workgroup_id_z 1
		.amdhsa_system_sgpr_workgroup_info 0
		.amdhsa_system_vgpr_workitem_id 1
		.amdhsa_next_free_vgpr 26
		.amdhsa_next_free_sgpr 24
		.amdhsa_reserve_vcc 1
		.amdhsa_float_round_mode_32 0
		.amdhsa_float_round_mode_16_64 0
		.amdhsa_float_denorm_mode_32 3
		.amdhsa_float_denorm_mode_16_64 3
		.amdhsa_fp16_overflow 0
		.amdhsa_workgroup_processor_mode 1
		.amdhsa_memory_ordered 1
		.amdhsa_forward_progress 1
		.amdhsa_inst_pref_size 11
		.amdhsa_round_robin_scheduling 0
		.amdhsa_exception_fp_ieee_invalid_op 0
		.amdhsa_exception_fp_denorm_src 0
		.amdhsa_exception_fp_ieee_div_zero 0
		.amdhsa_exception_fp_ieee_overflow 0
		.amdhsa_exception_fp_ieee_underflow 0
		.amdhsa_exception_fp_ieee_inexact 0
		.amdhsa_exception_int_div_zero 0
	.end_amdhsa_kernel
	.section	.text._ZL13mul_mat_vec_qIL9ggml_type20ELi1ELb0ELb0EEvPKvS2_PKi31ggml_cuda_mm_fusion_args_devicePfj15HIP_vector_typeIjLj3EEjjjS8_jjjS8_jjjj,"axG",@progbits,_ZL13mul_mat_vec_qIL9ggml_type20ELi1ELb0ELb0EEvPKvS2_PKi31ggml_cuda_mm_fusion_args_devicePfj15HIP_vector_typeIjLj3EEjjjS8_jjjS8_jjjj,comdat
.Lfunc_end232:
	.size	_ZL13mul_mat_vec_qIL9ggml_type20ELi1ELb0ELb0EEvPKvS2_PKi31ggml_cuda_mm_fusion_args_devicePfj15HIP_vector_typeIjLj3EEjjjS8_jjjS8_jjjj, .Lfunc_end232-_ZL13mul_mat_vec_qIL9ggml_type20ELi1ELb0ELb0EEvPKvS2_PKi31ggml_cuda_mm_fusion_args_devicePfj15HIP_vector_typeIjLj3EEjjjS8_jjjS8_jjjj
                                        ; -- End function
	.set _ZL13mul_mat_vec_qIL9ggml_type20ELi1ELb0ELb0EEvPKvS2_PKi31ggml_cuda_mm_fusion_args_devicePfj15HIP_vector_typeIjLj3EEjjjS8_jjjS8_jjjj.num_vgpr, 26
	.set _ZL13mul_mat_vec_qIL9ggml_type20ELi1ELb0ELb0EEvPKvS2_PKi31ggml_cuda_mm_fusion_args_devicePfj15HIP_vector_typeIjLj3EEjjjS8_jjjS8_jjjj.num_agpr, 0
	.set _ZL13mul_mat_vec_qIL9ggml_type20ELi1ELb0ELb0EEvPKvS2_PKi31ggml_cuda_mm_fusion_args_devicePfj15HIP_vector_typeIjLj3EEjjjS8_jjjS8_jjjj.numbered_sgpr, 24
	.set _ZL13mul_mat_vec_qIL9ggml_type20ELi1ELb0ELb0EEvPKvS2_PKi31ggml_cuda_mm_fusion_args_devicePfj15HIP_vector_typeIjLj3EEjjjS8_jjjS8_jjjj.num_named_barrier, 0
	.set _ZL13mul_mat_vec_qIL9ggml_type20ELi1ELb0ELb0EEvPKvS2_PKi31ggml_cuda_mm_fusion_args_devicePfj15HIP_vector_typeIjLj3EEjjjS8_jjjS8_jjjj.private_seg_size, 0
	.set _ZL13mul_mat_vec_qIL9ggml_type20ELi1ELb0ELb0EEvPKvS2_PKi31ggml_cuda_mm_fusion_args_devicePfj15HIP_vector_typeIjLj3EEjjjS8_jjjS8_jjjj.uses_vcc, 1
	.set _ZL13mul_mat_vec_qIL9ggml_type20ELi1ELb0ELb0EEvPKvS2_PKi31ggml_cuda_mm_fusion_args_devicePfj15HIP_vector_typeIjLj3EEjjjS8_jjjS8_jjjj.uses_flat_scratch, 0
	.set _ZL13mul_mat_vec_qIL9ggml_type20ELi1ELb0ELb0EEvPKvS2_PKi31ggml_cuda_mm_fusion_args_devicePfj15HIP_vector_typeIjLj3EEjjjS8_jjjS8_jjjj.has_dyn_sized_stack, 0
	.set _ZL13mul_mat_vec_qIL9ggml_type20ELi1ELb0ELb0EEvPKvS2_PKi31ggml_cuda_mm_fusion_args_devicePfj15HIP_vector_typeIjLj3EEjjjS8_jjjS8_jjjj.has_recursion, 0
	.set _ZL13mul_mat_vec_qIL9ggml_type20ELi1ELb0ELb0EEvPKvS2_PKi31ggml_cuda_mm_fusion_args_devicePfj15HIP_vector_typeIjLj3EEjjjS8_jjjS8_jjjj.has_indirect_call, 0
	.section	.AMDGPU.csdata,"",@progbits
; Kernel info:
; codeLenInByte = 1360
; TotalNumSgprs: 26
; NumVgprs: 26
; ScratchSize: 0
; MemoryBound: 0
; FloatMode: 240
; IeeeMode: 1
; LDSByteSize: 896 bytes/workgroup (compile time only)
; SGPRBlocks: 0
; VGPRBlocks: 3
; NumSGPRsForWavesPerEU: 26
; NumVGPRsForWavesPerEU: 26
; Occupancy: 16
; WaveLimiterHint : 0
; COMPUTE_PGM_RSRC2:SCRATCH_EN: 0
; COMPUTE_PGM_RSRC2:USER_SGPR: 2
; COMPUTE_PGM_RSRC2:TRAP_HANDLER: 0
; COMPUTE_PGM_RSRC2:TGID_X_EN: 1
; COMPUTE_PGM_RSRC2:TGID_Y_EN: 1
; COMPUTE_PGM_RSRC2:TGID_Z_EN: 1
; COMPUTE_PGM_RSRC2:TIDIG_COMP_CNT: 1
	.section	.text._ZL13mul_mat_vec_qIL9ggml_type20ELi2ELb0ELb0EEvPKvS2_PKi31ggml_cuda_mm_fusion_args_devicePfj15HIP_vector_typeIjLj3EEjjjS8_jjjS8_jjjj,"axG",@progbits,_ZL13mul_mat_vec_qIL9ggml_type20ELi2ELb0ELb0EEvPKvS2_PKi31ggml_cuda_mm_fusion_args_devicePfj15HIP_vector_typeIjLj3EEjjjS8_jjjS8_jjjj,comdat
	.globl	_ZL13mul_mat_vec_qIL9ggml_type20ELi2ELb0ELb0EEvPKvS2_PKi31ggml_cuda_mm_fusion_args_devicePfj15HIP_vector_typeIjLj3EEjjjS8_jjjS8_jjjj ; -- Begin function _ZL13mul_mat_vec_qIL9ggml_type20ELi2ELb0ELb0EEvPKvS2_PKi31ggml_cuda_mm_fusion_args_devicePfj15HIP_vector_typeIjLj3EEjjjS8_jjjS8_jjjj
	.p2align	8
	.type	_ZL13mul_mat_vec_qIL9ggml_type20ELi2ELb0ELb0EEvPKvS2_PKi31ggml_cuda_mm_fusion_args_devicePfj15HIP_vector_typeIjLj3EEjjjS8_jjjS8_jjjj,@function
_ZL13mul_mat_vec_qIL9ggml_type20ELi2ELb0ELb0EEvPKvS2_PKi31ggml_cuda_mm_fusion_args_devicePfj15HIP_vector_typeIjLj3EEjjjS8_jjjS8_jjjj: ; @_ZL13mul_mat_vec_qIL9ggml_type20ELi2ELb0ELb0EEvPKvS2_PKi31ggml_cuda_mm_fusion_args_devicePfj15HIP_vector_typeIjLj3EEjjjS8_jjjS8_jjjj
; %bb.0:
	v_bfe_u32 v4, v0, 10, 10
	s_clause 0x5
	s_load_b32 s2, s[0:1], 0x40
	s_load_b96 s[16:18], s[0:1], 0x80
	s_load_b128 s[4:7], s[0:1], 0x50
	s_load_b32 s23, s[0:1], 0x60
	s_load_b128 s[8:11], s[0:1], 0x68
	s_load_b32 s24, s[0:1], 0x78
	v_dual_mov_b32 v3, 0 :: v_dual_and_b32 v2, 0x3ff, v0
	v_lshlrev_b32_e32 v0, 5, v4
	s_and_b32 s19, ttmp7, 0xffff
	s_lshr_b32 s20, ttmp7, 16
	s_mov_b32 s22, exec_lo
	v_mov_b32_e32 v6, 0
	v_add_nc_u16 v0, v0, v2
	s_delay_alu instid0(VALU_DEP_1) | instskip(NEXT) | instid1(VALU_DEP_1)
	v_lshrrev_b16 v0, 1, v0
	v_and_b32_e32 v5, 0xffff, v0
	s_wait_kmcnt 0x0
	s_lshr_b32 s21, s2, 5
	s_delay_alu instid0(VALU_DEP_1) | instid1(SALU_CYCLE_1)
	v_cmpx_gt_u32_e64 s21, v5
	s_cbranch_execz .LBB233_4
; %bb.1:
	s_load_b128 s[12:15], s[0:1], 0x0
	v_lshlrev_b32_e32 v1, 1, v2
	v_dual_mov_b32 v3, 0 :: v_dual_and_b32 v6, 1, v2
	s_mul_i32 s2, s17, s20
	s_mov_b32 s3, 0
	s_mul_hi_u32 s7, s7, s19
	s_mul_hi_u32 s11, s11, s20
	s_mul_u64 s[26:27], s[2:3], 36
	s_mul_i32 s2, s9, s19
	s_add_co_i32 s7, s19, s7
	v_dual_mov_b32 v6, 0 :: v_dual_lshlrev_b32 v7, 3, v6
	v_and_b32_e32 v9, 2, v1
	s_add_co_i32 s9, s20, s11
	s_mul_u64 s[28:29], s[2:3], 36
	s_lshr_b32 s2, s7, s23
	v_and_b32_e32 v0, 0xffff, v0
	s_lshr_b32 s7, s9, s24
	s_mul_i32 s2, s2, s8
	s_wait_kmcnt 0x0
	s_add_nc_u64 s[8:9], s[14:15], s[26:27]
	v_lshlrev_b32_e32 v8, 1, v9
	s_add_nc_u64 s[8:9], s[8:9], s[28:29]
	s_mul_i32 s4, s4, ttmp9
	v_mad_co_u64_u32 v[0:1], null, v0, 36, s[8:9]
	s_delay_alu instid0(VALU_DEP_2)
	v_lshlrev_b32_e32 v8, 1, v8
	v_lshlrev_b32_e32 v9, 2, v9
	s_mul_i32 s7, s7, s16
	s_add_co_i32 s2, s2, s4
	s_mov_b32 s11, 0x71594535
	s_add_co_i32 s4, s7, s2
	s_mov_b32 s7, 0xf6eaddcf
	s_mov_b32 s14, 0x4040404
.LBB233_2:                              ; =>This Inner Loop Header: Depth=1
	v_add_nc_u32_e32 v10, s4, v5
	v_add_nc_u32_e32 v14, s5, v5
	s_delay_alu instid0(VALU_DEP_2) | instskip(NEXT) | instid1(VALU_DEP_2)
	v_mad_co_i64_i32 v[10:11], null, v10, 18, s[12:13]
	v_mad_co_u64_u32 v[14:15], null, v14, 36, s[8:9]
	s_delay_alu instid0(VALU_DEP_2) | instskip(SKIP_1) | instid1(VALU_DEP_3)
	v_add_co_u32 v12, vcc_lo, v10, v8
	s_wait_alu 0xfffd
	v_add_co_ci_u32_e64 v13, null, 0, v11, vcc_lo
	v_add_co_u32 v16, vcc_lo, v0, v7
	s_wait_alu 0xfffd
	v_add_co_ci_u32_e64 v17, null, 0, v1, vcc_lo
	;; [unrolled: 3-line block ×3, first 2 shown]
	global_load_b64 v[12:13], v[12:13], off offset:2
	global_load_b64 v[20:21], v[16:17], off offset:4
	;; [unrolled: 1-line block ×5, first 2 shown]
	global_load_b32 v24, v[0:1], off
	global_load_u16 v10, v[10:11], off
	global_load_b32 v11, v[14:15], off
	v_add_co_u32 v0, vcc_lo, 0x240, v0
	s_wait_alu 0xfffd
	v_add_co_ci_u32_e64 v1, null, 0, v1, vcc_lo
	s_wait_loadcnt 0x7
	v_ashrrev_i32_e32 v14, 4, v12
	s_wait_loadcnt 0x1
	v_cvt_f32_f16_e32 v10, v10
	s_wait_loadcnt 0x0
	v_cvt_f32_f16_e32 v11, v11
	v_and_b32_e32 v15, 0x7070707, v12
	v_lshrrev_b32_e32 v12, 1, v12
	v_and_b32_e32 v28, 0x7070707, v14
	v_lshrrev_b32_e32 v14, 1, v14
	v_ashrrev_i32_e32 v25, 4, v13
	v_perm_b32 v27, s7, 0xbfad9881, v15
	v_perm_b32 v15, s11, 0x26190d01, v15
	v_and_or_b32 v12, v12, s14, 0x3020100
	v_and_b32_e32 v26, 0x7070707, v13
	v_lshrrev_b32_e32 v13, 1, v13
	v_perm_b32 v31, s7, 0xbfad9881, v28
	v_perm_b32 v28, s11, 0x26190d01, v28
	v_and_or_b32 v14, v14, s14, 0x3020100
	v_perm_b32 v12, v15, v27, v12
	v_perm_b32 v29, s7, 0xbfad9881, v26
	v_and_b32_e32 v30, 0x7070707, v25
	v_perm_b32 v26, s11, 0x26190d01, v26
	v_and_or_b32 v13, v13, s14, 0x3020100
	v_lshrrev_b32_e32 v25, 1, v25
	v_perm_b32 v14, v28, v31, v14
	v_dot4_i32_iu8 v20, v12, v20, 0 neg_lo:[1,1,0]
	v_dot4_i32_iu8 v12, v12, v22, 0 neg_lo:[1,1,0]
	v_perm_b32 v15, s7, 0xbfad9881, v30
	v_perm_b32 v27, s11, 0x26190d01, v30
	;; [unrolled: 1-line block ×3, first 2 shown]
	v_and_or_b32 v22, v25, s14, 0x3020100
	v_dot4_i32_iu8 v16, v14, v16, v20 neg_lo:[1,1,0]
	v_dot4_i32_iu8 v12, v14, v18, v12 neg_lo:[1,1,0]
	v_cvt_f32_f16_e32 v14, v24
	v_add_nc_u32_e32 v5, 16, v5
	v_perm_b32 v15, v27, v15, v22
	v_dot4_i32_iu8 v16, v13, v21, v16 neg_lo:[1,1,0]
	v_dot4_i32_iu8 v12, v13, v23, v12 neg_lo:[1,1,0]
	v_mul_f32_e32 v14, v10, v14
	v_mul_f32_e32 v10, v10, v11
	v_cmp_le_u32_e64 s2, s21, v5
	v_dot4_i32_iu8 v13, v15, v17, v16 neg_lo:[1,1,0]
	v_dot4_i32_iu8 v12, v15, v19, v12 neg_lo:[1,1,0]
	s_or_b32 s3, s2, s3
	s_delay_alu instid0(VALU_DEP_2) | instskip(NEXT) | instid1(VALU_DEP_2)
	v_cvt_f32_i32_e32 v11, v13
	v_cvt_f32_i32_e32 v12, v12
	s_delay_alu instid0(VALU_DEP_2) | instskip(NEXT) | instid1(VALU_DEP_2)
	v_fmac_f32_e32 v6, v14, v11
	v_fmac_f32_e32 v3, v10, v12
	s_and_not1_b32 exec_lo, exec_lo, s3
	s_cbranch_execnz .LBB233_2
; %bb.3:
	s_or_b32 exec_lo, exec_lo, s3
.LBB233_4:
	s_delay_alu instid0(SALU_CYCLE_1)
	s_or_b32 exec_lo, exec_lo, s22
	s_mov_b32 s3, 0
	; wave barrier
	global_inv scope:SCOPE_SE
	s_mov_b32 s2, exec_lo
	v_cmpx_eq_u32_e32 0, v4
	s_cbranch_execz .LBB233_9
; %bb.5:
	v_mbcnt_lo_u32_b32 v7, -1, 0
	s_load_b64 s[0:1], s[0:1], 0x38
	s_mul_i32 s2, s10, s19
	s_mul_i32 s4, s18, s20
	s_add_co_i32 s2, s2, ttmp9
	v_xor_b32_e32 v0, 16, v7
	v_xor_b32_e32 v1, 8, v7
	s_wait_alu 0xfffe
	s_add_co_i32 s2, s2, s4
	s_delay_alu instid0(SALU_CYCLE_1)
	s_lshl_b64 s[2:3], s[2:3], 2
	v_cmp_gt_i32_e32 vcc_lo, 32, v0
	s_wait_alu 0xfffd
	v_cndmask_b32_e32 v0, v7, v0, vcc_lo
	v_cmp_gt_i32_e32 vcc_lo, 32, v1
	s_wait_alu 0xfffd
	v_cndmask_b32_e32 v1, v7, v1, vcc_lo
	s_wait_kmcnt 0x0
	s_add_nc_u64 s[0:1], s[0:1], s[2:3]
	s_delay_alu instid0(VALU_DEP_1)
	v_lshlrev_b32_e32 v1, 2, v1
	v_lshlrev_b32_e32 v0, 2, v0
	ds_bpermute_b32 v4, v0, v6
	s_wait_dscnt 0x0
	v_add_f32_e32 v5, v6, v4
	v_xor_b32_e32 v4, 4, v7
	ds_bpermute_b32 v6, v1, v5
	v_cmp_gt_i32_e32 vcc_lo, 32, v4
	s_wait_alu 0xfffd
	v_cndmask_b32_e32 v4, v7, v4, vcc_lo
	s_wait_dscnt 0x0
	v_add_f32_e32 v6, v5, v6
	v_xor_b32_e32 v5, 2, v7
	s_delay_alu instid0(VALU_DEP_1) | instskip(SKIP_2) | instid1(VALU_DEP_1)
	v_cmp_gt_i32_e32 vcc_lo, 32, v5
	s_wait_alu 0xfffd
	v_cndmask_b32_e32 v5, v7, v5, vcc_lo
	v_lshlrev_b32_e32 v5, 2, v5
	v_lshlrev_b32_e32 v4, 2, v4
	ds_bpermute_b32 v8, v4, v6
	s_wait_dscnt 0x0
	v_add_f32_e32 v8, v6, v8
	v_xor_b32_e32 v6, 1, v7
	ds_bpermute_b32 v9, v5, v8
	v_cmp_gt_i32_e32 vcc_lo, 32, v6
	s_wait_alu 0xfffd
	v_cndmask_b32_e32 v6, v7, v6, vcc_lo
	v_cmp_eq_u32_e32 vcc_lo, 0, v2
	s_wait_dscnt 0x0
	s_delay_alu instid0(VALU_DEP_2)
	v_dual_add_f32 v7, v8, v9 :: v_dual_lshlrev_b32 v6, 2, v6
	ds_bpermute_b32 v8, v6, v7
	s_and_saveexec_b32 s2, vcc_lo
	s_cbranch_execz .LBB233_7
; %bb.6:
	s_wait_dscnt 0x0
	v_dual_add_f32 v2, v7, v8 :: v_dual_mov_b32 v7, 0
	global_store_b32 v7, v2, s[0:1]
.LBB233_7:
	s_or_b32 exec_lo, exec_lo, s2
	ds_bpermute_b32 v0, v0, v3
	s_wait_dscnt 0x0
	v_add_f32_e32 v0, v3, v0
	ds_bpermute_b32 v1, v1, v0
	s_wait_dscnt 0x0
	v_add_f32_e32 v0, v0, v1
	;; [unrolled: 3-line block ×4, first 2 shown]
	ds_bpermute_b32 v1, v6, v0
	s_and_b32 exec_lo, exec_lo, vcc_lo
	s_cbranch_execz .LBB233_9
; %bb.8:
	s_mov_b32 s7, 0
	s_wait_dscnt 0x0
	v_dual_add_f32 v0, v0, v1 :: v_dual_mov_b32 v1, 0
	s_wait_alu 0xfffe
	s_lshl_b64 s[2:3], s[6:7], 2
	s_delay_alu instid0(SALU_CYCLE_1)
	s_add_nc_u64 s[0:1], s[0:1], s[2:3]
	global_store_b32 v1, v0, s[0:1]
.LBB233_9:
	s_endpgm
	.section	.rodata,"a",@progbits
	.p2align	6, 0x0
	.amdhsa_kernel _ZL13mul_mat_vec_qIL9ggml_type20ELi2ELb0ELb0EEvPKvS2_PKi31ggml_cuda_mm_fusion_args_devicePfj15HIP_vector_typeIjLj3EEjjjS8_jjjS8_jjjj
		.amdhsa_group_segment_fixed_size 0
		.amdhsa_private_segment_fixed_size 0
		.amdhsa_kernarg_size 144
		.amdhsa_user_sgpr_count 2
		.amdhsa_user_sgpr_dispatch_ptr 0
		.amdhsa_user_sgpr_queue_ptr 0
		.amdhsa_user_sgpr_kernarg_segment_ptr 1
		.amdhsa_user_sgpr_dispatch_id 0
		.amdhsa_user_sgpr_private_segment_size 0
		.amdhsa_wavefront_size32 1
		.amdhsa_uses_dynamic_stack 0
		.amdhsa_enable_private_segment 0
		.amdhsa_system_sgpr_workgroup_id_x 1
		.amdhsa_system_sgpr_workgroup_id_y 1
		.amdhsa_system_sgpr_workgroup_id_z 1
		.amdhsa_system_sgpr_workgroup_info 0
		.amdhsa_system_vgpr_workitem_id 1
		.amdhsa_next_free_vgpr 32
		.amdhsa_next_free_sgpr 30
		.amdhsa_reserve_vcc 1
		.amdhsa_float_round_mode_32 0
		.amdhsa_float_round_mode_16_64 0
		.amdhsa_float_denorm_mode_32 3
		.amdhsa_float_denorm_mode_16_64 3
		.amdhsa_fp16_overflow 0
		.amdhsa_workgroup_processor_mode 1
		.amdhsa_memory_ordered 1
		.amdhsa_forward_progress 1
		.amdhsa_inst_pref_size 11
		.amdhsa_round_robin_scheduling 0
		.amdhsa_exception_fp_ieee_invalid_op 0
		.amdhsa_exception_fp_denorm_src 0
		.amdhsa_exception_fp_ieee_div_zero 0
		.amdhsa_exception_fp_ieee_overflow 0
		.amdhsa_exception_fp_ieee_underflow 0
		.amdhsa_exception_fp_ieee_inexact 0
		.amdhsa_exception_int_div_zero 0
	.end_amdhsa_kernel
	.section	.text._ZL13mul_mat_vec_qIL9ggml_type20ELi2ELb0ELb0EEvPKvS2_PKi31ggml_cuda_mm_fusion_args_devicePfj15HIP_vector_typeIjLj3EEjjjS8_jjjS8_jjjj,"axG",@progbits,_ZL13mul_mat_vec_qIL9ggml_type20ELi2ELb0ELb0EEvPKvS2_PKi31ggml_cuda_mm_fusion_args_devicePfj15HIP_vector_typeIjLj3EEjjjS8_jjjS8_jjjj,comdat
.Lfunc_end233:
	.size	_ZL13mul_mat_vec_qIL9ggml_type20ELi2ELb0ELb0EEvPKvS2_PKi31ggml_cuda_mm_fusion_args_devicePfj15HIP_vector_typeIjLj3EEjjjS8_jjjS8_jjjj, .Lfunc_end233-_ZL13mul_mat_vec_qIL9ggml_type20ELi2ELb0ELb0EEvPKvS2_PKi31ggml_cuda_mm_fusion_args_devicePfj15HIP_vector_typeIjLj3EEjjjS8_jjjS8_jjjj
                                        ; -- End function
	.set _ZL13mul_mat_vec_qIL9ggml_type20ELi2ELb0ELb0EEvPKvS2_PKi31ggml_cuda_mm_fusion_args_devicePfj15HIP_vector_typeIjLj3EEjjjS8_jjjS8_jjjj.num_vgpr, 32
	.set _ZL13mul_mat_vec_qIL9ggml_type20ELi2ELb0ELb0EEvPKvS2_PKi31ggml_cuda_mm_fusion_args_devicePfj15HIP_vector_typeIjLj3EEjjjS8_jjjS8_jjjj.num_agpr, 0
	.set _ZL13mul_mat_vec_qIL9ggml_type20ELi2ELb0ELb0EEvPKvS2_PKi31ggml_cuda_mm_fusion_args_devicePfj15HIP_vector_typeIjLj3EEjjjS8_jjjS8_jjjj.numbered_sgpr, 30
	.set _ZL13mul_mat_vec_qIL9ggml_type20ELi2ELb0ELb0EEvPKvS2_PKi31ggml_cuda_mm_fusion_args_devicePfj15HIP_vector_typeIjLj3EEjjjS8_jjjS8_jjjj.num_named_barrier, 0
	.set _ZL13mul_mat_vec_qIL9ggml_type20ELi2ELb0ELb0EEvPKvS2_PKi31ggml_cuda_mm_fusion_args_devicePfj15HIP_vector_typeIjLj3EEjjjS8_jjjS8_jjjj.private_seg_size, 0
	.set _ZL13mul_mat_vec_qIL9ggml_type20ELi2ELb0ELb0EEvPKvS2_PKi31ggml_cuda_mm_fusion_args_devicePfj15HIP_vector_typeIjLj3EEjjjS8_jjjS8_jjjj.uses_vcc, 1
	.set _ZL13mul_mat_vec_qIL9ggml_type20ELi2ELb0ELb0EEvPKvS2_PKi31ggml_cuda_mm_fusion_args_devicePfj15HIP_vector_typeIjLj3EEjjjS8_jjjS8_jjjj.uses_flat_scratch, 0
	.set _ZL13mul_mat_vec_qIL9ggml_type20ELi2ELb0ELb0EEvPKvS2_PKi31ggml_cuda_mm_fusion_args_devicePfj15HIP_vector_typeIjLj3EEjjjS8_jjjS8_jjjj.has_dyn_sized_stack, 0
	.set _ZL13mul_mat_vec_qIL9ggml_type20ELi2ELb0ELb0EEvPKvS2_PKi31ggml_cuda_mm_fusion_args_devicePfj15HIP_vector_typeIjLj3EEjjjS8_jjjS8_jjjj.has_recursion, 0
	.set _ZL13mul_mat_vec_qIL9ggml_type20ELi2ELb0ELb0EEvPKvS2_PKi31ggml_cuda_mm_fusion_args_devicePfj15HIP_vector_typeIjLj3EEjjjS8_jjjS8_jjjj.has_indirect_call, 0
	.section	.AMDGPU.csdata,"",@progbits
; Kernel info:
; codeLenInByte = 1344
; TotalNumSgprs: 32
; NumVgprs: 32
; ScratchSize: 0
; MemoryBound: 0
; FloatMode: 240
; IeeeMode: 1
; LDSByteSize: 0 bytes/workgroup (compile time only)
; SGPRBlocks: 0
; VGPRBlocks: 3
; NumSGPRsForWavesPerEU: 32
; NumVGPRsForWavesPerEU: 32
; Occupancy: 16
; WaveLimiterHint : 0
; COMPUTE_PGM_RSRC2:SCRATCH_EN: 0
; COMPUTE_PGM_RSRC2:USER_SGPR: 2
; COMPUTE_PGM_RSRC2:TRAP_HANDLER: 0
; COMPUTE_PGM_RSRC2:TGID_X_EN: 1
; COMPUTE_PGM_RSRC2:TGID_Y_EN: 1
; COMPUTE_PGM_RSRC2:TGID_Z_EN: 1
; COMPUTE_PGM_RSRC2:TIDIG_COMP_CNT: 1
	.section	.text._ZL13mul_mat_vec_qIL9ggml_type20ELi3ELb0ELb0EEvPKvS2_PKi31ggml_cuda_mm_fusion_args_devicePfj15HIP_vector_typeIjLj3EEjjjS8_jjjS8_jjjj,"axG",@progbits,_ZL13mul_mat_vec_qIL9ggml_type20ELi3ELb0ELb0EEvPKvS2_PKi31ggml_cuda_mm_fusion_args_devicePfj15HIP_vector_typeIjLj3EEjjjS8_jjjS8_jjjj,comdat
	.globl	_ZL13mul_mat_vec_qIL9ggml_type20ELi3ELb0ELb0EEvPKvS2_PKi31ggml_cuda_mm_fusion_args_devicePfj15HIP_vector_typeIjLj3EEjjjS8_jjjS8_jjjj ; -- Begin function _ZL13mul_mat_vec_qIL9ggml_type20ELi3ELb0ELb0EEvPKvS2_PKi31ggml_cuda_mm_fusion_args_devicePfj15HIP_vector_typeIjLj3EEjjjS8_jjjS8_jjjj
	.p2align	8
	.type	_ZL13mul_mat_vec_qIL9ggml_type20ELi3ELb0ELb0EEvPKvS2_PKi31ggml_cuda_mm_fusion_args_devicePfj15HIP_vector_typeIjLj3EEjjjS8_jjjS8_jjjj,@function
_ZL13mul_mat_vec_qIL9ggml_type20ELi3ELb0ELb0EEvPKvS2_PKi31ggml_cuda_mm_fusion_args_devicePfj15HIP_vector_typeIjLj3EEjjjS8_jjjS8_jjjj: ; @_ZL13mul_mat_vec_qIL9ggml_type20ELi3ELb0ELb0EEvPKvS2_PKi31ggml_cuda_mm_fusion_args_devicePfj15HIP_vector_typeIjLj3EEjjjS8_jjjS8_jjjj
; %bb.0:
	v_bfe_u32 v5, v0, 10, 10
	s_clause 0x5
	s_load_b32 s2, s[0:1], 0x40
	s_load_b96 s[16:18], s[0:1], 0x80
	s_load_b128 s[4:7], s[0:1], 0x50
	s_load_b32 s23, s[0:1], 0x60
	s_load_b128 s[8:11], s[0:1], 0x68
	s_load_b32 s24, s[0:1], 0x78
	v_dual_mov_b32 v3, 0 :: v_dual_and_b32 v2, 0x3ff, v0
	v_dual_mov_b32 v7, 0 :: v_dual_lshlrev_b32 v0, 5, v5
	v_mov_b32_e32 v4, 0
	s_and_b32 s19, ttmp7, 0xffff
	s_lshr_b32 s20, ttmp7, 16
	s_delay_alu instid0(VALU_DEP_2) | instskip(SKIP_1) | instid1(VALU_DEP_1)
	v_add_nc_u16 v0, v0, v2
	s_mov_b32 s21, exec_lo
	v_lshrrev_b16 v0, 1, v0
	s_delay_alu instid0(VALU_DEP_1)
	v_and_b32_e32 v6, 0xffff, v0
	s_wait_kmcnt 0x0
	s_lshr_b32 s22, s2, 5
	s_delay_alu instid0(VALU_DEP_1) | instid1(SALU_CYCLE_1)
	v_cmpx_gt_u32_e64 s22, v6
	s_cbranch_execz .LBB234_4
; %bb.1:
	s_load_b128 s[12:15], s[0:1], 0x0
	v_lshlrev_b32_e32 v1, 1, v2
	v_dual_mov_b32 v3, 0 :: v_dual_and_b32 v4, 1, v2
	s_mul_i32 s2, s17, s20
	s_mov_b32 s3, 0
	s_mul_hi_u32 s7, s7, s19
	s_mul_hi_u32 s11, s11, s20
	s_mul_u64 s[26:27], s[2:3], 36
	s_mul_i32 s2, s9, s19
	s_add_co_i32 s7, s19, s7
	v_lshlrev_b32_e32 v8, 3, v4
	v_dual_mov_b32 v4, 0 :: v_dual_and_b32 v7, 2, v1
	s_add_co_i32 s9, s20, s11
	s_mul_u64 s[28:29], s[2:3], 36
	s_lshr_b32 s2, s7, s23
	v_and_b32_e32 v0, 0xffff, v0
	s_lshr_b32 s7, s9, s24
	s_mul_i32 s2, s2, s8
	s_wait_kmcnt 0x0
	s_add_nc_u64 s[8:9], s[14:15], s[26:27]
	v_lshlrev_b32_e32 v9, 1, v7
	s_add_nc_u64 s[8:9], s[8:9], s[28:29]
	v_dual_mov_b32 v7, 0 :: v_dual_lshlrev_b32 v10, 2, v7
	v_mad_co_u64_u32 v[0:1], null, v0, 36, s[8:9]
	s_mul_i32 s4, s4, ttmp9
	v_lshlrev_b32_e32 v9, 1, v9
	s_mul_i32 s7, s7, s16
	s_add_co_i32 s2, s2, s4
	s_lshl_b32 s4, s5, 1
	s_add_co_i32 s2, s7, s2
	s_mov_b32 s7, 0xf6eaddcf
	s_mov_b32 s11, 0x71594535
	;; [unrolled: 1-line block ×3, first 2 shown]
.LBB234_2:                              ; =>This Inner Loop Header: Depth=1
	v_add_nc_u32_e32 v13, s2, v6
	v_add_nc_u32_e32 v17, s4, v6
	;; [unrolled: 1-line block ×3, first 2 shown]
	v_add_co_u32 v11, vcc_lo, v0, v8
	s_delay_alu instid0(VALU_DEP_4) | instskip(NEXT) | instid1(VALU_DEP_4)
	v_mad_co_i64_i32 v[13:14], null, v13, 18, s[12:13]
	v_mad_co_u64_u32 v[17:18], null, v17, 36, s[8:9]
	s_delay_alu instid0(VALU_DEP_4) | instskip(SKIP_2) | instid1(VALU_DEP_4)
	v_mad_co_u64_u32 v[19:20], null, v19, 36, s[8:9]
	s_wait_alu 0xfffd
	v_add_co_ci_u32_e64 v12, null, 0, v1, vcc_lo
	v_add_co_u32 v21, vcc_lo, v13, v9
	s_wait_alu 0xfffd
	v_add_co_ci_u32_e64 v22, null, 0, v14, vcc_lo
	v_add_co_u32 v23, vcc_lo, v17, v10
	;; [unrolled: 3-line block ×3, first 2 shown]
	s_wait_alu 0xfffd
	v_add_co_ci_u32_e64 v26, null, 0, v20, vcc_lo
	s_clause 0x2
	global_load_b32 v29, v[0:1], off
	global_load_b64 v[15:16], v[11:12], off offset:4
	global_load_b64 v[11:12], v[11:12], off offset:20
	s_clause 0x1
	global_load_b64 v[21:22], v[21:22], off offset:2
	global_load_u16 v30, v[13:14], off
	s_clause 0x5
	global_load_b64 v[13:14], v[23:24], off offset:4
	global_load_b64 v[23:24], v[23:24], off offset:20
	;; [unrolled: 1-line block ×4, first 2 shown]
	global_load_b32 v17, v[17:18], off
	global_load_b32 v18, v[19:20], off
	v_add_co_u32 v0, vcc_lo, 0x240, v0
	s_wait_alu 0xfffd
	v_add_co_ci_u32_e64 v1, null, 0, v1, vcc_lo
	s_wait_loadcnt 0x7
	v_ashrrev_i32_e32 v20, 4, v21
	s_wait_loadcnt 0x6
	v_cvt_f32_f16_e32 v30, v30
	v_ashrrev_i32_e32 v31, 4, v22
	v_cvt_f32_f16_e32 v19, v29
	v_add_nc_u32_e32 v6, 16, v6
	s_wait_loadcnt 0x0
	v_cvt_f32_f16_e32 v18, v18
	v_and_b32_e32 v29, 0x7070707, v21
	v_lshrrev_b32_e32 v21, 1, v21
	v_dual_mul_f32 v19, v30, v19 :: v_dual_and_b32 v34, 0x7070707, v20
	v_lshrrev_b32_e32 v20, 1, v20
	s_delay_alu instid0(VALU_DEP_4)
	v_perm_b32 v33, s7, 0xbfad9881, v29
	v_perm_b32 v29, s11, 0x26190d01, v29
	v_and_or_b32 v21, v21, s14, 0x3020100
	v_cvt_f32_f16_e32 v17, v17
	v_and_b32_e32 v32, 0x7070707, v22
	v_lshrrev_b32_e32 v22, 1, v22
	v_perm_b32 v37, s7, 0xbfad9881, v34
	v_perm_b32 v34, s11, 0x26190d01, v34
	v_and_or_b32 v20, v20, s14, 0x3020100
	v_perm_b32 v21, v29, v33, v21
	v_perm_b32 v35, s7, 0xbfad9881, v32
	v_and_b32_e32 v36, 0x7070707, v31
	v_perm_b32 v32, s11, 0x26190d01, v32
	v_and_or_b32 v22, v22, s14, 0x3020100
	v_lshrrev_b32_e32 v31, 1, v31
	v_perm_b32 v20, v34, v37, v20
	v_dot4_i32_iu8 v15, v21, v15, 0 neg_lo:[1,1,0]
	v_dot4_i32_iu8 v27, v21, v27, 0 neg_lo:[1,1,0]
	;; [unrolled: 1-line block ×3, first 2 shown]
	v_perm_b32 v29, s7, 0xbfad9881, v36
	v_perm_b32 v33, s11, 0x26190d01, v36
	;; [unrolled: 1-line block ×3, first 2 shown]
	v_and_or_b32 v21, v31, s14, 0x3020100
	v_dot4_i32_iu8 v11, v20, v11, v15 neg_lo:[1,1,0]
	v_dot4_i32_iu8 v15, v20, v25, v27 neg_lo:[1,1,0]
	;; [unrolled: 1-line block ×3, first 2 shown]
	v_cmp_le_u32_e32 vcc_lo, s22, v6
	v_perm_b32 v20, v33, v29, v21
	v_dot4_i32_iu8 v11, v22, v16, v11 neg_lo:[1,1,0]
	v_dot4_i32_iu8 v15, v22, v28, v15 neg_lo:[1,1,0]
	v_dot4_i32_iu8 v13, v22, v14, v13 neg_lo:[1,1,0]
	v_mul_f32_e32 v14, v30, v18
	s_or_b32 s3, vcc_lo, s3
	v_dot4_i32_iu8 v11, v20, v12, v11 neg_lo:[1,1,0]
	v_dot4_i32_iu8 v12, v20, v26, v15 neg_lo:[1,1,0]
	;; [unrolled: 1-line block ×3, first 2 shown]
	v_mul_f32_e32 v15, v30, v17
	s_delay_alu instid0(VALU_DEP_4) | instskip(NEXT) | instid1(VALU_DEP_4)
	v_cvt_f32_i32_e32 v11, v11
	v_cvt_f32_i32_e32 v12, v12
	s_delay_alu instid0(VALU_DEP_4) | instskip(NEXT) | instid1(VALU_DEP_2)
	v_cvt_f32_i32_e32 v13, v13
	v_dual_fmac_f32 v7, v19, v11 :: v_dual_fmac_f32 v4, v14, v12
	s_delay_alu instid0(VALU_DEP_2)
	v_fmac_f32_e32 v3, v15, v13
	s_wait_alu 0xfffe
	s_and_not1_b32 exec_lo, exec_lo, s3
	s_cbranch_execnz .LBB234_2
; %bb.3:
	s_or_b32 exec_lo, exec_lo, s3
.LBB234_4:
	s_delay_alu instid0(SALU_CYCLE_1)
	s_or_b32 exec_lo, exec_lo, s21
	s_mov_b32 s3, 0
	; wave barrier
	global_inv scope:SCOPE_SE
	s_mov_b32 s2, exec_lo
	v_cmpx_eq_u32_e32 0, v5
	s_cbranch_execz .LBB234_11
; %bb.5:
	v_mbcnt_lo_u32_b32 v8, -1, 0
	s_load_b64 s[0:1], s[0:1], 0x38
	s_mul_i32 s2, s10, s19
	s_mul_i32 s4, s18, s20
	s_wait_alu 0xfffe
	s_add_co_i32 s2, s2, ttmp9
	v_xor_b32_e32 v0, 16, v8
	v_xor_b32_e32 v1, 8, v8
	s_wait_alu 0xfffe
	s_add_co_i32 s2, s2, s4
	s_wait_alu 0xfffe
	s_lshl_b64 s[2:3], s[2:3], 2
	v_cmp_gt_i32_e32 vcc_lo, 32, v0
	s_wait_alu 0xfffd
	v_cndmask_b32_e32 v0, v8, v0, vcc_lo
	v_cmp_gt_i32_e32 vcc_lo, 32, v1
	s_wait_alu 0xfffd
	v_cndmask_b32_e32 v1, v8, v1, vcc_lo
	s_wait_kmcnt 0x0
	s_wait_alu 0xfffe
	s_add_nc_u64 s[0:1], s[0:1], s[2:3]
	s_delay_alu instid0(VALU_DEP_1)
	v_lshlrev_b32_e32 v1, 2, v1
	v_lshlrev_b32_e32 v0, 2, v0
	ds_bpermute_b32 v5, v0, v7
	s_wait_dscnt 0x0
	v_add_f32_e32 v6, v7, v5
	v_xor_b32_e32 v5, 4, v8
	ds_bpermute_b32 v7, v1, v6
	v_cmp_gt_i32_e32 vcc_lo, 32, v5
	s_wait_alu 0xfffd
	v_cndmask_b32_e32 v5, v8, v5, vcc_lo
	s_wait_dscnt 0x0
	v_add_f32_e32 v7, v6, v7
	v_xor_b32_e32 v6, 2, v8
	s_delay_alu instid0(VALU_DEP_1)
	v_cmp_gt_i32_e32 vcc_lo, 32, v6
	s_wait_alu 0xfffd
	v_dual_cndmask_b32 v6, v8, v6 :: v_dual_lshlrev_b32 v5, 2, v5
	ds_bpermute_b32 v9, v5, v7
	s_wait_dscnt 0x0
	v_dual_add_f32 v9, v7, v9 :: v_dual_lshlrev_b32 v6, 2, v6
	v_xor_b32_e32 v7, 1, v8
	ds_bpermute_b32 v10, v6, v9
	v_cmp_gt_i32_e32 vcc_lo, 32, v7
	s_wait_alu 0xfffd
	v_cndmask_b32_e32 v7, v8, v7, vcc_lo
	v_cmp_eq_u32_e32 vcc_lo, 0, v2
	s_wait_dscnt 0x0
	s_delay_alu instid0(VALU_DEP_2)
	v_dual_add_f32 v8, v9, v10 :: v_dual_lshlrev_b32 v7, 2, v7
	ds_bpermute_b32 v9, v7, v8
	s_and_saveexec_b32 s2, vcc_lo
	s_cbranch_execz .LBB234_7
; %bb.6:
	s_wait_dscnt 0x0
	v_add_f32_e32 v2, v8, v9
	v_mov_b32_e32 v8, 0
	global_store_b32 v8, v2, s[0:1]
.LBB234_7:
	s_wait_alu 0xfffe
	s_or_b32 exec_lo, exec_lo, s2
	ds_bpermute_b32 v2, v0, v4
	s_wait_dscnt 0x0
	v_add_f32_e32 v2, v4, v2
	ds_bpermute_b32 v4, v1, v2
	s_wait_dscnt 0x0
	v_add_f32_e32 v2, v2, v4
	;; [unrolled: 3-line block ×4, first 2 shown]
	ds_bpermute_b32 v4, v7, v2
	s_and_saveexec_b32 s2, vcc_lo
	s_cbranch_execz .LBB234_9
; %bb.8:
	s_mov_b32 s7, 0
	s_wait_dscnt 0x0
	v_add_f32_e32 v2, v2, v4
	v_mov_b32_e32 v4, 0
	s_wait_alu 0xfffe
	s_lshl_b64 s[4:5], s[6:7], 2
	s_wait_alu 0xfffe
	s_add_nc_u64 s[4:5], s[0:1], s[4:5]
	global_store_b32 v4, v2, s[4:5]
.LBB234_9:
	s_wait_alu 0xfffe
	s_or_b32 exec_lo, exec_lo, s2
	ds_bpermute_b32 v0, v0, v3
	s_wait_dscnt 0x0
	v_add_f32_e32 v0, v3, v0
	ds_bpermute_b32 v1, v1, v0
	s_wait_dscnt 0x0
	v_add_f32_e32 v0, v0, v1
	ds_bpermute_b32 v1, v5, v0
	s_wait_dscnt 0x0
	v_add_f32_e32 v0, v0, v1
	ds_bpermute_b32 v1, v6, v0
	s_wait_dscnt 0x0
	v_add_f32_e32 v0, v0, v1
	ds_bpermute_b32 v1, v7, v0
	s_and_b32 exec_lo, exec_lo, vcc_lo
	s_cbranch_execz .LBB234_11
; %bb.10:
	s_lshl_b32 s2, s6, 1
	s_mov_b32 s3, 0
	s_wait_dscnt 0x0
	v_dual_add_f32 v0, v0, v1 :: v_dual_mov_b32 v1, 0
	s_wait_alu 0xfffe
	s_lshl_b64 s[2:3], s[2:3], 2
	s_wait_alu 0xfffe
	s_add_nc_u64 s[0:1], s[0:1], s[2:3]
	global_store_b32 v1, v0, s[0:1]
.LBB234_11:
	s_endpgm
	.section	.rodata,"a",@progbits
	.p2align	6, 0x0
	.amdhsa_kernel _ZL13mul_mat_vec_qIL9ggml_type20ELi3ELb0ELb0EEvPKvS2_PKi31ggml_cuda_mm_fusion_args_devicePfj15HIP_vector_typeIjLj3EEjjjS8_jjjS8_jjjj
		.amdhsa_group_segment_fixed_size 0
		.amdhsa_private_segment_fixed_size 0
		.amdhsa_kernarg_size 144
		.amdhsa_user_sgpr_count 2
		.amdhsa_user_sgpr_dispatch_ptr 0
		.amdhsa_user_sgpr_queue_ptr 0
		.amdhsa_user_sgpr_kernarg_segment_ptr 1
		.amdhsa_user_sgpr_dispatch_id 0
		.amdhsa_user_sgpr_private_segment_size 0
		.amdhsa_wavefront_size32 1
		.amdhsa_uses_dynamic_stack 0
		.amdhsa_enable_private_segment 0
		.amdhsa_system_sgpr_workgroup_id_x 1
		.amdhsa_system_sgpr_workgroup_id_y 1
		.amdhsa_system_sgpr_workgroup_id_z 1
		.amdhsa_system_sgpr_workgroup_info 0
		.amdhsa_system_vgpr_workitem_id 1
		.amdhsa_next_free_vgpr 38
		.amdhsa_next_free_sgpr 30
		.amdhsa_reserve_vcc 1
		.amdhsa_float_round_mode_32 0
		.amdhsa_float_round_mode_16_64 0
		.amdhsa_float_denorm_mode_32 3
		.amdhsa_float_denorm_mode_16_64 3
		.amdhsa_fp16_overflow 0
		.amdhsa_workgroup_processor_mode 1
		.amdhsa_memory_ordered 1
		.amdhsa_forward_progress 1
		.amdhsa_inst_pref_size 13
		.amdhsa_round_robin_scheduling 0
		.amdhsa_exception_fp_ieee_invalid_op 0
		.amdhsa_exception_fp_denorm_src 0
		.amdhsa_exception_fp_ieee_div_zero 0
		.amdhsa_exception_fp_ieee_overflow 0
		.amdhsa_exception_fp_ieee_underflow 0
		.amdhsa_exception_fp_ieee_inexact 0
		.amdhsa_exception_int_div_zero 0
	.end_amdhsa_kernel
	.section	.text._ZL13mul_mat_vec_qIL9ggml_type20ELi3ELb0ELb0EEvPKvS2_PKi31ggml_cuda_mm_fusion_args_devicePfj15HIP_vector_typeIjLj3EEjjjS8_jjjS8_jjjj,"axG",@progbits,_ZL13mul_mat_vec_qIL9ggml_type20ELi3ELb0ELb0EEvPKvS2_PKi31ggml_cuda_mm_fusion_args_devicePfj15HIP_vector_typeIjLj3EEjjjS8_jjjS8_jjjj,comdat
.Lfunc_end234:
	.size	_ZL13mul_mat_vec_qIL9ggml_type20ELi3ELb0ELb0EEvPKvS2_PKi31ggml_cuda_mm_fusion_args_devicePfj15HIP_vector_typeIjLj3EEjjjS8_jjjS8_jjjj, .Lfunc_end234-_ZL13mul_mat_vec_qIL9ggml_type20ELi3ELb0ELb0EEvPKvS2_PKi31ggml_cuda_mm_fusion_args_devicePfj15HIP_vector_typeIjLj3EEjjjS8_jjjS8_jjjj
                                        ; -- End function
	.set _ZL13mul_mat_vec_qIL9ggml_type20ELi3ELb0ELb0EEvPKvS2_PKi31ggml_cuda_mm_fusion_args_devicePfj15HIP_vector_typeIjLj3EEjjjS8_jjjS8_jjjj.num_vgpr, 38
	.set _ZL13mul_mat_vec_qIL9ggml_type20ELi3ELb0ELb0EEvPKvS2_PKi31ggml_cuda_mm_fusion_args_devicePfj15HIP_vector_typeIjLj3EEjjjS8_jjjS8_jjjj.num_agpr, 0
	.set _ZL13mul_mat_vec_qIL9ggml_type20ELi3ELb0ELb0EEvPKvS2_PKi31ggml_cuda_mm_fusion_args_devicePfj15HIP_vector_typeIjLj3EEjjjS8_jjjS8_jjjj.numbered_sgpr, 30
	.set _ZL13mul_mat_vec_qIL9ggml_type20ELi3ELb0ELb0EEvPKvS2_PKi31ggml_cuda_mm_fusion_args_devicePfj15HIP_vector_typeIjLj3EEjjjS8_jjjS8_jjjj.num_named_barrier, 0
	.set _ZL13mul_mat_vec_qIL9ggml_type20ELi3ELb0ELb0EEvPKvS2_PKi31ggml_cuda_mm_fusion_args_devicePfj15HIP_vector_typeIjLj3EEjjjS8_jjjS8_jjjj.private_seg_size, 0
	.set _ZL13mul_mat_vec_qIL9ggml_type20ELi3ELb0ELb0EEvPKvS2_PKi31ggml_cuda_mm_fusion_args_devicePfj15HIP_vector_typeIjLj3EEjjjS8_jjjS8_jjjj.uses_vcc, 1
	.set _ZL13mul_mat_vec_qIL9ggml_type20ELi3ELb0ELb0EEvPKvS2_PKi31ggml_cuda_mm_fusion_args_devicePfj15HIP_vector_typeIjLj3EEjjjS8_jjjS8_jjjj.uses_flat_scratch, 0
	.set _ZL13mul_mat_vec_qIL9ggml_type20ELi3ELb0ELb0EEvPKvS2_PKi31ggml_cuda_mm_fusion_args_devicePfj15HIP_vector_typeIjLj3EEjjjS8_jjjS8_jjjj.has_dyn_sized_stack, 0
	.set _ZL13mul_mat_vec_qIL9ggml_type20ELi3ELb0ELb0EEvPKvS2_PKi31ggml_cuda_mm_fusion_args_devicePfj15HIP_vector_typeIjLj3EEjjjS8_jjjS8_jjjj.has_recursion, 0
	.set _ZL13mul_mat_vec_qIL9ggml_type20ELi3ELb0ELb0EEvPKvS2_PKi31ggml_cuda_mm_fusion_args_devicePfj15HIP_vector_typeIjLj3EEjjjS8_jjjS8_jjjj.has_indirect_call, 0
	.section	.AMDGPU.csdata,"",@progbits
; Kernel info:
; codeLenInByte = 1640
; TotalNumSgprs: 32
; NumVgprs: 38
; ScratchSize: 0
; MemoryBound: 0
; FloatMode: 240
; IeeeMode: 1
; LDSByteSize: 0 bytes/workgroup (compile time only)
; SGPRBlocks: 0
; VGPRBlocks: 4
; NumSGPRsForWavesPerEU: 32
; NumVGPRsForWavesPerEU: 38
; Occupancy: 16
; WaveLimiterHint : 0
; COMPUTE_PGM_RSRC2:SCRATCH_EN: 0
; COMPUTE_PGM_RSRC2:USER_SGPR: 2
; COMPUTE_PGM_RSRC2:TRAP_HANDLER: 0
; COMPUTE_PGM_RSRC2:TGID_X_EN: 1
; COMPUTE_PGM_RSRC2:TGID_Y_EN: 1
; COMPUTE_PGM_RSRC2:TGID_Z_EN: 1
; COMPUTE_PGM_RSRC2:TIDIG_COMP_CNT: 1
	.section	.text._ZL13mul_mat_vec_qIL9ggml_type20ELi4ELb0ELb0EEvPKvS2_PKi31ggml_cuda_mm_fusion_args_devicePfj15HIP_vector_typeIjLj3EEjjjS8_jjjS8_jjjj,"axG",@progbits,_ZL13mul_mat_vec_qIL9ggml_type20ELi4ELb0ELb0EEvPKvS2_PKi31ggml_cuda_mm_fusion_args_devicePfj15HIP_vector_typeIjLj3EEjjjS8_jjjS8_jjjj,comdat
	.globl	_ZL13mul_mat_vec_qIL9ggml_type20ELi4ELb0ELb0EEvPKvS2_PKi31ggml_cuda_mm_fusion_args_devicePfj15HIP_vector_typeIjLj3EEjjjS8_jjjS8_jjjj ; -- Begin function _ZL13mul_mat_vec_qIL9ggml_type20ELi4ELb0ELb0EEvPKvS2_PKi31ggml_cuda_mm_fusion_args_devicePfj15HIP_vector_typeIjLj3EEjjjS8_jjjS8_jjjj
	.p2align	8
	.type	_ZL13mul_mat_vec_qIL9ggml_type20ELi4ELb0ELb0EEvPKvS2_PKi31ggml_cuda_mm_fusion_args_devicePfj15HIP_vector_typeIjLj3EEjjjS8_jjjS8_jjjj,@function
_ZL13mul_mat_vec_qIL9ggml_type20ELi4ELb0ELb0EEvPKvS2_PKi31ggml_cuda_mm_fusion_args_devicePfj15HIP_vector_typeIjLj3EEjjjS8_jjjS8_jjjj: ; @_ZL13mul_mat_vec_qIL9ggml_type20ELi4ELb0ELb0EEvPKvS2_PKi31ggml_cuda_mm_fusion_args_devicePfj15HIP_vector_typeIjLj3EEjjjS8_jjjS8_jjjj
; %bb.0:
	v_bfe_u32 v5, v0, 10, 10
	s_clause 0x5
	s_load_b32 s2, s[0:1], 0x40
	s_load_b96 s[16:18], s[0:1], 0x80
	s_load_b128 s[4:7], s[0:1], 0x50
	s_load_b32 s23, s[0:1], 0x60
	s_load_b128 s[8:11], s[0:1], 0x68
	s_load_b32 s24, s[0:1], 0x78
	v_dual_mov_b32 v2, 0 :: v_dual_and_b32 v3, 0x3ff, v0
	v_lshlrev_b32_e32 v0, 5, v5
	v_mov_b32_e32 v6, 0
	v_mov_b32_e32 v8, 0
	s_and_b32 s19, ttmp7, 0xffff
	s_lshr_b32 s20, ttmp7, 16
	v_add_nc_u16 v0, v0, v3
	s_mov_b32 s21, exec_lo
	v_mov_b32_e32 v4, 0
	s_delay_alu instid0(VALU_DEP_2) | instskip(NEXT) | instid1(VALU_DEP_1)
	v_lshrrev_b16 v0, 1, v0
	v_and_b32_e32 v7, 0xffff, v0
	s_wait_kmcnt 0x0
	s_lshr_b32 s22, s2, 5
	s_delay_alu instid0(VALU_DEP_1) | instid1(SALU_CYCLE_1)
	v_cmpx_gt_u32_e64 s22, v7
	s_cbranch_execz .LBB235_4
; %bb.1:
	s_load_b128 s[12:15], s[0:1], 0x0
	v_dual_mov_b32 v2, 0 :: v_dual_lshlrev_b32 v1, 1, v3
	s_mul_i32 s2, s17, s20
	s_mov_b32 s3, 0
	s_mul_hi_u32 s7, s7, s19
	s_mul_hi_u32 s11, s11, s20
	s_mul_u64 s[26:27], s[2:3], 36
	s_mul_i32 s2, s9, s19
	s_add_co_i32 s7, s19, s7
	v_and_b32_e32 v6, 2, v1
	s_add_co_i32 s9, s20, s11
	s_mul_u64 s[28:29], s[2:3], 36
	s_lshr_b32 s2, s7, s23
	v_and_b32_e32 v0, 0xffff, v0
	s_lshr_b32 s7, s9, s24
	s_mul_i32 s2, s2, s8
	v_and_b32_e32 v4, 1, v3
	v_lshlrev_b32_e32 v8, 1, v6
	s_mul_i32 s4, s4, ttmp9
	s_wait_kmcnt 0x0
	s_add_nc_u64 s[8:9], s[14:15], s[26:27]
	v_dual_mov_b32 v6, 0 :: v_dual_lshlrev_b32 v11, 2, v6
	s_add_nc_u64 s[8:9], s[8:9], s[28:29]
	v_dual_mov_b32 v4, 0 :: v_dual_lshlrev_b32 v9, 3, v4
	v_mad_co_u64_u32 v[0:1], null, v0, 36, s[8:9]
	v_lshlrev_b32_e32 v10, 1, v8
	v_mov_b32_e32 v8, 0
	s_mul_i32 s7, s7, s16
	s_add_co_i32 s2, s2, s4
	s_lshl_b32 s4, s5, 1
	s_add_co_i32 s2, s7, s2
	s_mul_i32 s7, s5, 3
	s_mov_b32 s11, 0xf6eaddcf
	s_mov_b32 s14, 0x71594535
	;; [unrolled: 1-line block ×3, first 2 shown]
.LBB235_2:                              ; =>This Inner Loop Header: Depth=1
	v_add_nc_u32_e32 v14, s2, v7
	v_add_nc_u32_e32 v18, s5, v7
	;; [unrolled: 1-line block ×4, first 2 shown]
	v_add_co_u32 v12, vcc_lo, v0, v9
	v_mad_co_i64_i32 v[14:15], null, v14, 18, s[12:13]
	v_mad_co_u64_u32 v[18:19], null, v18, 36, s[8:9]
	v_mad_co_u64_u32 v[20:21], null, v20, 36, s[8:9]
	;; [unrolled: 1-line block ×3, first 2 shown]
	s_wait_alu 0xfffd
	v_add_co_ci_u32_e64 v13, null, 0, v1, vcc_lo
	global_load_b32 v32, v[0:1], off
	v_add_co_u32 v24, vcc_lo, v14, v10
	s_wait_alu 0xfffd
	v_add_co_ci_u32_e64 v25, null, 0, v15, vcc_lo
	v_add_co_u32 v26, vcc_lo, v18, v11
	s_wait_alu 0xfffd
	v_add_co_ci_u32_e64 v27, null, 0, v19, vcc_lo
	;; [unrolled: 3-line block ×4, first 2 shown]
	s_clause 0x1
	global_load_b64 v[16:17], v[12:13], off offset:4
	global_load_b64 v[12:13], v[12:13], off offset:20
	s_clause 0x1
	global_load_b64 v[24:25], v[24:25], off offset:2
	global_load_u16 v33, v[14:15], off
	s_clause 0x8
	global_load_b64 v[14:15], v[26:27], off offset:4
	global_load_b64 v[26:27], v[26:27], off offset:20
	global_load_b32 v34, v[20:21], off
	global_load_b32 v35, v[18:19], off
	global_load_b64 v[18:19], v[30:31], off offset:20
	global_load_b64 v[20:21], v[28:29], off offset:4
	;; [unrolled: 1-line block ×4, first 2 shown]
	global_load_b32 v22, v[22:23], off
	v_add_co_u32 v0, vcc_lo, 0x240, v0
	s_wait_alu 0xfffd
	v_add_co_ci_u32_e64 v1, null, 0, v1, vcc_lo
	s_wait_loadcnt 0xd
	v_cvt_f32_f16_e32 v23, v32
	s_wait_loadcnt 0xa
	v_ashrrev_i32_e32 v32, 4, v24
	s_wait_loadcnt 0x9
	v_cvt_f32_f16_e32 v33, v33
	v_and_b32_e32 v36, 0x7070707, v24
	v_lshrrev_b32_e32 v24, 1, v24
	v_ashrrev_i32_e32 v37, 4, v25
	v_and_b32_e32 v40, 0x7070707, v32
	v_lshrrev_b32_e32 v32, 1, v32
	v_mul_f32_e32 v23, v33, v23
	v_perm_b32 v39, s11, 0xbfad9881, v36
	v_perm_b32 v36, s14, 0x26190d01, v36
	v_and_or_b32 v24, v24, s15, 0x3020100
	s_wait_loadcnt 0x5
	v_cvt_f32_f16_e32 v35, v35
	v_and_b32_e32 v38, 0x7070707, v25
	v_lshrrev_b32_e32 v25, 1, v25
	v_perm_b32 v43, s11, 0xbfad9881, v40
	v_perm_b32 v40, s14, 0x26190d01, v40
	v_and_or_b32 v32, v32, s15, 0x3020100
	v_perm_b32 v24, v36, v39, v24
	v_and_b32_e32 v42, 0x7070707, v37
	v_and_or_b32 v25, v25, s15, 0x3020100
	v_lshrrev_b32_e32 v37, 1, v37
	v_mul_f32_e32 v35, v33, v35
	v_perm_b32 v41, s11, 0xbfad9881, v38
	v_perm_b32 v38, s14, 0x26190d01, v38
	;; [unrolled: 1-line block ×3, first 2 shown]
	v_dot4_i32_iu8 v16, v24, v16, 0 neg_lo:[1,1,0]
	v_dot4_i32_iu8 v14, v24, v14, 0 neg_lo:[1,1,0]
	s_wait_loadcnt 0x3
	v_dot4_i32_iu8 v20, v24, v20, 0 neg_lo:[1,1,0]
	s_wait_loadcnt 0x1
	v_dot4_i32_iu8 v24, v24, v30, 0 neg_lo:[1,1,0]
	v_perm_b32 v36, s11, 0xbfad9881, v42
	v_perm_b32 v39, s14, 0x26190d01, v42
	;; [unrolled: 1-line block ×3, first 2 shown]
	v_and_or_b32 v30, v37, s15, 0x3020100
	v_dot4_i32_iu8 v12, v32, v12, v16 neg_lo:[1,1,0]
	v_dot4_i32_iu8 v14, v32, v26, v14 neg_lo:[1,1,0]
	;; [unrolled: 1-line block ×4, first 2 shown]
	v_perm_b32 v20, v39, v36, v30
	v_dot4_i32_iu8 v12, v25, v17, v12 neg_lo:[1,1,0]
	v_dot4_i32_iu8 v14, v25, v15, v14 neg_lo:[1,1,0]
	v_dot4_i32_iu8 v15, v25, v21, v16 neg_lo:[1,1,0]
	v_dot4_i32_iu8 v16, v25, v31, v18 neg_lo:[1,1,0]
	v_cvt_f32_f16_e32 v34, v34
	s_wait_loadcnt 0x0
	v_cvt_f32_f16_e32 v22, v22
	v_dot4_i32_iu8 v12, v20, v13, v12 neg_lo:[1,1,0]
	v_dot4_i32_iu8 v13, v20, v27, v14 neg_lo:[1,1,0]
	;; [unrolled: 1-line block ×4, first 2 shown]
	v_dual_mul_f32 v16, v33, v22 :: v_dual_add_nc_u32 v7, 16, v7
	v_mul_f32_e32 v17, v33, v34
	v_cvt_f32_i32_e32 v12, v12
	v_cvt_f32_i32_e32 v13, v13
	;; [unrolled: 1-line block ×4, first 2 shown]
	v_cmp_le_u32_e32 vcc_lo, s22, v7
	v_fmac_f32_e32 v8, v23, v12
	v_fmac_f32_e32 v6, v35, v13
	;; [unrolled: 1-line block ×4, first 2 shown]
	s_or_b32 s3, vcc_lo, s3
	s_wait_alu 0xfffe
	s_and_not1_b32 exec_lo, exec_lo, s3
	s_cbranch_execnz .LBB235_2
; %bb.3:
	s_or_b32 exec_lo, exec_lo, s3
.LBB235_4:
	s_delay_alu instid0(SALU_CYCLE_1)
	s_or_b32 exec_lo, exec_lo, s21
	s_mov_b32 s3, 0
	; wave barrier
	global_inv scope:SCOPE_SE
	s_mov_b32 s2, exec_lo
	v_cmpx_eq_u32_e32 0, v5
	s_cbranch_execz .LBB235_13
; %bb.5:
	v_mbcnt_lo_u32_b32 v9, -1, 0
	s_load_b64 s[0:1], s[0:1], 0x38
	s_mul_i32 s2, s10, s19
	s_mul_i32 s4, s18, s20
	s_wait_alu 0xfffe
	s_add_co_i32 s2, s2, ttmp9
	v_xor_b32_e32 v0, 16, v9
	v_xor_b32_e32 v1, 8, v9
	s_wait_alu 0xfffe
	s_add_co_i32 s2, s2, s4
	s_wait_alu 0xfffe
	s_lshl_b64 s[2:3], s[2:3], 2
	v_cmp_gt_i32_e32 vcc_lo, 32, v0
	s_wait_alu 0xfffd
	v_cndmask_b32_e32 v0, v9, v0, vcc_lo
	v_cmp_gt_i32_e32 vcc_lo, 32, v1
	s_wait_alu 0xfffd
	v_cndmask_b32_e32 v1, v9, v1, vcc_lo
	s_wait_kmcnt 0x0
	s_wait_alu 0xfffe
	s_add_nc_u64 s[0:1], s[0:1], s[2:3]
	s_delay_alu instid0(VALU_DEP_1)
	v_lshlrev_b32_e32 v1, 2, v1
	v_lshlrev_b32_e32 v0, 2, v0
	ds_bpermute_b32 v5, v0, v8
	s_wait_dscnt 0x0
	v_add_f32_e32 v7, v8, v5
	v_xor_b32_e32 v5, 4, v9
	ds_bpermute_b32 v8, v1, v7
	v_cmp_gt_i32_e32 vcc_lo, 32, v5
	s_wait_dscnt 0x0
	s_wait_alu 0xfffd
	v_dual_add_f32 v8, v7, v8 :: v_dual_cndmask_b32 v5, v9, v5
	v_xor_b32_e32 v7, 2, v9
	s_delay_alu instid0(VALU_DEP_2) | instskip(NEXT) | instid1(VALU_DEP_2)
	v_lshlrev_b32_e32 v5, 2, v5
	v_cmp_gt_i32_e32 vcc_lo, 32, v7
	ds_bpermute_b32 v10, v5, v8
	s_wait_dscnt 0x0
	s_wait_alu 0xfffd
	v_dual_cndmask_b32 v7, v9, v7 :: v_dual_add_f32 v10, v8, v10
	v_xor_b32_e32 v8, 1, v9
	s_delay_alu instid0(VALU_DEP_1) | instskip(SKIP_3) | instid1(VALU_DEP_2)
	v_cmp_gt_i32_e32 vcc_lo, 32, v8
	s_wait_alu 0xfffd
	v_cndmask_b32_e32 v8, v9, v8, vcc_lo
	v_cmp_eq_u32_e32 vcc_lo, 0, v3
	v_lshlrev_b32_e32 v8, 2, v8
	v_lshlrev_b32_e32 v7, 2, v7
	ds_bpermute_b32 v11, v7, v10
	s_wait_dscnt 0x0
	v_add_f32_e32 v9, v10, v11
	ds_bpermute_b32 v10, v8, v9
	s_and_saveexec_b32 s2, vcc_lo
	s_cbranch_execz .LBB235_7
; %bb.6:
	s_wait_dscnt 0x0
	v_add_f32_e32 v3, v9, v10
	v_mov_b32_e32 v9, 0
	global_store_b32 v9, v3, s[0:1]
.LBB235_7:
	s_wait_alu 0xfffe
	s_or_b32 exec_lo, exec_lo, s2
	ds_bpermute_b32 v3, v0, v6
	s_wait_dscnt 0x0
	v_add_f32_e32 v3, v6, v3
	ds_bpermute_b32 v6, v1, v3
	s_wait_dscnt 0x0
	v_add_f32_e32 v3, v3, v6
	;; [unrolled: 3-line block ×4, first 2 shown]
	ds_bpermute_b32 v6, v8, v3
	s_and_saveexec_b32 s2, vcc_lo
	s_cbranch_execz .LBB235_9
; %bb.8:
	s_mov_b32 s7, 0
	s_wait_dscnt 0x0
	v_dual_add_f32 v3, v3, v6 :: v_dual_mov_b32 v6, 0
	s_wait_alu 0xfffe
	s_lshl_b64 s[4:5], s[6:7], 2
	s_wait_alu 0xfffe
	s_add_nc_u64 s[4:5], s[0:1], s[4:5]
	global_store_b32 v6, v3, s[4:5]
.LBB235_9:
	s_wait_alu 0xfffe
	s_or_b32 exec_lo, exec_lo, s2
	ds_bpermute_b32 v3, v0, v4
	s_wait_dscnt 0x0
	v_add_f32_e32 v3, v4, v3
	ds_bpermute_b32 v4, v1, v3
	s_wait_dscnt 0x0
	v_add_f32_e32 v3, v3, v4
	;; [unrolled: 3-line block ×4, first 2 shown]
	ds_bpermute_b32 v4, v8, v3
	s_and_saveexec_b32 s2, vcc_lo
	s_cbranch_execz .LBB235_11
; %bb.10:
	s_lshl_b32 s4, s6, 1
	s_mov_b32 s5, 0
	s_wait_dscnt 0x0
	v_dual_add_f32 v3, v3, v4 :: v_dual_mov_b32 v4, 0
	s_wait_alu 0xfffe
	s_lshl_b64 s[4:5], s[4:5], 2
	s_wait_alu 0xfffe
	s_add_nc_u64 s[4:5], s[0:1], s[4:5]
	global_store_b32 v4, v3, s[4:5]
.LBB235_11:
	s_wait_alu 0xfffe
	s_or_b32 exec_lo, exec_lo, s2
	ds_bpermute_b32 v0, v0, v2
	s_wait_dscnt 0x0
	v_add_f32_e32 v0, v2, v0
	ds_bpermute_b32 v1, v1, v0
	s_wait_dscnt 0x0
	v_add_f32_e32 v0, v0, v1
	;; [unrolled: 3-line block ×4, first 2 shown]
	ds_bpermute_b32 v1, v8, v0
	s_and_b32 exec_lo, exec_lo, vcc_lo
	s_cbranch_execz .LBB235_13
; %bb.12:
	s_mul_i32 s2, s6, 3
	s_mov_b32 s3, 0
	s_wait_dscnt 0x0
	v_dual_add_f32 v0, v0, v1 :: v_dual_mov_b32 v1, 0
	s_wait_alu 0xfffe
	s_lshl_b64 s[2:3], s[2:3], 2
	s_wait_alu 0xfffe
	s_add_nc_u64 s[0:1], s[0:1], s[2:3]
	global_store_b32 v1, v0, s[0:1]
.LBB235_13:
	s_endpgm
	.section	.rodata,"a",@progbits
	.p2align	6, 0x0
	.amdhsa_kernel _ZL13mul_mat_vec_qIL9ggml_type20ELi4ELb0ELb0EEvPKvS2_PKi31ggml_cuda_mm_fusion_args_devicePfj15HIP_vector_typeIjLj3EEjjjS8_jjjS8_jjjj
		.amdhsa_group_segment_fixed_size 0
		.amdhsa_private_segment_fixed_size 0
		.amdhsa_kernarg_size 144
		.amdhsa_user_sgpr_count 2
		.amdhsa_user_sgpr_dispatch_ptr 0
		.amdhsa_user_sgpr_queue_ptr 0
		.amdhsa_user_sgpr_kernarg_segment_ptr 1
		.amdhsa_user_sgpr_dispatch_id 0
		.amdhsa_user_sgpr_private_segment_size 0
		.amdhsa_wavefront_size32 1
		.amdhsa_uses_dynamic_stack 0
		.amdhsa_enable_private_segment 0
		.amdhsa_system_sgpr_workgroup_id_x 1
		.amdhsa_system_sgpr_workgroup_id_y 1
		.amdhsa_system_sgpr_workgroup_id_z 1
		.amdhsa_system_sgpr_workgroup_info 0
		.amdhsa_system_vgpr_workitem_id 1
		.amdhsa_next_free_vgpr 44
		.amdhsa_next_free_sgpr 30
		.amdhsa_reserve_vcc 1
		.amdhsa_float_round_mode_32 0
		.amdhsa_float_round_mode_16_64 0
		.amdhsa_float_denorm_mode_32 3
		.amdhsa_float_denorm_mode_16_64 3
		.amdhsa_fp16_overflow 0
		.amdhsa_workgroup_processor_mode 1
		.amdhsa_memory_ordered 1
		.amdhsa_forward_progress 1
		.amdhsa_inst_pref_size 15
		.amdhsa_round_robin_scheduling 0
		.amdhsa_exception_fp_ieee_invalid_op 0
		.amdhsa_exception_fp_denorm_src 0
		.amdhsa_exception_fp_ieee_div_zero 0
		.amdhsa_exception_fp_ieee_overflow 0
		.amdhsa_exception_fp_ieee_underflow 0
		.amdhsa_exception_fp_ieee_inexact 0
		.amdhsa_exception_int_div_zero 0
	.end_amdhsa_kernel
	.section	.text._ZL13mul_mat_vec_qIL9ggml_type20ELi4ELb0ELb0EEvPKvS2_PKi31ggml_cuda_mm_fusion_args_devicePfj15HIP_vector_typeIjLj3EEjjjS8_jjjS8_jjjj,"axG",@progbits,_ZL13mul_mat_vec_qIL9ggml_type20ELi4ELb0ELb0EEvPKvS2_PKi31ggml_cuda_mm_fusion_args_devicePfj15HIP_vector_typeIjLj3EEjjjS8_jjjS8_jjjj,comdat
.Lfunc_end235:
	.size	_ZL13mul_mat_vec_qIL9ggml_type20ELi4ELb0ELb0EEvPKvS2_PKi31ggml_cuda_mm_fusion_args_devicePfj15HIP_vector_typeIjLj3EEjjjS8_jjjS8_jjjj, .Lfunc_end235-_ZL13mul_mat_vec_qIL9ggml_type20ELi4ELb0ELb0EEvPKvS2_PKi31ggml_cuda_mm_fusion_args_devicePfj15HIP_vector_typeIjLj3EEjjjS8_jjjS8_jjjj
                                        ; -- End function
	.set _ZL13mul_mat_vec_qIL9ggml_type20ELi4ELb0ELb0EEvPKvS2_PKi31ggml_cuda_mm_fusion_args_devicePfj15HIP_vector_typeIjLj3EEjjjS8_jjjS8_jjjj.num_vgpr, 44
	.set _ZL13mul_mat_vec_qIL9ggml_type20ELi4ELb0ELb0EEvPKvS2_PKi31ggml_cuda_mm_fusion_args_devicePfj15HIP_vector_typeIjLj3EEjjjS8_jjjS8_jjjj.num_agpr, 0
	.set _ZL13mul_mat_vec_qIL9ggml_type20ELi4ELb0ELb0EEvPKvS2_PKi31ggml_cuda_mm_fusion_args_devicePfj15HIP_vector_typeIjLj3EEjjjS8_jjjS8_jjjj.numbered_sgpr, 30
	.set _ZL13mul_mat_vec_qIL9ggml_type20ELi4ELb0ELb0EEvPKvS2_PKi31ggml_cuda_mm_fusion_args_devicePfj15HIP_vector_typeIjLj3EEjjjS8_jjjS8_jjjj.num_named_barrier, 0
	.set _ZL13mul_mat_vec_qIL9ggml_type20ELi4ELb0ELb0EEvPKvS2_PKi31ggml_cuda_mm_fusion_args_devicePfj15HIP_vector_typeIjLj3EEjjjS8_jjjS8_jjjj.private_seg_size, 0
	.set _ZL13mul_mat_vec_qIL9ggml_type20ELi4ELb0ELb0EEvPKvS2_PKi31ggml_cuda_mm_fusion_args_devicePfj15HIP_vector_typeIjLj3EEjjjS8_jjjS8_jjjj.uses_vcc, 1
	.set _ZL13mul_mat_vec_qIL9ggml_type20ELi4ELb0ELb0EEvPKvS2_PKi31ggml_cuda_mm_fusion_args_devicePfj15HIP_vector_typeIjLj3EEjjjS8_jjjS8_jjjj.uses_flat_scratch, 0
	.set _ZL13mul_mat_vec_qIL9ggml_type20ELi4ELb0ELb0EEvPKvS2_PKi31ggml_cuda_mm_fusion_args_devicePfj15HIP_vector_typeIjLj3EEjjjS8_jjjS8_jjjj.has_dyn_sized_stack, 0
	.set _ZL13mul_mat_vec_qIL9ggml_type20ELi4ELb0ELb0EEvPKvS2_PKi31ggml_cuda_mm_fusion_args_devicePfj15HIP_vector_typeIjLj3EEjjjS8_jjjS8_jjjj.has_recursion, 0
	.set _ZL13mul_mat_vec_qIL9ggml_type20ELi4ELb0ELb0EEvPKvS2_PKi31ggml_cuda_mm_fusion_args_devicePfj15HIP_vector_typeIjLj3EEjjjS8_jjjS8_jjjj.has_indirect_call, 0
	.section	.AMDGPU.csdata,"",@progbits
; Kernel info:
; codeLenInByte = 1892
; TotalNumSgprs: 32
; NumVgprs: 44
; ScratchSize: 0
; MemoryBound: 0
; FloatMode: 240
; IeeeMode: 1
; LDSByteSize: 0 bytes/workgroup (compile time only)
; SGPRBlocks: 0
; VGPRBlocks: 5
; NumSGPRsForWavesPerEU: 32
; NumVGPRsForWavesPerEU: 44
; Occupancy: 16
; WaveLimiterHint : 0
; COMPUTE_PGM_RSRC2:SCRATCH_EN: 0
; COMPUTE_PGM_RSRC2:USER_SGPR: 2
; COMPUTE_PGM_RSRC2:TRAP_HANDLER: 0
; COMPUTE_PGM_RSRC2:TGID_X_EN: 1
; COMPUTE_PGM_RSRC2:TGID_Y_EN: 1
; COMPUTE_PGM_RSRC2:TGID_Z_EN: 1
; COMPUTE_PGM_RSRC2:TIDIG_COMP_CNT: 1
	.section	.text._ZL13mul_mat_vec_qIL9ggml_type20ELi5ELb0ELb0EEvPKvS2_PKi31ggml_cuda_mm_fusion_args_devicePfj15HIP_vector_typeIjLj3EEjjjS8_jjjS8_jjjj,"axG",@progbits,_ZL13mul_mat_vec_qIL9ggml_type20ELi5ELb0ELb0EEvPKvS2_PKi31ggml_cuda_mm_fusion_args_devicePfj15HIP_vector_typeIjLj3EEjjjS8_jjjS8_jjjj,comdat
	.globl	_ZL13mul_mat_vec_qIL9ggml_type20ELi5ELb0ELb0EEvPKvS2_PKi31ggml_cuda_mm_fusion_args_devicePfj15HIP_vector_typeIjLj3EEjjjS8_jjjS8_jjjj ; -- Begin function _ZL13mul_mat_vec_qIL9ggml_type20ELi5ELb0ELb0EEvPKvS2_PKi31ggml_cuda_mm_fusion_args_devicePfj15HIP_vector_typeIjLj3EEjjjS8_jjjS8_jjjj
	.p2align	8
	.type	_ZL13mul_mat_vec_qIL9ggml_type20ELi5ELb0ELb0EEvPKvS2_PKi31ggml_cuda_mm_fusion_args_devicePfj15HIP_vector_typeIjLj3EEjjjS8_jjjS8_jjjj,@function
_ZL13mul_mat_vec_qIL9ggml_type20ELi5ELb0ELb0EEvPKvS2_PKi31ggml_cuda_mm_fusion_args_devicePfj15HIP_vector_typeIjLj3EEjjjS8_jjjS8_jjjj: ; @_ZL13mul_mat_vec_qIL9ggml_type20ELi5ELb0ELb0EEvPKvS2_PKi31ggml_cuda_mm_fusion_args_devicePfj15HIP_vector_typeIjLj3EEjjjS8_jjjS8_jjjj
; %bb.0:
	v_bfe_u32 v6, v0, 10, 10
	s_clause 0x5
	s_load_b32 s2, s[0:1], 0x40
	s_load_b96 s[16:18], s[0:1], 0x80
	s_load_b128 s[4:7], s[0:1], 0x50
	s_load_b32 s23, s[0:1], 0x60
	s_load_b128 s[8:11], s[0:1], 0x68
	s_load_b32 s24, s[0:1], 0x78
	v_dual_mov_b32 v2, 0 :: v_dual_and_b32 v3, 0x3ff, v0
	v_dual_mov_b32 v5, 0 :: v_dual_lshlrev_b32 v0, 5, v6
	v_dual_mov_b32 v4, 0 :: v_dual_mov_b32 v9, 0
	s_and_b32 s19, ttmp7, 0xffff
	s_delay_alu instid0(VALU_DEP_2) | instskip(SKIP_3) | instid1(VALU_DEP_2)
	v_add_nc_u16 v0, v0, v3
	s_lshr_b32 s20, ttmp7, 16
	s_mov_b32 s21, exec_lo
	v_mov_b32_e32 v7, 0
	v_lshrrev_b16 v0, 1, v0
	s_delay_alu instid0(VALU_DEP_1)
	v_and_b32_e32 v8, 0xffff, v0
	s_wait_kmcnt 0x0
	s_lshr_b32 s22, s2, 5
	s_delay_alu instid0(VALU_DEP_1) | instid1(SALU_CYCLE_1)
	v_cmpx_gt_u32_e64 s22, v8
	s_cbranch_execz .LBB236_4
; %bb.1:
	s_load_b128 s[12:15], s[0:1], 0x0
	v_dual_mov_b32 v2, 0 :: v_dual_lshlrev_b32 v1, 1, v3
	s_mul_i32 s2, s17, s20
	s_mov_b32 s3, 0
	s_mul_hi_u32 s7, s7, s19
	s_mul_hi_u32 s11, s11, s20
	s_mul_u64 s[26:27], s[2:3], 36
	s_mul_i32 s2, s9, s19
	s_add_co_i32 s7, s19, s7
	v_and_b32_e32 v5, 2, v1
	s_add_co_i32 s9, s20, s11
	s_mul_u64 s[28:29], s[2:3], 36
	s_lshr_b32 s2, s7, s23
	v_dual_mov_b32 v9, 0 :: v_dual_and_b32 v0, 0xffff, v0
	s_lshr_b32 s7, s9, s24
	s_mul_i32 s2, s2, s8
	v_and_b32_e32 v4, 1, v3
	v_lshlrev_b32_e32 v7, 1, v5
	s_wait_kmcnt 0x0
	s_add_nc_u64 s[8:9], s[14:15], s[26:27]
	s_mul_i32 s4, s4, ttmp9
	s_add_nc_u64 s[8:9], s[8:9], s[28:29]
	v_lshlrev_b32_e32 v12, 2, v5
	v_mad_co_u64_u32 v[0:1], null, v0, 36, s[8:9]
	v_lshlrev_b32_e32 v11, 1, v7
	v_dual_mov_b32 v5, 0 :: v_dual_lshlrev_b32 v10, 3, v4
	v_dual_mov_b32 v7, 0 :: v_dual_mov_b32 v4, 0
	s_mul_i32 s7, s7, s16
	s_add_co_i32 s2, s2, s4
	s_lshl_b32 s4, s5, 1
	s_add_co_i32 s2, s7, s2
	s_mul_i32 s7, s5, 3
	s_lshl_b32 s11, s5, 2
	s_mov_b32 s14, 0xf6eaddcf
	s_mov_b32 s15, 0x71594535
	;; [unrolled: 1-line block ×3, first 2 shown]
.LBB236_2:                              ; =>This Inner Loop Header: Depth=1
	v_add_nc_u32_e32 v15, s2, v8
	v_add_nc_u32_e32 v19, s5, v8
	;; [unrolled: 1-line block ×5, first 2 shown]
	v_mad_co_i64_i32 v[15:16], null, v15, 18, s[12:13]
	v_mad_co_u64_u32 v[19:20], null, v19, 36, s[8:9]
	v_mad_co_u64_u32 v[21:22], null, v21, 36, s[8:9]
	v_add_co_u32 v13, vcc_lo, v0, v10
	v_mad_co_u64_u32 v[23:24], null, v23, 36, s[8:9]
	s_wait_alu 0xfffd
	v_add_co_ci_u32_e64 v14, null, 0, v1, vcc_lo
	v_mad_co_u64_u32 v[25:26], null, v25, 36, s[8:9]
	v_add_co_u32 v27, vcc_lo, v15, v11
	s_wait_alu 0xfffd
	v_add_co_ci_u32_e64 v28, null, 0, v16, vcc_lo
	v_add_co_u32 v29, vcc_lo, v19, v12
	s_wait_alu 0xfffd
	v_add_co_ci_u32_e64 v30, null, 0, v20, vcc_lo
	;; [unrolled: 3-line block ×3, first 2 shown]
	v_add_co_u32 v33, vcc_lo, v23, v12
	global_load_b32 v37, v[0:1], off
	s_wait_alu 0xfffd
	v_add_co_ci_u32_e64 v34, null, 0, v24, vcc_lo
	v_add_co_u32 v35, vcc_lo, v25, v12
	s_wait_alu 0xfffd
	v_add_co_ci_u32_e64 v36, null, 0, v26, vcc_lo
	s_clause 0x1
	global_load_b64 v[17:18], v[13:14], off offset:4
	global_load_b64 v[13:14], v[13:14], off offset:20
	s_clause 0x1
	global_load_b64 v[27:28], v[27:28], off offset:2
	global_load_u16 v38, v[15:16], off
	s_clause 0xb
	global_load_b64 v[15:16], v[29:30], off offset:4
	global_load_b64 v[29:30], v[29:30], off offset:20
	global_load_b32 v39, v[21:22], off
	global_load_b32 v40, v[19:20], off
	global_load_b64 v[19:20], v[31:32], off offset:4
	global_load_b64 v[21:22], v[31:32], off offset:20
	;; [unrolled: 1-line block ×3, first 2 shown]
	global_load_b32 v41, v[23:24], off
	global_load_b64 v[23:24], v[33:34], off offset:20
	global_load_b64 v[33:34], v[35:36], off offset:4
	;; [unrolled: 1-line block ×3, first 2 shown]
	global_load_b32 v25, v[25:26], off
	v_add_co_u32 v0, vcc_lo, 0x240, v0
	s_wait_alu 0xfffd
	v_add_co_ci_u32_e64 v1, null, 0, v1, vcc_lo
	s_wait_loadcnt 0xd
	v_ashrrev_i32_e32 v43, 4, v28
	s_wait_loadcnt 0xc
	v_cvt_f32_f16_e32 v38, v38
	s_wait_loadcnt 0x9
	v_cvt_f32_f16_e32 v39, v39
	v_cvt_f32_f16_e32 v26, v37
	v_ashrrev_i32_e32 v37, 4, v27
	s_wait_loadcnt 0x8
	v_cvt_f32_f16_e32 v40, v40
	v_dual_mul_f32 v39, v38, v39 :: v_dual_add_nc_u32 v8, 16, v8
	s_wait_loadcnt 0x4
	v_cvt_f32_f16_e32 v41, v41
	v_and_b32_e32 v42, 0x7070707, v27
	v_lshrrev_b32_e32 v27, 1, v27
	s_wait_loadcnt 0x0
	v_cvt_f32_f16_e32 v25, v25
	v_mul_f32_e32 v40, v38, v40
	v_and_b32_e32 v46, 0x7070707, v37
	v_lshrrev_b32_e32 v37, 1, v37
	v_and_or_b32 v27, v27, s16, 0x3020100
	v_mul_f32_e32 v41, v38, v41
	v_perm_b32 v45, s14, 0xbfad9881, v42
	v_perm_b32 v42, s15, 0x26190d01, v42
	v_dual_mul_f32 v25, v38, v25 :: v_dual_and_b32 v44, 0x7070707, v28
	v_lshrrev_b32_e32 v28, 1, v28
	v_mul_f32_e32 v26, v38, v26
	v_perm_b32 v38, s14, 0xbfad9881, v46
	v_perm_b32 v46, s15, 0x26190d01, v46
	v_and_or_b32 v37, v37, s16, 0x3020100
	v_perm_b32 v27, v42, v45, v27
	v_perm_b32 v47, s14, 0xbfad9881, v44
	v_and_b32_e32 v48, 0x7070707, v43
	v_perm_b32 v44, s15, 0x26190d01, v44
	v_and_or_b32 v28, v28, s16, 0x3020100
	v_lshrrev_b32_e32 v43, 1, v43
	v_perm_b32 v37, v46, v38, v37
	v_dot4_i32_iu8 v17, v27, v17, 0 neg_lo:[1,1,0]
	v_dot4_i32_iu8 v15, v27, v15, 0 neg_lo:[1,1,0]
	;; [unrolled: 1-line block ×5, first 2 shown]
	v_perm_b32 v49, s14, 0xbfad9881, v48
	v_perm_b32 v48, s15, 0x26190d01, v48
	v_and_or_b32 v43, v43, s16, 0x3020100
	v_perm_b32 v28, v44, v47, v28
	v_dot4_i32_iu8 v13, v37, v13, v17 neg_lo:[1,1,0]
	v_dot4_i32_iu8 v15, v37, v29, v15 neg_lo:[1,1,0]
	;; [unrolled: 1-line block ×5, first 2 shown]
	v_perm_b32 v38, v48, v49, v43
	v_dot4_i32_iu8 v13, v28, v18, v13 neg_lo:[1,1,0]
	v_dot4_i32_iu8 v15, v28, v16, v15 neg_lo:[1,1,0]
	;; [unrolled: 1-line block ×10, first 2 shown]
	v_cvt_f32_i32_e32 v13, v13
	v_cvt_f32_i32_e32 v14, v14
	;; [unrolled: 1-line block ×5, first 2 shown]
	v_cmp_le_u32_e32 vcc_lo, s22, v8
	v_fmac_f32_e32 v9, v26, v13
	v_fmac_f32_e32 v5, v39, v15
	v_dual_fmac_f32 v7, v40, v14 :: v_dual_fmac_f32 v4, v41, v16
	v_fmac_f32_e32 v2, v25, v17
	s_or_b32 s3, vcc_lo, s3
	s_wait_alu 0xfffe
	s_and_not1_b32 exec_lo, exec_lo, s3
	s_cbranch_execnz .LBB236_2
; %bb.3:
	s_or_b32 exec_lo, exec_lo, s3
.LBB236_4:
	s_delay_alu instid0(SALU_CYCLE_1)
	s_or_b32 exec_lo, exec_lo, s21
	s_mov_b32 s3, 0
	; wave barrier
	global_inv scope:SCOPE_SE
	s_mov_b32 s2, exec_lo
	v_cmpx_eq_u32_e32 0, v6
	s_cbranch_execz .LBB236_15
; %bb.5:
	v_mbcnt_lo_u32_b32 v10, -1, 0
	s_load_b64 s[0:1], s[0:1], 0x38
	s_mul_i32 s2, s10, s19
	s_mul_i32 s4, s18, s20
	s_wait_alu 0xfffe
	s_add_co_i32 s2, s2, ttmp9
	v_xor_b32_e32 v0, 16, v10
	v_xor_b32_e32 v1, 8, v10
	s_wait_alu 0xfffe
	s_add_co_i32 s2, s2, s4
	s_wait_alu 0xfffe
	s_lshl_b64 s[2:3], s[2:3], 2
	v_cmp_gt_i32_e32 vcc_lo, 32, v0
	s_wait_alu 0xfffd
	v_cndmask_b32_e32 v0, v10, v0, vcc_lo
	v_cmp_gt_i32_e32 vcc_lo, 32, v1
	s_wait_alu 0xfffd
	v_cndmask_b32_e32 v1, v10, v1, vcc_lo
	s_wait_kmcnt 0x0
	s_wait_alu 0xfffe
	s_add_nc_u64 s[0:1], s[0:1], s[2:3]
	s_delay_alu instid0(VALU_DEP_1)
	v_lshlrev_b32_e32 v1, 2, v1
	v_lshlrev_b32_e32 v0, 2, v0
	ds_bpermute_b32 v6, v0, v9
	s_wait_dscnt 0x0
	v_add_f32_e32 v8, v9, v6
	v_xor_b32_e32 v6, 4, v10
	ds_bpermute_b32 v9, v1, v8
	v_cmp_gt_i32_e32 vcc_lo, 32, v6
	s_wait_dscnt 0x0
	s_wait_alu 0xfffd
	v_dual_add_f32 v9, v8, v9 :: v_dual_cndmask_b32 v6, v10, v6
	v_xor_b32_e32 v8, 2, v10
	s_delay_alu instid0(VALU_DEP_2) | instskip(NEXT) | instid1(VALU_DEP_2)
	v_lshlrev_b32_e32 v6, 2, v6
	v_cmp_gt_i32_e32 vcc_lo, 32, v8
	ds_bpermute_b32 v11, v6, v9
	s_wait_dscnt 0x0
	s_wait_alu 0xfffd
	v_dual_cndmask_b32 v8, v10, v8 :: v_dual_add_f32 v11, v9, v11
	v_xor_b32_e32 v9, 1, v10
	s_delay_alu instid0(VALU_DEP_1) | instskip(SKIP_3) | instid1(VALU_DEP_2)
	v_cmp_gt_i32_e32 vcc_lo, 32, v9
	s_wait_alu 0xfffd
	v_cndmask_b32_e32 v9, v10, v9, vcc_lo
	v_cmp_eq_u32_e32 vcc_lo, 0, v3
	v_lshlrev_b32_e32 v9, 2, v9
	v_lshlrev_b32_e32 v8, 2, v8
	ds_bpermute_b32 v12, v8, v11
	s_wait_dscnt 0x0
	v_add_f32_e32 v10, v11, v12
	ds_bpermute_b32 v11, v9, v10
	s_and_saveexec_b32 s2, vcc_lo
	s_cbranch_execz .LBB236_7
; %bb.6:
	s_wait_dscnt 0x0
	v_dual_add_f32 v3, v10, v11 :: v_dual_mov_b32 v10, 0
	global_store_b32 v10, v3, s[0:1]
.LBB236_7:
	s_wait_alu 0xfffe
	s_or_b32 exec_lo, exec_lo, s2
	ds_bpermute_b32 v3, v0, v7
	s_wait_dscnt 0x0
	v_add_f32_e32 v3, v7, v3
	ds_bpermute_b32 v7, v1, v3
	s_wait_dscnt 0x0
	v_add_f32_e32 v3, v3, v7
	;; [unrolled: 3-line block ×4, first 2 shown]
	ds_bpermute_b32 v7, v9, v3
	s_and_saveexec_b32 s2, vcc_lo
	s_cbranch_execz .LBB236_9
; %bb.8:
	s_mov_b32 s7, 0
	s_wait_dscnt 0x0
	v_add_f32_e32 v3, v3, v7
	v_mov_b32_e32 v7, 0
	s_wait_alu 0xfffe
	s_lshl_b64 s[4:5], s[6:7], 2
	s_wait_alu 0xfffe
	s_add_nc_u64 s[4:5], s[0:1], s[4:5]
	global_store_b32 v7, v3, s[4:5]
.LBB236_9:
	s_wait_alu 0xfffe
	s_or_b32 exec_lo, exec_lo, s2
	ds_bpermute_b32 v3, v0, v5
	s_wait_dscnt 0x0
	v_add_f32_e32 v3, v5, v3
	ds_bpermute_b32 v5, v1, v3
	s_wait_dscnt 0x0
	v_add_f32_e32 v3, v3, v5
	;; [unrolled: 3-line block ×4, first 2 shown]
	ds_bpermute_b32 v5, v9, v3
	s_and_saveexec_b32 s2, vcc_lo
	s_cbranch_execz .LBB236_11
; %bb.10:
	s_lshl_b32 s4, s6, 1
	s_mov_b32 s5, 0
	s_wait_dscnt 0x0
	v_add_f32_e32 v3, v3, v5
	v_mov_b32_e32 v5, 0
	s_wait_alu 0xfffe
	s_lshl_b64 s[4:5], s[4:5], 2
	s_wait_alu 0xfffe
	s_add_nc_u64 s[4:5], s[0:1], s[4:5]
	global_store_b32 v5, v3, s[4:5]
.LBB236_11:
	s_wait_alu 0xfffe
	s_or_b32 exec_lo, exec_lo, s2
	ds_bpermute_b32 v3, v0, v4
	s_wait_dscnt 0x0
	v_add_f32_e32 v3, v4, v3
	ds_bpermute_b32 v4, v1, v3
	s_wait_dscnt 0x0
	v_add_f32_e32 v3, v3, v4
	;; [unrolled: 3-line block ×4, first 2 shown]
	ds_bpermute_b32 v4, v9, v3
	s_and_saveexec_b32 s2, vcc_lo
	s_cbranch_execz .LBB236_13
; %bb.12:
	s_mul_i32 s4, s6, 3
	s_mov_b32 s5, 0
	s_wait_dscnt 0x0
	v_dual_add_f32 v3, v3, v4 :: v_dual_mov_b32 v4, 0
	s_wait_alu 0xfffe
	s_lshl_b64 s[4:5], s[4:5], 2
	s_wait_alu 0xfffe
	s_add_nc_u64 s[4:5], s[0:1], s[4:5]
	global_store_b32 v4, v3, s[4:5]
.LBB236_13:
	s_wait_alu 0xfffe
	s_or_b32 exec_lo, exec_lo, s2
	ds_bpermute_b32 v0, v0, v2
	s_wait_dscnt 0x0
	v_add_f32_e32 v0, v2, v0
	ds_bpermute_b32 v1, v1, v0
	s_wait_dscnt 0x0
	v_add_f32_e32 v0, v0, v1
	;; [unrolled: 3-line block ×4, first 2 shown]
	ds_bpermute_b32 v1, v9, v0
	s_and_b32 exec_lo, exec_lo, vcc_lo
	s_cbranch_execz .LBB236_15
; %bb.14:
	s_lshl_b32 s2, s6, 2
	s_mov_b32 s3, 0
	s_wait_dscnt 0x0
	v_dual_add_f32 v0, v0, v1 :: v_dual_mov_b32 v1, 0
	s_wait_alu 0xfffe
	s_lshl_b64 s[2:3], s[2:3], 2
	s_wait_alu 0xfffe
	s_add_nc_u64 s[0:1], s[0:1], s[2:3]
	global_store_b32 v1, v0, s[0:1]
.LBB236_15:
	s_endpgm
	.section	.rodata,"a",@progbits
	.p2align	6, 0x0
	.amdhsa_kernel _ZL13mul_mat_vec_qIL9ggml_type20ELi5ELb0ELb0EEvPKvS2_PKi31ggml_cuda_mm_fusion_args_devicePfj15HIP_vector_typeIjLj3EEjjjS8_jjjS8_jjjj
		.amdhsa_group_segment_fixed_size 0
		.amdhsa_private_segment_fixed_size 0
		.amdhsa_kernarg_size 144
		.amdhsa_user_sgpr_count 2
		.amdhsa_user_sgpr_dispatch_ptr 0
		.amdhsa_user_sgpr_queue_ptr 0
		.amdhsa_user_sgpr_kernarg_segment_ptr 1
		.amdhsa_user_sgpr_dispatch_id 0
		.amdhsa_user_sgpr_private_segment_size 0
		.amdhsa_wavefront_size32 1
		.amdhsa_uses_dynamic_stack 0
		.amdhsa_enable_private_segment 0
		.amdhsa_system_sgpr_workgroup_id_x 1
		.amdhsa_system_sgpr_workgroup_id_y 1
		.amdhsa_system_sgpr_workgroup_id_z 1
		.amdhsa_system_sgpr_workgroup_info 0
		.amdhsa_system_vgpr_workitem_id 1
		.amdhsa_next_free_vgpr 50
		.amdhsa_next_free_sgpr 30
		.amdhsa_reserve_vcc 1
		.amdhsa_float_round_mode_32 0
		.amdhsa_float_round_mode_16_64 0
		.amdhsa_float_denorm_mode_32 3
		.amdhsa_float_denorm_mode_16_64 3
		.amdhsa_fp16_overflow 0
		.amdhsa_workgroup_processor_mode 1
		.amdhsa_memory_ordered 1
		.amdhsa_forward_progress 1
		.amdhsa_inst_pref_size 17
		.amdhsa_round_robin_scheduling 0
		.amdhsa_exception_fp_ieee_invalid_op 0
		.amdhsa_exception_fp_denorm_src 0
		.amdhsa_exception_fp_ieee_div_zero 0
		.amdhsa_exception_fp_ieee_overflow 0
		.amdhsa_exception_fp_ieee_underflow 0
		.amdhsa_exception_fp_ieee_inexact 0
		.amdhsa_exception_int_div_zero 0
	.end_amdhsa_kernel
	.section	.text._ZL13mul_mat_vec_qIL9ggml_type20ELi5ELb0ELb0EEvPKvS2_PKi31ggml_cuda_mm_fusion_args_devicePfj15HIP_vector_typeIjLj3EEjjjS8_jjjS8_jjjj,"axG",@progbits,_ZL13mul_mat_vec_qIL9ggml_type20ELi5ELb0ELb0EEvPKvS2_PKi31ggml_cuda_mm_fusion_args_devicePfj15HIP_vector_typeIjLj3EEjjjS8_jjjS8_jjjj,comdat
.Lfunc_end236:
	.size	_ZL13mul_mat_vec_qIL9ggml_type20ELi5ELb0ELb0EEvPKvS2_PKi31ggml_cuda_mm_fusion_args_devicePfj15HIP_vector_typeIjLj3EEjjjS8_jjjS8_jjjj, .Lfunc_end236-_ZL13mul_mat_vec_qIL9ggml_type20ELi5ELb0ELb0EEvPKvS2_PKi31ggml_cuda_mm_fusion_args_devicePfj15HIP_vector_typeIjLj3EEjjjS8_jjjS8_jjjj
                                        ; -- End function
	.set _ZL13mul_mat_vec_qIL9ggml_type20ELi5ELb0ELb0EEvPKvS2_PKi31ggml_cuda_mm_fusion_args_devicePfj15HIP_vector_typeIjLj3EEjjjS8_jjjS8_jjjj.num_vgpr, 50
	.set _ZL13mul_mat_vec_qIL9ggml_type20ELi5ELb0ELb0EEvPKvS2_PKi31ggml_cuda_mm_fusion_args_devicePfj15HIP_vector_typeIjLj3EEjjjS8_jjjS8_jjjj.num_agpr, 0
	.set _ZL13mul_mat_vec_qIL9ggml_type20ELi5ELb0ELb0EEvPKvS2_PKi31ggml_cuda_mm_fusion_args_devicePfj15HIP_vector_typeIjLj3EEjjjS8_jjjS8_jjjj.numbered_sgpr, 30
	.set _ZL13mul_mat_vec_qIL9ggml_type20ELi5ELb0ELb0EEvPKvS2_PKi31ggml_cuda_mm_fusion_args_devicePfj15HIP_vector_typeIjLj3EEjjjS8_jjjS8_jjjj.num_named_barrier, 0
	.set _ZL13mul_mat_vec_qIL9ggml_type20ELi5ELb0ELb0EEvPKvS2_PKi31ggml_cuda_mm_fusion_args_devicePfj15HIP_vector_typeIjLj3EEjjjS8_jjjS8_jjjj.private_seg_size, 0
	.set _ZL13mul_mat_vec_qIL9ggml_type20ELi5ELb0ELb0EEvPKvS2_PKi31ggml_cuda_mm_fusion_args_devicePfj15HIP_vector_typeIjLj3EEjjjS8_jjjS8_jjjj.uses_vcc, 1
	.set _ZL13mul_mat_vec_qIL9ggml_type20ELi5ELb0ELb0EEvPKvS2_PKi31ggml_cuda_mm_fusion_args_devicePfj15HIP_vector_typeIjLj3EEjjjS8_jjjS8_jjjj.uses_flat_scratch, 0
	.set _ZL13mul_mat_vec_qIL9ggml_type20ELi5ELb0ELb0EEvPKvS2_PKi31ggml_cuda_mm_fusion_args_devicePfj15HIP_vector_typeIjLj3EEjjjS8_jjjS8_jjjj.has_dyn_sized_stack, 0
	.set _ZL13mul_mat_vec_qIL9ggml_type20ELi5ELb0ELb0EEvPKvS2_PKi31ggml_cuda_mm_fusion_args_devicePfj15HIP_vector_typeIjLj3EEjjjS8_jjjS8_jjjj.has_recursion, 0
	.set _ZL13mul_mat_vec_qIL9ggml_type20ELi5ELb0ELb0EEvPKvS2_PKi31ggml_cuda_mm_fusion_args_devicePfj15HIP_vector_typeIjLj3EEjjjS8_jjjS8_jjjj.has_indirect_call, 0
	.section	.AMDGPU.csdata,"",@progbits
; Kernel info:
; codeLenInByte = 2156
; TotalNumSgprs: 32
; NumVgprs: 50
; ScratchSize: 0
; MemoryBound: 0
; FloatMode: 240
; IeeeMode: 1
; LDSByteSize: 0 bytes/workgroup (compile time only)
; SGPRBlocks: 0
; VGPRBlocks: 6
; NumSGPRsForWavesPerEU: 32
; NumVGPRsForWavesPerEU: 50
; Occupancy: 16
; WaveLimiterHint : 0
; COMPUTE_PGM_RSRC2:SCRATCH_EN: 0
; COMPUTE_PGM_RSRC2:USER_SGPR: 2
; COMPUTE_PGM_RSRC2:TRAP_HANDLER: 0
; COMPUTE_PGM_RSRC2:TGID_X_EN: 1
; COMPUTE_PGM_RSRC2:TGID_Y_EN: 1
; COMPUTE_PGM_RSRC2:TGID_Z_EN: 1
; COMPUTE_PGM_RSRC2:TIDIG_COMP_CNT: 1
	.section	.text._ZL13mul_mat_vec_qIL9ggml_type20ELi6ELb0ELb0EEvPKvS2_PKi31ggml_cuda_mm_fusion_args_devicePfj15HIP_vector_typeIjLj3EEjjjS8_jjjS8_jjjj,"axG",@progbits,_ZL13mul_mat_vec_qIL9ggml_type20ELi6ELb0ELb0EEvPKvS2_PKi31ggml_cuda_mm_fusion_args_devicePfj15HIP_vector_typeIjLj3EEjjjS8_jjjS8_jjjj,comdat
	.globl	_ZL13mul_mat_vec_qIL9ggml_type20ELi6ELb0ELb0EEvPKvS2_PKi31ggml_cuda_mm_fusion_args_devicePfj15HIP_vector_typeIjLj3EEjjjS8_jjjS8_jjjj ; -- Begin function _ZL13mul_mat_vec_qIL9ggml_type20ELi6ELb0ELb0EEvPKvS2_PKi31ggml_cuda_mm_fusion_args_devicePfj15HIP_vector_typeIjLj3EEjjjS8_jjjS8_jjjj
	.p2align	8
	.type	_ZL13mul_mat_vec_qIL9ggml_type20ELi6ELb0ELb0EEvPKvS2_PKi31ggml_cuda_mm_fusion_args_devicePfj15HIP_vector_typeIjLj3EEjjjS8_jjjS8_jjjj,@function
_ZL13mul_mat_vec_qIL9ggml_type20ELi6ELb0ELb0EEvPKvS2_PKi31ggml_cuda_mm_fusion_args_devicePfj15HIP_vector_typeIjLj3EEjjjS8_jjjS8_jjjj: ; @_ZL13mul_mat_vec_qIL9ggml_type20ELi6ELb0ELb0EEvPKvS2_PKi31ggml_cuda_mm_fusion_args_devicePfj15HIP_vector_typeIjLj3EEjjjS8_jjjS8_jjjj
; %bb.0:
	v_bfe_u32 v7, v0, 10, 10
	s_clause 0x5
	s_load_b32 s2, s[0:1], 0x40
	s_load_b96 s[16:18], s[0:1], 0x80
	s_load_b128 s[4:7], s[0:1], 0x50
	s_load_b32 s23, s[0:1], 0x60
	s_load_b128 s[8:11], s[0:1], 0x68
	s_load_b32 s24, s[0:1], 0x78
	v_dual_mov_b32 v3, 0 :: v_dual_and_b32 v4, 0x3ff, v0
	v_dual_mov_b32 v5, 0 :: v_dual_lshlrev_b32 v0, 5, v7
	v_mov_b32_e32 v6, 0
	v_mov_b32_e32 v8, 0
	;; [unrolled: 1-line block ×3, first 2 shown]
	s_delay_alu instid0(VALU_DEP_4) | instskip(SKIP_3) | instid1(VALU_DEP_1)
	v_add_nc_u16 v0, v0, v4
	s_and_b32 s19, ttmp7, 0xffff
	s_lshr_b32 s20, ttmp7, 16
	s_mov_b32 s21, exec_lo
	v_lshrrev_b16 v0, 1, v0
	s_delay_alu instid0(VALU_DEP_1)
	v_dual_mov_b32 v2, 0 :: v_dual_and_b32 v9, 0xffff, v0
	s_wait_kmcnt 0x0
	s_lshr_b32 s22, s2, 5
	s_delay_alu instid0(VALU_DEP_1) | instid1(SALU_CYCLE_1)
	v_cmpx_gt_u32_e64 s22, v9
	s_cbranch_execz .LBB237_4
; %bb.1:
	s_load_b128 s[12:15], s[0:1], 0x0
	v_dual_mov_b32 v2, 0 :: v_dual_lshlrev_b32 v1, 1, v4
	s_mul_i32 s2, s17, s20
	s_mov_b32 s3, 0
	s_mul_hi_u32 s7, s7, s19
	s_delay_alu instid0(VALU_DEP_1)
	v_dual_mov_b32 v8, 0 :: v_dual_and_b32 v5, 2, v1
	s_mul_hi_u32 s11, s11, s20
	s_mul_u64 s[26:27], s[2:3], 36
	s_mul_i32 s2, s9, s19
	s_add_co_i32 s7, s19, s7
	s_add_co_i32 s9, s20, s11
	s_mul_u64 s[28:29], s[2:3], 36
	s_lshr_b32 s2, s7, s23
	v_and_b32_e32 v3, 1, v4
	v_and_b32_e32 v0, 0xffff, v0
	v_lshlrev_b32_e32 v6, 1, v5
	s_lshr_b32 s7, s9, s24
	s_mul_i32 s2, s2, s8
	s_wait_kmcnt 0x0
	s_add_nc_u64 s[8:9], s[14:15], s[26:27]
	v_lshlrev_b32_e32 v13, 2, v5
	s_add_nc_u64 s[8:9], s[8:9], s[28:29]
	v_dual_mov_b32 v5, 0 :: v_dual_lshlrev_b32 v12, 1, v6
	v_dual_mov_b32 v6, 0 :: v_dual_lshlrev_b32 v11, 3, v3
	v_dual_mov_b32 v10, 0 :: v_dual_mov_b32 v3, 0
	v_mad_co_u64_u32 v[0:1], null, v0, 36, s[8:9]
	s_mul_i32 s4, s4, ttmp9
	s_mul_i32 s7, s7, s16
	s_add_co_i32 s2, s2, s4
	s_lshl_b32 s4, s5, 1
	s_add_co_i32 s2, s7, s2
	s_mul_i32 s7, s5, 3
	s_lshl_b32 s11, s5, 2
	s_mul_i32 s14, s5, 5
	s_mov_b32 s15, 0xf6eaddcf
	s_mov_b32 s16, 0x71594535
	;; [unrolled: 1-line block ×3, first 2 shown]
.LBB237_2:                              ; =>This Inner Loop Header: Depth=1
	v_add_nc_u32_e32 v16, s2, v9
	v_add_nc_u32_e32 v20, s5, v9
	;; [unrolled: 1-line block ×5, first 2 shown]
	v_mad_co_i64_i32 v[16:17], null, v16, 18, s[12:13]
	v_mad_co_u64_u32 v[20:21], null, v20, 36, s[8:9]
	v_mad_co_u64_u32 v[22:23], null, v22, 36, s[8:9]
	v_add_nc_u32_e32 v28, s14, v9
	v_add_co_u32 v14, vcc_lo, v0, v11
	v_mad_co_u64_u32 v[24:25], null, v24, 36, s[8:9]
	s_wait_alu 0xfffd
	v_add_co_ci_u32_e64 v15, null, 0, v1, vcc_lo
	v_mad_co_u64_u32 v[26:27], null, v26, 36, s[8:9]
	v_add_co_u32 v30, vcc_lo, v16, v12
	v_mad_co_u64_u32 v[28:29], null, v28, 36, s[8:9]
	s_wait_alu 0xfffd
	v_add_co_ci_u32_e64 v31, null, 0, v17, vcc_lo
	v_add_co_u32 v32, vcc_lo, v20, v13
	s_wait_alu 0xfffd
	v_add_co_ci_u32_e64 v33, null, 0, v21, vcc_lo
	v_add_co_u32 v34, vcc_lo, v22, v13
	;; [unrolled: 3-line block ×3, first 2 shown]
	global_load_b32 v42, v[0:1], off
	s_wait_alu 0xfffd
	v_add_co_ci_u32_e64 v37, null, 0, v25, vcc_lo
	v_add_co_u32 v38, vcc_lo, v26, v13
	s_wait_alu 0xfffd
	v_add_co_ci_u32_e64 v39, null, 0, v27, vcc_lo
	v_add_co_u32 v40, vcc_lo, v28, v13
	s_wait_alu 0xfffd
	v_add_co_ci_u32_e64 v41, null, 0, v29, vcc_lo
	s_clause 0x1
	global_load_b64 v[18:19], v[14:15], off offset:4
	global_load_b64 v[14:15], v[14:15], off offset:20
	s_clause 0x1
	global_load_b64 v[30:31], v[30:31], off offset:2
	global_load_u16 v43, v[16:17], off
	s_clause 0xe
	global_load_b64 v[16:17], v[32:33], off offset:4
	global_load_b64 v[32:33], v[32:33], off offset:20
	global_load_b32 v44, v[22:23], off
	global_load_b32 v45, v[20:21], off
	global_load_b64 v[20:21], v[34:35], off offset:4
	global_load_b64 v[22:23], v[34:35], off offset:20
	;; [unrolled: 1-line block ×3, first 2 shown]
	global_load_b32 v46, v[24:25], off
	global_load_b64 v[24:25], v[36:37], off offset:20
	global_load_b64 v[36:37], v[38:39], off offset:4
	;; [unrolled: 1-line block ×3, first 2 shown]
	global_load_b32 v47, v[26:27], off
	global_load_b64 v[26:27], v[40:41], off offset:4
	global_load_b64 v[40:41], v[40:41], off offset:20
	global_load_b32 v28, v[28:29], off
	v_add_co_u32 v0, vcc_lo, 0x240, v0
	s_wait_alu 0xfffd
	v_add_co_ci_u32_e64 v1, null, 0, v1, vcc_lo
	s_wait_loadcnt 0x10
	v_ashrrev_i32_e32 v49, 4, v31
	s_wait_loadcnt 0xf
	v_cvt_f32_f16_e32 v43, v43
	v_cvt_f32_f16_e32 v29, v42
	v_ashrrev_i32_e32 v42, 4, v30
	v_and_b32_e32 v48, 0x7070707, v30
	v_lshrrev_b32_e32 v30, 1, v30
	s_wait_loadcnt 0xb
	v_cvt_f32_f16_e32 v45, v45
	s_wait_loadcnt 0x7
	v_cvt_f32_f16_e32 v46, v46
	v_cvt_f32_f16_e32 v44, v44
	v_mul_f32_e32 v29, v43, v29
	v_perm_b32 v51, s15, 0xbfad9881, v48
	s_wait_loadcnt 0x3
	v_cvt_f32_f16_e32 v47, v47
	v_perm_b32 v48, s16, 0x26190d01, v48
	v_and_or_b32 v30, v30, s17, 0x3020100
	s_wait_loadcnt 0x0
	v_cvt_f32_f16_e32 v28, v28
	v_mul_f32_e32 v46, v43, v46
	v_and_b32_e32 v52, 0x7070707, v42
	v_lshrrev_b32_e32 v42, 1, v42
	v_dual_mul_f32 v44, v43, v44 :: v_dual_add_nc_u32 v9, 16, v9
	v_dual_mul_f32 v45, v43, v45 :: v_dual_and_b32 v50, 0x7070707, v31
	v_lshrrev_b32_e32 v31, 1, v31
	v_mul_f32_e32 v47, v43, v47
	v_mul_f32_e32 v28, v43, v28
	v_perm_b32 v43, s15, 0xbfad9881, v52
	v_perm_b32 v52, s16, 0x26190d01, v52
	v_and_or_b32 v42, v42, s17, 0x3020100
	v_perm_b32 v30, v48, v51, v30
	v_perm_b32 v53, s15, 0xbfad9881, v50
	v_and_b32_e32 v54, 0x7070707, v49
	v_perm_b32 v50, s16, 0x26190d01, v50
	v_and_or_b32 v31, v31, s17, 0x3020100
	v_lshrrev_b32_e32 v49, 1, v49
	v_perm_b32 v42, v52, v43, v42
	v_dot4_i32_iu8 v18, v30, v18, 0 neg_lo:[1,1,0]
	v_dot4_i32_iu8 v16, v30, v16, 0 neg_lo:[1,1,0]
	;; [unrolled: 1-line block ×6, first 2 shown]
	v_perm_b32 v55, s15, 0xbfad9881, v54
	v_perm_b32 v54, s16, 0x26190d01, v54
	v_and_or_b32 v49, v49, s17, 0x3020100
	v_perm_b32 v31, v50, v53, v31
	v_dot4_i32_iu8 v14, v42, v14, v18 neg_lo:[1,1,0]
	v_dot4_i32_iu8 v16, v42, v32, v16 neg_lo:[1,1,0]
	;; [unrolled: 1-line block ×6, first 2 shown]
	v_perm_b32 v43, v54, v55, v49
	v_dot4_i32_iu8 v14, v31, v19, v14 neg_lo:[1,1,0]
	v_dot4_i32_iu8 v16, v31, v17, v16 neg_lo:[1,1,0]
	;; [unrolled: 1-line block ×12, first 2 shown]
	v_cvt_f32_i32_e32 v14, v14
	v_cvt_f32_i32_e32 v15, v15
	;; [unrolled: 1-line block ×6, first 2 shown]
	v_cmp_le_u32_e32 vcc_lo, s22, v9
	v_fmac_f32_e32 v10, v29, v14
	v_fmac_f32_e32 v8, v45, v15
	v_dual_fmac_f32 v6, v44, v16 :: v_dual_fmac_f32 v5, v46, v17
	v_dual_fmac_f32 v3, v47, v18 :: v_dual_fmac_f32 v2, v28, v19
	s_or_b32 s3, vcc_lo, s3
	s_wait_alu 0xfffe
	s_and_not1_b32 exec_lo, exec_lo, s3
	s_cbranch_execnz .LBB237_2
; %bb.3:
	s_or_b32 exec_lo, exec_lo, s3
.LBB237_4:
	s_delay_alu instid0(SALU_CYCLE_1)
	s_or_b32 exec_lo, exec_lo, s21
	s_mov_b32 s3, 0
	; wave barrier
	global_inv scope:SCOPE_SE
	s_mov_b32 s2, exec_lo
	v_cmpx_eq_u32_e32 0, v7
	s_cbranch_execz .LBB237_17
; %bb.5:
	v_mbcnt_lo_u32_b32 v11, -1, 0
	s_load_b64 s[0:1], s[0:1], 0x38
	s_mul_i32 s2, s10, s19
	s_mul_i32 s4, s18, s20
	s_wait_alu 0xfffe
	s_add_co_i32 s2, s2, ttmp9
	v_xor_b32_e32 v0, 16, v11
	v_xor_b32_e32 v1, 8, v11
	s_wait_alu 0xfffe
	s_add_co_i32 s2, s2, s4
	s_wait_alu 0xfffe
	s_lshl_b64 s[2:3], s[2:3], 2
	v_cmp_gt_i32_e32 vcc_lo, 32, v0
	s_wait_alu 0xfffd
	v_cndmask_b32_e32 v0, v11, v0, vcc_lo
	v_cmp_gt_i32_e32 vcc_lo, 32, v1
	s_wait_alu 0xfffd
	v_cndmask_b32_e32 v1, v11, v1, vcc_lo
	s_wait_kmcnt 0x0
	s_wait_alu 0xfffe
	s_add_nc_u64 s[0:1], s[0:1], s[2:3]
	s_delay_alu instid0(VALU_DEP_1)
	v_lshlrev_b32_e32 v1, 2, v1
	v_lshlrev_b32_e32 v0, 2, v0
	ds_bpermute_b32 v7, v0, v10
	s_wait_dscnt 0x0
	v_add_f32_e32 v9, v10, v7
	v_xor_b32_e32 v7, 4, v11
	ds_bpermute_b32 v10, v1, v9
	v_cmp_gt_i32_e32 vcc_lo, 32, v7
	s_wait_dscnt 0x0
	s_wait_alu 0xfffd
	v_dual_add_f32 v10, v9, v10 :: v_dual_cndmask_b32 v7, v11, v7
	v_xor_b32_e32 v9, 2, v11
	s_delay_alu instid0(VALU_DEP_2) | instskip(NEXT) | instid1(VALU_DEP_2)
	v_lshlrev_b32_e32 v7, 2, v7
	v_cmp_gt_i32_e32 vcc_lo, 32, v9
	ds_bpermute_b32 v12, v7, v10
	s_wait_dscnt 0x0
	s_wait_alu 0xfffd
	v_dual_cndmask_b32 v9, v11, v9 :: v_dual_add_f32 v12, v10, v12
	v_xor_b32_e32 v10, 1, v11
	s_delay_alu instid0(VALU_DEP_1) | instskip(SKIP_3) | instid1(VALU_DEP_2)
	v_cmp_gt_i32_e32 vcc_lo, 32, v10
	s_wait_alu 0xfffd
	v_cndmask_b32_e32 v10, v11, v10, vcc_lo
	v_cmp_eq_u32_e32 vcc_lo, 0, v4
	v_lshlrev_b32_e32 v10, 2, v10
	v_lshlrev_b32_e32 v9, 2, v9
	ds_bpermute_b32 v13, v9, v12
	s_wait_dscnt 0x0
	v_add_f32_e32 v11, v12, v13
	ds_bpermute_b32 v12, v10, v11
	s_and_saveexec_b32 s2, vcc_lo
	s_cbranch_execz .LBB237_7
; %bb.6:
	s_wait_dscnt 0x0
	v_dual_add_f32 v4, v11, v12 :: v_dual_mov_b32 v11, 0
	global_store_b32 v11, v4, s[0:1]
.LBB237_7:
	s_wait_alu 0xfffe
	s_or_b32 exec_lo, exec_lo, s2
	ds_bpermute_b32 v4, v0, v8
	s_wait_dscnt 0x0
	v_add_f32_e32 v4, v8, v4
	ds_bpermute_b32 v8, v1, v4
	s_wait_dscnt 0x0
	v_add_f32_e32 v4, v4, v8
	;; [unrolled: 3-line block ×4, first 2 shown]
	ds_bpermute_b32 v8, v10, v4
	s_and_saveexec_b32 s2, vcc_lo
	s_cbranch_execz .LBB237_9
; %bb.8:
	s_mov_b32 s7, 0
	s_wait_dscnt 0x0
	v_add_f32_e32 v4, v4, v8
	v_mov_b32_e32 v8, 0
	s_wait_alu 0xfffe
	s_lshl_b64 s[4:5], s[6:7], 2
	s_wait_alu 0xfffe
	s_add_nc_u64 s[4:5], s[0:1], s[4:5]
	global_store_b32 v8, v4, s[4:5]
.LBB237_9:
	s_wait_alu 0xfffe
	s_or_b32 exec_lo, exec_lo, s2
	ds_bpermute_b32 v4, v0, v6
	s_wait_dscnt 0x0
	v_add_f32_e32 v4, v6, v4
	ds_bpermute_b32 v6, v1, v4
	s_wait_dscnt 0x0
	v_add_f32_e32 v4, v4, v6
	;; [unrolled: 3-line block ×4, first 2 shown]
	ds_bpermute_b32 v6, v10, v4
	s_and_saveexec_b32 s2, vcc_lo
	s_cbranch_execz .LBB237_11
; %bb.10:
	s_lshl_b32 s4, s6, 1
	s_mov_b32 s5, 0
	s_wait_dscnt 0x0
	v_add_f32_e32 v4, v4, v6
	v_mov_b32_e32 v6, 0
	s_wait_alu 0xfffe
	s_lshl_b64 s[4:5], s[4:5], 2
	s_wait_alu 0xfffe
	s_add_nc_u64 s[4:5], s[0:1], s[4:5]
	global_store_b32 v6, v4, s[4:5]
.LBB237_11:
	s_wait_alu 0xfffe
	s_or_b32 exec_lo, exec_lo, s2
	ds_bpermute_b32 v4, v0, v5
	s_wait_dscnt 0x0
	v_add_f32_e32 v4, v5, v4
	ds_bpermute_b32 v5, v1, v4
	s_wait_dscnt 0x0
	v_add_f32_e32 v4, v4, v5
	;; [unrolled: 3-line block ×4, first 2 shown]
	ds_bpermute_b32 v5, v10, v4
	s_and_saveexec_b32 s2, vcc_lo
	s_cbranch_execz .LBB237_13
; %bb.12:
	s_mul_i32 s4, s6, 3
	s_mov_b32 s5, 0
	s_wait_dscnt 0x0
	v_dual_add_f32 v4, v4, v5 :: v_dual_mov_b32 v5, 0
	s_wait_alu 0xfffe
	s_lshl_b64 s[4:5], s[4:5], 2
	s_wait_alu 0xfffe
	s_add_nc_u64 s[4:5], s[0:1], s[4:5]
	global_store_b32 v5, v4, s[4:5]
.LBB237_13:
	s_wait_alu 0xfffe
	s_or_b32 exec_lo, exec_lo, s2
	ds_bpermute_b32 v4, v0, v3
	s_wait_dscnt 0x0
	v_add_f32_e32 v3, v3, v4
	ds_bpermute_b32 v4, v1, v3
	s_wait_dscnt 0x0
	v_add_f32_e32 v3, v3, v4
	;; [unrolled: 3-line block ×4, first 2 shown]
	ds_bpermute_b32 v4, v10, v3
	s_and_saveexec_b32 s2, vcc_lo
	s_cbranch_execz .LBB237_15
; %bb.14:
	s_lshl_b32 s4, s6, 2
	s_mov_b32 s5, 0
	s_wait_dscnt 0x0
	v_dual_add_f32 v3, v3, v4 :: v_dual_mov_b32 v4, 0
	s_wait_alu 0xfffe
	s_lshl_b64 s[4:5], s[4:5], 2
	s_wait_alu 0xfffe
	s_add_nc_u64 s[4:5], s[0:1], s[4:5]
	global_store_b32 v4, v3, s[4:5]
.LBB237_15:
	s_wait_alu 0xfffe
	s_or_b32 exec_lo, exec_lo, s2
	ds_bpermute_b32 v0, v0, v2
	s_wait_dscnt 0x0
	v_add_f32_e32 v0, v2, v0
	ds_bpermute_b32 v1, v1, v0
	s_wait_dscnt 0x0
	v_add_f32_e32 v0, v0, v1
	;; [unrolled: 3-line block ×4, first 2 shown]
	ds_bpermute_b32 v1, v10, v0
	s_and_b32 exec_lo, exec_lo, vcc_lo
	s_cbranch_execz .LBB237_17
; %bb.16:
	s_mul_i32 s2, s6, 5
	s_mov_b32 s3, 0
	s_wait_dscnt 0x0
	v_dual_add_f32 v0, v0, v1 :: v_dual_mov_b32 v1, 0
	s_wait_alu 0xfffe
	s_lshl_b64 s[2:3], s[2:3], 2
	s_wait_alu 0xfffe
	s_add_nc_u64 s[0:1], s[0:1], s[2:3]
	global_store_b32 v1, v0, s[0:1]
.LBB237_17:
	s_endpgm
	.section	.rodata,"a",@progbits
	.p2align	6, 0x0
	.amdhsa_kernel _ZL13mul_mat_vec_qIL9ggml_type20ELi6ELb0ELb0EEvPKvS2_PKi31ggml_cuda_mm_fusion_args_devicePfj15HIP_vector_typeIjLj3EEjjjS8_jjjS8_jjjj
		.amdhsa_group_segment_fixed_size 0
		.amdhsa_private_segment_fixed_size 0
		.amdhsa_kernarg_size 144
		.amdhsa_user_sgpr_count 2
		.amdhsa_user_sgpr_dispatch_ptr 0
		.amdhsa_user_sgpr_queue_ptr 0
		.amdhsa_user_sgpr_kernarg_segment_ptr 1
		.amdhsa_user_sgpr_dispatch_id 0
		.amdhsa_user_sgpr_private_segment_size 0
		.amdhsa_wavefront_size32 1
		.amdhsa_uses_dynamic_stack 0
		.amdhsa_enable_private_segment 0
		.amdhsa_system_sgpr_workgroup_id_x 1
		.amdhsa_system_sgpr_workgroup_id_y 1
		.amdhsa_system_sgpr_workgroup_id_z 1
		.amdhsa_system_sgpr_workgroup_info 0
		.amdhsa_system_vgpr_workitem_id 1
		.amdhsa_next_free_vgpr 56
		.amdhsa_next_free_sgpr 30
		.amdhsa_reserve_vcc 1
		.amdhsa_float_round_mode_32 0
		.amdhsa_float_round_mode_16_64 0
		.amdhsa_float_denorm_mode_32 3
		.amdhsa_float_denorm_mode_16_64 3
		.amdhsa_fp16_overflow 0
		.amdhsa_workgroup_processor_mode 1
		.amdhsa_memory_ordered 1
		.amdhsa_forward_progress 1
		.amdhsa_inst_pref_size 19
		.amdhsa_round_robin_scheduling 0
		.amdhsa_exception_fp_ieee_invalid_op 0
		.amdhsa_exception_fp_denorm_src 0
		.amdhsa_exception_fp_ieee_div_zero 0
		.amdhsa_exception_fp_ieee_overflow 0
		.amdhsa_exception_fp_ieee_underflow 0
		.amdhsa_exception_fp_ieee_inexact 0
		.amdhsa_exception_int_div_zero 0
	.end_amdhsa_kernel
	.section	.text._ZL13mul_mat_vec_qIL9ggml_type20ELi6ELb0ELb0EEvPKvS2_PKi31ggml_cuda_mm_fusion_args_devicePfj15HIP_vector_typeIjLj3EEjjjS8_jjjS8_jjjj,"axG",@progbits,_ZL13mul_mat_vec_qIL9ggml_type20ELi6ELb0ELb0EEvPKvS2_PKi31ggml_cuda_mm_fusion_args_devicePfj15HIP_vector_typeIjLj3EEjjjS8_jjjS8_jjjj,comdat
.Lfunc_end237:
	.size	_ZL13mul_mat_vec_qIL9ggml_type20ELi6ELb0ELb0EEvPKvS2_PKi31ggml_cuda_mm_fusion_args_devicePfj15HIP_vector_typeIjLj3EEjjjS8_jjjS8_jjjj, .Lfunc_end237-_ZL13mul_mat_vec_qIL9ggml_type20ELi6ELb0ELb0EEvPKvS2_PKi31ggml_cuda_mm_fusion_args_devicePfj15HIP_vector_typeIjLj3EEjjjS8_jjjS8_jjjj
                                        ; -- End function
	.set _ZL13mul_mat_vec_qIL9ggml_type20ELi6ELb0ELb0EEvPKvS2_PKi31ggml_cuda_mm_fusion_args_devicePfj15HIP_vector_typeIjLj3EEjjjS8_jjjS8_jjjj.num_vgpr, 56
	.set _ZL13mul_mat_vec_qIL9ggml_type20ELi6ELb0ELb0EEvPKvS2_PKi31ggml_cuda_mm_fusion_args_devicePfj15HIP_vector_typeIjLj3EEjjjS8_jjjS8_jjjj.num_agpr, 0
	.set _ZL13mul_mat_vec_qIL9ggml_type20ELi6ELb0ELb0EEvPKvS2_PKi31ggml_cuda_mm_fusion_args_devicePfj15HIP_vector_typeIjLj3EEjjjS8_jjjS8_jjjj.numbered_sgpr, 30
	.set _ZL13mul_mat_vec_qIL9ggml_type20ELi6ELb0ELb0EEvPKvS2_PKi31ggml_cuda_mm_fusion_args_devicePfj15HIP_vector_typeIjLj3EEjjjS8_jjjS8_jjjj.num_named_barrier, 0
	.set _ZL13mul_mat_vec_qIL9ggml_type20ELi6ELb0ELb0EEvPKvS2_PKi31ggml_cuda_mm_fusion_args_devicePfj15HIP_vector_typeIjLj3EEjjjS8_jjjS8_jjjj.private_seg_size, 0
	.set _ZL13mul_mat_vec_qIL9ggml_type20ELi6ELb0ELb0EEvPKvS2_PKi31ggml_cuda_mm_fusion_args_devicePfj15HIP_vector_typeIjLj3EEjjjS8_jjjS8_jjjj.uses_vcc, 1
	.set _ZL13mul_mat_vec_qIL9ggml_type20ELi6ELb0ELb0EEvPKvS2_PKi31ggml_cuda_mm_fusion_args_devicePfj15HIP_vector_typeIjLj3EEjjjS8_jjjS8_jjjj.uses_flat_scratch, 0
	.set _ZL13mul_mat_vec_qIL9ggml_type20ELi6ELb0ELb0EEvPKvS2_PKi31ggml_cuda_mm_fusion_args_devicePfj15HIP_vector_typeIjLj3EEjjjS8_jjjS8_jjjj.has_dyn_sized_stack, 0
	.set _ZL13mul_mat_vec_qIL9ggml_type20ELi6ELb0ELb0EEvPKvS2_PKi31ggml_cuda_mm_fusion_args_devicePfj15HIP_vector_typeIjLj3EEjjjS8_jjjS8_jjjj.has_recursion, 0
	.set _ZL13mul_mat_vec_qIL9ggml_type20ELi6ELb0ELb0EEvPKvS2_PKi31ggml_cuda_mm_fusion_args_devicePfj15HIP_vector_typeIjLj3EEjjjS8_jjjS8_jjjj.has_indirect_call, 0
	.section	.AMDGPU.csdata,"",@progbits
; Kernel info:
; codeLenInByte = 2424
; TotalNumSgprs: 32
; NumVgprs: 56
; ScratchSize: 0
; MemoryBound: 0
; FloatMode: 240
; IeeeMode: 1
; LDSByteSize: 0 bytes/workgroup (compile time only)
; SGPRBlocks: 0
; VGPRBlocks: 6
; NumSGPRsForWavesPerEU: 32
; NumVGPRsForWavesPerEU: 56
; Occupancy: 16
; WaveLimiterHint : 0
; COMPUTE_PGM_RSRC2:SCRATCH_EN: 0
; COMPUTE_PGM_RSRC2:USER_SGPR: 2
; COMPUTE_PGM_RSRC2:TRAP_HANDLER: 0
; COMPUTE_PGM_RSRC2:TGID_X_EN: 1
; COMPUTE_PGM_RSRC2:TGID_Y_EN: 1
; COMPUTE_PGM_RSRC2:TGID_Z_EN: 1
; COMPUTE_PGM_RSRC2:TIDIG_COMP_CNT: 1
	.section	.text._ZL13mul_mat_vec_qIL9ggml_type20ELi7ELb0ELb0EEvPKvS2_PKi31ggml_cuda_mm_fusion_args_devicePfj15HIP_vector_typeIjLj3EEjjjS8_jjjS8_jjjj,"axG",@progbits,_ZL13mul_mat_vec_qIL9ggml_type20ELi7ELb0ELb0EEvPKvS2_PKi31ggml_cuda_mm_fusion_args_devicePfj15HIP_vector_typeIjLj3EEjjjS8_jjjS8_jjjj,comdat
	.globl	_ZL13mul_mat_vec_qIL9ggml_type20ELi7ELb0ELb0EEvPKvS2_PKi31ggml_cuda_mm_fusion_args_devicePfj15HIP_vector_typeIjLj3EEjjjS8_jjjS8_jjjj ; -- Begin function _ZL13mul_mat_vec_qIL9ggml_type20ELi7ELb0ELb0EEvPKvS2_PKi31ggml_cuda_mm_fusion_args_devicePfj15HIP_vector_typeIjLj3EEjjjS8_jjjS8_jjjj
	.p2align	8
	.type	_ZL13mul_mat_vec_qIL9ggml_type20ELi7ELb0ELb0EEvPKvS2_PKi31ggml_cuda_mm_fusion_args_devicePfj15HIP_vector_typeIjLj3EEjjjS8_jjjS8_jjjj,@function
_ZL13mul_mat_vec_qIL9ggml_type20ELi7ELb0ELb0EEvPKvS2_PKi31ggml_cuda_mm_fusion_args_devicePfj15HIP_vector_typeIjLj3EEjjjS8_jjjS8_jjjj: ; @_ZL13mul_mat_vec_qIL9ggml_type20ELi7ELb0ELb0EEvPKvS2_PKi31ggml_cuda_mm_fusion_args_devicePfj15HIP_vector_typeIjLj3EEjjjS8_jjjS8_jjjj
; %bb.0:
	v_bfe_u32 v8, v0, 10, 10
	s_clause 0x5
	s_load_b32 s2, s[0:1], 0x40
	s_load_b96 s[16:18], s[0:1], 0x80
	s_load_b128 s[4:7], s[0:1], 0x50
	s_load_b32 s23, s[0:1], 0x60
	s_load_b128 s[8:11], s[0:1], 0x68
	s_load_b32 s24, s[0:1], 0x78
	v_dual_mov_b32 v2, 0 :: v_dual_and_b32 v5, 0x3ff, v0
	v_dual_mov_b32 v3, 0 :: v_dual_lshlrev_b32 v0, 5, v8
	v_dual_mov_b32 v4, 0 :: v_dual_mov_b32 v7, 0
	v_dual_mov_b32 v6, 0 :: v_dual_mov_b32 v11, 0
	s_delay_alu instid0(VALU_DEP_3)
	v_add_nc_u16 v0, v0, v5
	s_and_b32 s19, ttmp7, 0xffff
	s_lshr_b32 s20, ttmp7, 16
	s_mov_b32 s21, exec_lo
	v_mov_b32_e32 v9, 0
	v_lshrrev_b16 v0, 1, v0
	s_wait_kmcnt 0x0
	s_lshr_b32 s22, s2, 5
	s_delay_alu instid0(VALU_DEP_1) | instskip(NEXT) | instid1(VALU_DEP_1)
	v_and_b32_e32 v10, 0xffff, v0
	v_cmpx_gt_u32_e64 s22, v10
	s_cbranch_execz .LBB238_4
; %bb.1:
	s_load_b128 s[12:15], s[0:1], 0x0
	v_dual_mov_b32 v2, 0 :: v_dual_lshlrev_b32 v1, 1, v5
	s_mul_i32 s2, s17, s20
	s_mov_b32 s3, 0
	s_mul_hi_u32 s7, s7, s19
	s_mul_hi_u32 s11, s11, s20
	s_mul_u64 s[26:27], s[2:3], 36
	s_mul_i32 s2, s9, s19
	s_add_co_i32 s7, s19, s7
	v_dual_mov_b32 v7, 0 :: v_dual_and_b32 v4, 2, v1
	s_add_co_i32 s9, s20, s11
	s_mul_u64 s[28:29], s[2:3], 36
	s_lshr_b32 s2, s7, s23
	v_and_b32_e32 v3, 1, v5
	v_and_b32_e32 v0, 0xffff, v0
	s_lshr_b32 s7, s9, s24
	s_mul_i32 s2, s2, s8
	v_dual_mov_b32 v9, 0 :: v_dual_lshlrev_b32 v6, 1, v4
	s_wait_kmcnt 0x0
	s_add_nc_u64 s[8:9], s[14:15], s[26:27]
	v_lshlrev_b32_e32 v14, 2, v4
	s_add_nc_u64 s[8:9], s[8:9], s[28:29]
	v_mov_b32_e32 v4, 0
	v_dual_mov_b32 v11, 0 :: v_dual_lshlrev_b32 v12, 3, v3
	v_mov_b32_e32 v3, 0
	v_mad_co_u64_u32 v[0:1], null, v0, 36, s[8:9]
	s_mul_i32 s4, s4, ttmp9
	v_dual_mov_b32 v6, 0 :: v_dual_lshlrev_b32 v13, 1, v6
	s_mul_i32 s7, s7, s16
	s_add_co_i32 s2, s2, s4
	s_lshl_b32 s4, s5, 1
	s_add_co_i32 s2, s7, s2
	s_mul_i32 s7, s5, 3
	s_lshl_b32 s11, s5, 2
	s_mul_i32 s14, s5, 5
	s_mul_i32 s15, s5, 6
	s_mov_b32 s16, 0xf6eaddcf
	s_mov_b32 s17, 0x71594535
	;; [unrolled: 1-line block ×3, first 2 shown]
.LBB238_2:                              ; =>This Inner Loop Header: Depth=1
	v_add_nc_u32_e32 v17, s2, v10
	v_add_nc_u32_e32 v21, s5, v10
	;; [unrolled: 1-line block ×5, first 2 shown]
	v_mad_co_i64_i32 v[17:18], null, v17, 18, s[12:13]
	v_mad_co_u64_u32 v[21:22], null, v21, 36, s[8:9]
	v_mad_co_u64_u32 v[23:24], null, v23, 36, s[8:9]
	v_add_nc_u32_e32 v29, s14, v10
	v_add_co_u32 v15, vcc_lo, v0, v12
	v_mad_co_u64_u32 v[25:26], null, v25, 36, s[8:9]
	v_add_nc_u32_e32 v31, s15, v10
	s_wait_alu 0xfffd
	v_add_co_ci_u32_e64 v16, null, 0, v1, vcc_lo
	v_mad_co_u64_u32 v[27:28], null, v27, 36, s[8:9]
	v_add_co_u32 v33, vcc_lo, v17, v13
	v_mad_co_u64_u32 v[29:30], null, v29, 36, s[8:9]
	s_wait_alu 0xfffd
	v_add_co_ci_u32_e64 v34, null, 0, v18, vcc_lo
	v_add_co_u32 v35, vcc_lo, v21, v14
	v_mad_co_u64_u32 v[31:32], null, v31, 36, s[8:9]
	s_wait_alu 0xfffd
	v_add_co_ci_u32_e64 v36, null, 0, v22, vcc_lo
	v_add_co_u32 v37, vcc_lo, v23, v14
	s_wait_alu 0xfffd
	v_add_co_ci_u32_e64 v38, null, 0, v24, vcc_lo
	v_add_co_u32 v39, vcc_lo, v25, v14
	;; [unrolled: 3-line block ×3, first 2 shown]
	global_load_b32 v49, v[0:1], off
	s_wait_alu 0xfffd
	v_add_co_ci_u32_e64 v42, null, 0, v28, vcc_lo
	v_add_co_u32 v43, vcc_lo, v29, v14
	s_wait_alu 0xfffd
	v_add_co_ci_u32_e64 v44, null, 0, v30, vcc_lo
	v_add_co_u32 v45, vcc_lo, v31, v14
	s_wait_alu 0xfffd
	v_add_co_ci_u32_e64 v46, null, 0, v32, vcc_lo
	s_clause 0x1
	global_load_b64 v[19:20], v[15:16], off offset:4
	global_load_b64 v[15:16], v[15:16], off offset:20
	s_clause 0x1
	global_load_b64 v[33:34], v[33:34], off offset:2
	global_load_u16 v50, v[17:18], off
	s_clause 0x11
	global_load_b64 v[17:18], v[35:36], off offset:4
	global_load_b64 v[35:36], v[35:36], off offset:20
	global_load_b32 v51, v[23:24], off
	global_load_b32 v52, v[21:22], off
	global_load_b64 v[21:22], v[37:38], off offset:4
	global_load_b64 v[23:24], v[37:38], off offset:20
	global_load_b64 v[37:38], v[39:40], off offset:4
	global_load_b32 v53, v[25:26], off
	global_load_b64 v[25:26], v[39:40], off offset:20
	global_load_b64 v[39:40], v[41:42], off offset:4
	global_load_b64 v[41:42], v[41:42], off offset:20
	;; [unrolled: 4-line block ×3, first 2 shown]
	global_load_b64 v[43:44], v[43:44], off offset:20
	global_load_b32 v31, v[31:32], off
	global_load_b32 v29, v[29:30], off
	v_add_co_u32 v0, vcc_lo, 0x240, v0
	s_wait_alu 0xfffd
	v_add_co_ci_u32_e64 v1, null, 0, v1, vcc_lo
	s_wait_loadcnt 0x13
	v_ashrrev_i32_e32 v32, 4, v33
	s_wait_loadcnt 0x12
	v_cvt_f32_f16_e32 v50, v50
	v_ashrrev_i32_e32 v55, 4, v34
	s_wait_loadcnt 0xf
	v_cvt_f32_f16_e32 v51, v51
	s_wait_loadcnt 0xe
	v_cvt_f32_f16_e32 v52, v52
	v_add_nc_u32_e32 v10, 16, v10
	v_cvt_f32_f16_e32 v30, v49
	v_and_b32_e32 v49, 0x7070707, v33
	v_lshrrev_b32_e32 v33, 1, v33
	s_wait_loadcnt 0xa
	v_cvt_f32_f16_e32 v53, v53
	v_and_b32_e32 v56, 0x7070707, v34
	v_mul_f32_e32 v30, v50, v30
	s_wait_loadcnt 0x6
	v_cvt_f32_f16_e32 v54, v54
	v_perm_b32 v57, s16, 0xbfad9881, v49
	v_perm_b32 v49, s17, 0x26190d01, v49
	s_wait_alu 0xfffe
	v_and_or_b32 v33, v33, s23, 0x3020100
	v_lshrrev_b32_e32 v34, 1, v34
	s_wait_loadcnt 0x1
	v_cvt_f32_f16_e32 v31, v31
	s_wait_loadcnt 0x0
	v_cvt_f32_f16_e32 v29, v29
	v_and_b32_e32 v58, 0x7070707, v32
	v_lshrrev_b32_e32 v32, 1, v32
	v_mul_f32_e32 v52, v50, v52
	v_mul_f32_e32 v51, v50, v51
	v_mul_f32_e32 v53, v50, v53
	v_mul_f32_e32 v54, v50, v54
	v_mul_f32_e32 v29, v50, v29
	v_mul_f32_e32 v31, v50, v31
	v_perm_b32 v50, s16, 0xbfad9881, v58
	v_perm_b32 v58, s17, 0x26190d01, v58
	v_and_or_b32 v32, v32, s23, 0x3020100
	v_perm_b32 v33, v49, v57, v33
	v_perm_b32 v59, s16, 0xbfad9881, v56
	v_and_b32_e32 v60, 0x7070707, v55
	v_perm_b32 v56, s17, 0x26190d01, v56
	v_and_or_b32 v34, v34, s23, 0x3020100
	v_lshrrev_b32_e32 v55, 1, v55
	v_perm_b32 v32, v58, v50, v32
	v_dot4_i32_iu8 v19, v33, v19, 0 neg_lo:[1,1,0]
	v_dot4_i32_iu8 v17, v33, v17, 0 neg_lo:[1,1,0]
	v_dot4_i32_iu8 v21, v33, v21, 0 neg_lo:[1,1,0]
	v_dot4_i32_iu8 v37, v33, v37, 0 neg_lo:[1,1,0]
	v_dot4_i32_iu8 v39, v33, v39, 0 neg_lo:[1,1,0]
	v_dot4_i32_iu8 v47, v33, v47, 0 neg_lo:[1,1,0]
	v_dot4_i32_iu8 v27, v33, v27, 0 neg_lo:[1,1,0]
	v_perm_b32 v61, s16, 0xbfad9881, v60
	v_perm_b32 v60, s17, 0x26190d01, v60
	v_and_or_b32 v55, v55, s23, 0x3020100
	v_perm_b32 v34, v56, v59, v34
	v_dot4_i32_iu8 v15, v32, v15, v19 neg_lo:[1,1,0]
	v_dot4_i32_iu8 v17, v32, v35, v17 neg_lo:[1,1,0]
	;; [unrolled: 1-line block ×7, first 2 shown]
	v_perm_b32 v49, v60, v61, v55
	v_dot4_i32_iu8 v15, v34, v20, v15 neg_lo:[1,1,0]
	v_dot4_i32_iu8 v17, v34, v18, v17 neg_lo:[1,1,0]
	;; [unrolled: 1-line block ×14, first 2 shown]
	v_cvt_f32_i32_e32 v15, v15
	v_cvt_f32_i32_e32 v16, v16
	;; [unrolled: 1-line block ×7, first 2 shown]
	v_cmp_le_u32_e32 vcc_lo, s22, v10
	v_fmac_f32_e32 v11, v30, v15
	v_fmac_f32_e32 v9, v52, v16
	v_dual_fmac_f32 v7, v51, v17 :: v_dual_fmac_f32 v6, v53, v18
	v_dual_fmac_f32 v4, v54, v19 :: v_dual_fmac_f32 v3, v29, v20
	v_fmac_f32_e32 v2, v31, v21
	s_or_b32 s3, vcc_lo, s3
	s_wait_alu 0xfffe
	s_and_not1_b32 exec_lo, exec_lo, s3
	s_cbranch_execnz .LBB238_2
; %bb.3:
	s_or_b32 exec_lo, exec_lo, s3
.LBB238_4:
	s_delay_alu instid0(SALU_CYCLE_1)
	s_or_b32 exec_lo, exec_lo, s21
	s_mov_b32 s3, 0
	; wave barrier
	global_inv scope:SCOPE_SE
	s_mov_b32 s2, exec_lo
	v_cmpx_eq_u32_e32 0, v8
	s_cbranch_execz .LBB238_19
; %bb.5:
	v_mbcnt_lo_u32_b32 v12, -1, 0
	s_load_b64 s[0:1], s[0:1], 0x38
	s_mul_i32 s2, s10, s19
	s_mul_i32 s4, s18, s20
	s_wait_alu 0xfffe
	s_add_co_i32 s2, s2, ttmp9
	v_xor_b32_e32 v0, 16, v12
	v_xor_b32_e32 v1, 8, v12
	s_wait_alu 0xfffe
	s_add_co_i32 s2, s2, s4
	s_wait_alu 0xfffe
	s_lshl_b64 s[2:3], s[2:3], 2
	v_cmp_gt_i32_e32 vcc_lo, 32, v0
	s_wait_alu 0xfffd
	v_cndmask_b32_e32 v0, v12, v0, vcc_lo
	v_cmp_gt_i32_e32 vcc_lo, 32, v1
	s_wait_alu 0xfffd
	v_cndmask_b32_e32 v1, v12, v1, vcc_lo
	s_wait_kmcnt 0x0
	s_wait_alu 0xfffe
	s_add_nc_u64 s[0:1], s[0:1], s[2:3]
	s_delay_alu instid0(VALU_DEP_1)
	v_lshlrev_b32_e32 v1, 2, v1
	v_lshlrev_b32_e32 v0, 2, v0
	ds_bpermute_b32 v8, v0, v11
	s_wait_dscnt 0x0
	v_add_f32_e32 v10, v11, v8
	v_xor_b32_e32 v8, 4, v12
	ds_bpermute_b32 v11, v1, v10
	v_cmp_gt_i32_e32 vcc_lo, 32, v8
	s_wait_dscnt 0x0
	s_wait_alu 0xfffd
	v_dual_add_f32 v11, v10, v11 :: v_dual_cndmask_b32 v8, v12, v8
	v_xor_b32_e32 v10, 2, v12
	s_delay_alu instid0(VALU_DEP_2) | instskip(NEXT) | instid1(VALU_DEP_2)
	v_lshlrev_b32_e32 v8, 2, v8
	v_cmp_gt_i32_e32 vcc_lo, 32, v10
	ds_bpermute_b32 v13, v8, v11
	s_wait_dscnt 0x0
	s_wait_alu 0xfffd
	v_dual_cndmask_b32 v10, v12, v10 :: v_dual_add_f32 v13, v11, v13
	v_xor_b32_e32 v11, 1, v12
	s_delay_alu instid0(VALU_DEP_1) | instskip(SKIP_3) | instid1(VALU_DEP_2)
	v_cmp_gt_i32_e32 vcc_lo, 32, v11
	s_wait_alu 0xfffd
	v_cndmask_b32_e32 v11, v12, v11, vcc_lo
	v_cmp_eq_u32_e32 vcc_lo, 0, v5
	v_lshlrev_b32_e32 v11, 2, v11
	v_lshlrev_b32_e32 v10, 2, v10
	ds_bpermute_b32 v14, v10, v13
	s_wait_dscnt 0x0
	v_add_f32_e32 v12, v13, v14
	ds_bpermute_b32 v13, v11, v12
	s_and_saveexec_b32 s2, vcc_lo
	s_cbranch_execz .LBB238_7
; %bb.6:
	s_wait_dscnt 0x0
	v_dual_add_f32 v5, v12, v13 :: v_dual_mov_b32 v12, 0
	global_store_b32 v12, v5, s[0:1]
.LBB238_7:
	s_wait_alu 0xfffe
	s_or_b32 exec_lo, exec_lo, s2
	ds_bpermute_b32 v5, v0, v9
	s_wait_dscnt 0x0
	v_add_f32_e32 v5, v9, v5
	ds_bpermute_b32 v9, v1, v5
	s_wait_dscnt 0x0
	v_add_f32_e32 v5, v5, v9
	;; [unrolled: 3-line block ×4, first 2 shown]
	ds_bpermute_b32 v9, v11, v5
	s_and_saveexec_b32 s2, vcc_lo
	s_cbranch_execz .LBB238_9
; %bb.8:
	s_mov_b32 s7, 0
	s_wait_dscnt 0x0
	v_add_f32_e32 v5, v5, v9
	v_mov_b32_e32 v9, 0
	s_wait_alu 0xfffe
	s_lshl_b64 s[4:5], s[6:7], 2
	s_wait_alu 0xfffe
	s_add_nc_u64 s[4:5], s[0:1], s[4:5]
	global_store_b32 v9, v5, s[4:5]
.LBB238_9:
	s_wait_alu 0xfffe
	s_or_b32 exec_lo, exec_lo, s2
	ds_bpermute_b32 v5, v0, v7
	s_wait_dscnt 0x0
	v_add_f32_e32 v5, v7, v5
	ds_bpermute_b32 v7, v1, v5
	s_wait_dscnt 0x0
	v_add_f32_e32 v5, v5, v7
	;; [unrolled: 3-line block ×4, first 2 shown]
	ds_bpermute_b32 v7, v11, v5
	s_and_saveexec_b32 s2, vcc_lo
	s_cbranch_execz .LBB238_11
; %bb.10:
	s_lshl_b32 s4, s6, 1
	s_mov_b32 s5, 0
	s_wait_dscnt 0x0
	v_add_f32_e32 v5, v5, v7
	v_mov_b32_e32 v7, 0
	s_wait_alu 0xfffe
	s_lshl_b64 s[4:5], s[4:5], 2
	s_wait_alu 0xfffe
	s_add_nc_u64 s[4:5], s[0:1], s[4:5]
	global_store_b32 v7, v5, s[4:5]
.LBB238_11:
	s_wait_alu 0xfffe
	s_or_b32 exec_lo, exec_lo, s2
	ds_bpermute_b32 v5, v0, v6
	s_wait_dscnt 0x0
	v_add_f32_e32 v5, v6, v5
	ds_bpermute_b32 v6, v1, v5
	s_wait_dscnt 0x0
	v_add_f32_e32 v5, v5, v6
	ds_bpermute_b32 v6, v8, v5
	s_wait_dscnt 0x0
	v_add_f32_e32 v5, v5, v6
	ds_bpermute_b32 v6, v10, v5
	s_wait_dscnt 0x0
	v_add_f32_e32 v5, v5, v6
	ds_bpermute_b32 v6, v11, v5
	s_and_saveexec_b32 s2, vcc_lo
	s_cbranch_execz .LBB238_13
; %bb.12:
	s_mul_i32 s4, s6, 3
	s_mov_b32 s5, 0
	s_wait_dscnt 0x0
	v_dual_add_f32 v5, v5, v6 :: v_dual_mov_b32 v6, 0
	s_wait_alu 0xfffe
	s_lshl_b64 s[4:5], s[4:5], 2
	s_wait_alu 0xfffe
	s_add_nc_u64 s[4:5], s[0:1], s[4:5]
	global_store_b32 v6, v5, s[4:5]
.LBB238_13:
	s_wait_alu 0xfffe
	s_or_b32 exec_lo, exec_lo, s2
	ds_bpermute_b32 v5, v0, v4
	s_wait_dscnt 0x0
	v_add_f32_e32 v4, v4, v5
	ds_bpermute_b32 v5, v1, v4
	s_wait_dscnt 0x0
	v_add_f32_e32 v4, v4, v5
	;; [unrolled: 3-line block ×4, first 2 shown]
	ds_bpermute_b32 v5, v11, v4
	s_and_saveexec_b32 s2, vcc_lo
	s_cbranch_execz .LBB238_15
; %bb.14:
	s_lshl_b32 s4, s6, 2
	s_mov_b32 s5, 0
	s_wait_dscnt 0x0
	v_dual_add_f32 v4, v4, v5 :: v_dual_mov_b32 v5, 0
	s_wait_alu 0xfffe
	s_lshl_b64 s[4:5], s[4:5], 2
	s_wait_alu 0xfffe
	s_add_nc_u64 s[4:5], s[0:1], s[4:5]
	global_store_b32 v5, v4, s[4:5]
.LBB238_15:
	s_wait_alu 0xfffe
	s_or_b32 exec_lo, exec_lo, s2
	ds_bpermute_b32 v4, v0, v3
	s_wait_dscnt 0x0
	v_add_f32_e32 v3, v3, v4
	ds_bpermute_b32 v4, v1, v3
	s_wait_dscnt 0x0
	v_add_f32_e32 v3, v3, v4
	;; [unrolled: 3-line block ×4, first 2 shown]
	ds_bpermute_b32 v4, v11, v3
	s_and_saveexec_b32 s2, vcc_lo
	s_cbranch_execz .LBB238_17
; %bb.16:
	s_mul_i32 s4, s6, 5
	s_mov_b32 s5, 0
	s_wait_dscnt 0x0
	v_dual_add_f32 v3, v3, v4 :: v_dual_mov_b32 v4, 0
	s_wait_alu 0xfffe
	s_lshl_b64 s[4:5], s[4:5], 2
	s_wait_alu 0xfffe
	s_add_nc_u64 s[4:5], s[0:1], s[4:5]
	global_store_b32 v4, v3, s[4:5]
.LBB238_17:
	s_wait_alu 0xfffe
	s_or_b32 exec_lo, exec_lo, s2
	ds_bpermute_b32 v0, v0, v2
	s_wait_dscnt 0x0
	v_add_f32_e32 v0, v2, v0
	ds_bpermute_b32 v1, v1, v0
	s_wait_dscnt 0x0
	v_add_f32_e32 v0, v0, v1
	ds_bpermute_b32 v1, v8, v0
	s_wait_dscnt 0x0
	v_add_f32_e32 v0, v0, v1
	ds_bpermute_b32 v1, v10, v0
	s_wait_dscnt 0x0
	v_add_f32_e32 v0, v0, v1
	ds_bpermute_b32 v1, v11, v0
	s_and_b32 exec_lo, exec_lo, vcc_lo
	s_cbranch_execz .LBB238_19
; %bb.18:
	s_mul_i32 s2, s6, 6
	s_mov_b32 s3, 0
	s_wait_dscnt 0x0
	v_dual_add_f32 v0, v0, v1 :: v_dual_mov_b32 v1, 0
	s_wait_alu 0xfffe
	s_lshl_b64 s[2:3], s[2:3], 2
	s_wait_alu 0xfffe
	s_add_nc_u64 s[0:1], s[0:1], s[2:3]
	global_store_b32 v1, v0, s[0:1]
.LBB238_19:
	s_endpgm
	.section	.rodata,"a",@progbits
	.p2align	6, 0x0
	.amdhsa_kernel _ZL13mul_mat_vec_qIL9ggml_type20ELi7ELb0ELb0EEvPKvS2_PKi31ggml_cuda_mm_fusion_args_devicePfj15HIP_vector_typeIjLj3EEjjjS8_jjjS8_jjjj
		.amdhsa_group_segment_fixed_size 0
		.amdhsa_private_segment_fixed_size 0
		.amdhsa_kernarg_size 144
		.amdhsa_user_sgpr_count 2
		.amdhsa_user_sgpr_dispatch_ptr 0
		.amdhsa_user_sgpr_queue_ptr 0
		.amdhsa_user_sgpr_kernarg_segment_ptr 1
		.amdhsa_user_sgpr_dispatch_id 0
		.amdhsa_user_sgpr_private_segment_size 0
		.amdhsa_wavefront_size32 1
		.amdhsa_uses_dynamic_stack 0
		.amdhsa_enable_private_segment 0
		.amdhsa_system_sgpr_workgroup_id_x 1
		.amdhsa_system_sgpr_workgroup_id_y 1
		.amdhsa_system_sgpr_workgroup_id_z 1
		.amdhsa_system_sgpr_workgroup_info 0
		.amdhsa_system_vgpr_workitem_id 1
		.amdhsa_next_free_vgpr 62
		.amdhsa_next_free_sgpr 30
		.amdhsa_reserve_vcc 1
		.amdhsa_float_round_mode_32 0
		.amdhsa_float_round_mode_16_64 0
		.amdhsa_float_denorm_mode_32 3
		.amdhsa_float_denorm_mode_16_64 3
		.amdhsa_fp16_overflow 0
		.amdhsa_workgroup_processor_mode 1
		.amdhsa_memory_ordered 1
		.amdhsa_forward_progress 1
		.amdhsa_inst_pref_size 22
		.amdhsa_round_robin_scheduling 0
		.amdhsa_exception_fp_ieee_invalid_op 0
		.amdhsa_exception_fp_denorm_src 0
		.amdhsa_exception_fp_ieee_div_zero 0
		.amdhsa_exception_fp_ieee_overflow 0
		.amdhsa_exception_fp_ieee_underflow 0
		.amdhsa_exception_fp_ieee_inexact 0
		.amdhsa_exception_int_div_zero 0
	.end_amdhsa_kernel
	.section	.text._ZL13mul_mat_vec_qIL9ggml_type20ELi7ELb0ELb0EEvPKvS2_PKi31ggml_cuda_mm_fusion_args_devicePfj15HIP_vector_typeIjLj3EEjjjS8_jjjS8_jjjj,"axG",@progbits,_ZL13mul_mat_vec_qIL9ggml_type20ELi7ELb0ELb0EEvPKvS2_PKi31ggml_cuda_mm_fusion_args_devicePfj15HIP_vector_typeIjLj3EEjjjS8_jjjS8_jjjj,comdat
.Lfunc_end238:
	.size	_ZL13mul_mat_vec_qIL9ggml_type20ELi7ELb0ELb0EEvPKvS2_PKi31ggml_cuda_mm_fusion_args_devicePfj15HIP_vector_typeIjLj3EEjjjS8_jjjS8_jjjj, .Lfunc_end238-_ZL13mul_mat_vec_qIL9ggml_type20ELi7ELb0ELb0EEvPKvS2_PKi31ggml_cuda_mm_fusion_args_devicePfj15HIP_vector_typeIjLj3EEjjjS8_jjjS8_jjjj
                                        ; -- End function
	.set _ZL13mul_mat_vec_qIL9ggml_type20ELi7ELb0ELb0EEvPKvS2_PKi31ggml_cuda_mm_fusion_args_devicePfj15HIP_vector_typeIjLj3EEjjjS8_jjjS8_jjjj.num_vgpr, 62
	.set _ZL13mul_mat_vec_qIL9ggml_type20ELi7ELb0ELb0EEvPKvS2_PKi31ggml_cuda_mm_fusion_args_devicePfj15HIP_vector_typeIjLj3EEjjjS8_jjjS8_jjjj.num_agpr, 0
	.set _ZL13mul_mat_vec_qIL9ggml_type20ELi7ELb0ELb0EEvPKvS2_PKi31ggml_cuda_mm_fusion_args_devicePfj15HIP_vector_typeIjLj3EEjjjS8_jjjS8_jjjj.numbered_sgpr, 30
	.set _ZL13mul_mat_vec_qIL9ggml_type20ELi7ELb0ELb0EEvPKvS2_PKi31ggml_cuda_mm_fusion_args_devicePfj15HIP_vector_typeIjLj3EEjjjS8_jjjS8_jjjj.num_named_barrier, 0
	.set _ZL13mul_mat_vec_qIL9ggml_type20ELi7ELb0ELb0EEvPKvS2_PKi31ggml_cuda_mm_fusion_args_devicePfj15HIP_vector_typeIjLj3EEjjjS8_jjjS8_jjjj.private_seg_size, 0
	.set _ZL13mul_mat_vec_qIL9ggml_type20ELi7ELb0ELb0EEvPKvS2_PKi31ggml_cuda_mm_fusion_args_devicePfj15HIP_vector_typeIjLj3EEjjjS8_jjjS8_jjjj.uses_vcc, 1
	.set _ZL13mul_mat_vec_qIL9ggml_type20ELi7ELb0ELb0EEvPKvS2_PKi31ggml_cuda_mm_fusion_args_devicePfj15HIP_vector_typeIjLj3EEjjjS8_jjjS8_jjjj.uses_flat_scratch, 0
	.set _ZL13mul_mat_vec_qIL9ggml_type20ELi7ELb0ELb0EEvPKvS2_PKi31ggml_cuda_mm_fusion_args_devicePfj15HIP_vector_typeIjLj3EEjjjS8_jjjS8_jjjj.has_dyn_sized_stack, 0
	.set _ZL13mul_mat_vec_qIL9ggml_type20ELi7ELb0ELb0EEvPKvS2_PKi31ggml_cuda_mm_fusion_args_devicePfj15HIP_vector_typeIjLj3EEjjjS8_jjjS8_jjjj.has_recursion, 0
	.set _ZL13mul_mat_vec_qIL9ggml_type20ELi7ELb0ELb0EEvPKvS2_PKi31ggml_cuda_mm_fusion_args_devicePfj15HIP_vector_typeIjLj3EEjjjS8_jjjS8_jjjj.has_indirect_call, 0
	.section	.AMDGPU.csdata,"",@progbits
; Kernel info:
; codeLenInByte = 2692
; TotalNumSgprs: 32
; NumVgprs: 62
; ScratchSize: 0
; MemoryBound: 0
; FloatMode: 240
; IeeeMode: 1
; LDSByteSize: 0 bytes/workgroup (compile time only)
; SGPRBlocks: 0
; VGPRBlocks: 7
; NumSGPRsForWavesPerEU: 32
; NumVGPRsForWavesPerEU: 62
; Occupancy: 16
; WaveLimiterHint : 0
; COMPUTE_PGM_RSRC2:SCRATCH_EN: 0
; COMPUTE_PGM_RSRC2:USER_SGPR: 2
; COMPUTE_PGM_RSRC2:TRAP_HANDLER: 0
; COMPUTE_PGM_RSRC2:TGID_X_EN: 1
; COMPUTE_PGM_RSRC2:TGID_Y_EN: 1
; COMPUTE_PGM_RSRC2:TGID_Z_EN: 1
; COMPUTE_PGM_RSRC2:TIDIG_COMP_CNT: 1
	.section	.text._ZL13mul_mat_vec_qIL9ggml_type20ELi8ELb0ELb0EEvPKvS2_PKi31ggml_cuda_mm_fusion_args_devicePfj15HIP_vector_typeIjLj3EEjjjS8_jjjS8_jjjj,"axG",@progbits,_ZL13mul_mat_vec_qIL9ggml_type20ELi8ELb0ELb0EEvPKvS2_PKi31ggml_cuda_mm_fusion_args_devicePfj15HIP_vector_typeIjLj3EEjjjS8_jjjS8_jjjj,comdat
	.globl	_ZL13mul_mat_vec_qIL9ggml_type20ELi8ELb0ELb0EEvPKvS2_PKi31ggml_cuda_mm_fusion_args_devicePfj15HIP_vector_typeIjLj3EEjjjS8_jjjS8_jjjj ; -- Begin function _ZL13mul_mat_vec_qIL9ggml_type20ELi8ELb0ELb0EEvPKvS2_PKi31ggml_cuda_mm_fusion_args_devicePfj15HIP_vector_typeIjLj3EEjjjS8_jjjS8_jjjj
	.p2align	8
	.type	_ZL13mul_mat_vec_qIL9ggml_type20ELi8ELb0ELb0EEvPKvS2_PKi31ggml_cuda_mm_fusion_args_devicePfj15HIP_vector_typeIjLj3EEjjjS8_jjjS8_jjjj,@function
_ZL13mul_mat_vec_qIL9ggml_type20ELi8ELb0ELb0EEvPKvS2_PKi31ggml_cuda_mm_fusion_args_devicePfj15HIP_vector_typeIjLj3EEjjjS8_jjjS8_jjjj: ; @_ZL13mul_mat_vec_qIL9ggml_type20ELi8ELb0ELb0EEvPKvS2_PKi31ggml_cuda_mm_fusion_args_devicePfj15HIP_vector_typeIjLj3EEjjjS8_jjjS8_jjjj
; %bb.0:
	v_bfe_u32 v9, v0, 10, 10
	s_clause 0x5
	s_load_b32 s2, s[0:1], 0x40
	s_load_b96 s[16:18], s[0:1], 0x80
	s_load_b128 s[4:7], s[0:1], 0x50
	s_load_b32 s23, s[0:1], 0x60
	s_load_b128 s[8:11], s[0:1], 0x68
	s_load_b32 s24, s[0:1], 0x78
	v_dual_mov_b32 v3, 0 :: v_dual_and_b32 v6, 0x3ff, v0
	v_dual_mov_b32 v5, 0 :: v_dual_lshlrev_b32 v0, 5, v9
	v_dual_mov_b32 v4, 0 :: v_dual_mov_b32 v7, 0
	v_mov_b32_e32 v8, 0
	s_delay_alu instid0(VALU_DEP_3)
	v_add_nc_u16 v0, v0, v6
	v_mov_b32_e32 v10, 0
	v_mov_b32_e32 v12, 0
	s_and_b32 s19, ttmp7, 0xffff
	s_lshr_b32 s20, ttmp7, 16
	v_lshrrev_b16 v0, 1, v0
	v_mov_b32_e32 v2, 0
	s_mov_b32 s21, exec_lo
	s_delay_alu instid0(VALU_DEP_2)
	v_and_b32_e32 v11, 0xffff, v0
	s_wait_kmcnt 0x0
	s_lshr_b32 s22, s2, 5
	s_delay_alu instid0(VALU_DEP_1) | instid1(SALU_CYCLE_1)
	v_cmpx_gt_u32_e64 s22, v11
	s_cbranch_execz .LBB239_4
; %bb.1:
	s_load_b128 s[12:15], s[0:1], 0x0
	v_dual_mov_b32 v2, 0 :: v_dual_lshlrev_b32 v1, 1, v6
	s_mul_i32 s2, s17, s20
	s_mov_b32 s3, 0
	s_mul_hi_u32 s7, s7, s19
	s_delay_alu instid0(VALU_DEP_1)
	v_and_b32_e32 v4, 2, v1
	s_mul_hi_u32 s11, s11, s20
	s_mul_u64 s[26:27], s[2:3], 36
	s_mul_i32 s2, s9, s19
	s_add_co_i32 s7, s19, s7
	s_add_co_i32 s9, s20, s11
	s_mul_u64 s[28:29], s[2:3], 36
	s_lshr_b32 s2, s7, s23
	v_and_b32_e32 v3, 1, v6
	v_and_b32_e32 v0, 0xffff, v0
	v_dual_mov_b32 v8, 0 :: v_dual_lshlrev_b32 v5, 1, v4
	s_lshr_b32 s7, s9, s24
	s_mul_i32 s2, s2, s8
	s_wait_kmcnt 0x0
	s_add_nc_u64 s[8:9], s[14:15], s[26:27]
	v_dual_mov_b32 v7, 0 :: v_dual_lshlrev_b32 v14, 1, v5
	s_add_nc_u64 s[8:9], s[8:9], s[28:29]
	v_mov_b32_e32 v5, 0
	v_dual_mov_b32 v12, 0 :: v_dual_lshlrev_b32 v15, 2, v4
	v_dual_mov_b32 v4, 0 :: v_dual_lshlrev_b32 v13, 3, v3
	v_dual_mov_b32 v10, 0 :: v_dual_mov_b32 v3, 0
	v_mad_co_u64_u32 v[0:1], null, v0, 36, s[8:9]
	s_mul_i32 s4, s4, ttmp9
	s_mul_i32 s7, s7, s16
	s_add_co_i32 s2, s2, s4
	s_lshl_b32 s4, s5, 1
	s_add_co_i32 s2, s7, s2
	s_mul_i32 s7, s5, 3
	s_lshl_b32 s11, s5, 2
	s_mul_i32 s14, s5, 5
	s_mul_i32 s15, s5, 6
	s_mul_i32 s16, s5, 7
	s_mov_b32 s17, 0xf6eaddcf
	s_mov_b32 s23, 0x71594535
	;; [unrolled: 1-line block ×3, first 2 shown]
.LBB239_2:                              ; =>This Inner Loop Header: Depth=1
	v_add_nc_u32_e32 v18, s2, v11
	v_add_nc_u32_e32 v22, s5, v11
	;; [unrolled: 1-line block ×5, first 2 shown]
	v_mad_co_i64_i32 v[18:19], null, v18, 18, s[12:13]
	v_mad_co_u64_u32 v[22:23], null, v22, 36, s[8:9]
	v_mad_co_u64_u32 v[24:25], null, v24, 36, s[8:9]
	v_add_nc_u32_e32 v30, s14, v11
	v_add_co_u32 v16, vcc_lo, v0, v13
	v_mad_co_u64_u32 v[26:27], null, v26, 36, s[8:9]
	v_add_nc_u32_e32 v32, s15, v11
	s_wait_alu 0xfffd
	v_add_co_ci_u32_e64 v17, null, 0, v1, vcc_lo
	v_mad_co_u64_u32 v[28:29], null, v28, 36, s[8:9]
	v_add_co_u32 v36, vcc_lo, v18, v14
	v_add_nc_u32_e32 v34, s16, v11
	v_mad_co_u64_u32 v[30:31], null, v30, 36, s[8:9]
	s_wait_alu 0xfffd
	v_add_co_ci_u32_e64 v37, null, 0, v19, vcc_lo
	v_add_co_u32 v38, vcc_lo, v22, v15
	v_mad_co_u64_u32 v[32:33], null, v32, 36, s[8:9]
	s_wait_alu 0xfffd
	v_add_co_ci_u32_e64 v39, null, 0, v23, vcc_lo
	v_add_co_u32 v40, vcc_lo, v24, v15
	;; [unrolled: 4-line block ×3, first 2 shown]
	s_wait_alu 0xfffd
	v_add_co_ci_u32_e64 v43, null, 0, v27, vcc_lo
	v_add_co_u32 v44, vcc_lo, v28, v15
	s_wait_alu 0xfffd
	v_add_co_ci_u32_e64 v45, null, 0, v29, vcc_lo
	v_add_co_u32 v46, vcc_lo, v30, v15
	global_load_b32 v52, v[0:1], off
	s_wait_alu 0xfffd
	v_add_co_ci_u32_e64 v47, null, 0, v31, vcc_lo
	v_add_co_u32 v48, vcc_lo, v32, v15
	s_wait_alu 0xfffd
	v_add_co_ci_u32_e64 v49, null, 0, v33, vcc_lo
	v_add_co_u32 v50, vcc_lo, v34, v15
	s_wait_alu 0xfffd
	v_add_co_ci_u32_e64 v51, null, 0, v35, vcc_lo
	s_clause 0x1
	global_load_b64 v[20:21], v[16:17], off offset:4
	global_load_b64 v[16:17], v[16:17], off offset:20
	s_clause 0x1
	global_load_b64 v[36:37], v[36:37], off offset:2
	global_load_u16 v53, v[18:19], off
	s_clause 0x14
	global_load_b64 v[18:19], v[38:39], off offset:4
	global_load_b64 v[38:39], v[38:39], off offset:20
	global_load_b32 v54, v[24:25], off
	global_load_b32 v55, v[22:23], off
	global_load_b64 v[22:23], v[40:41], off offset:4
	global_load_b64 v[24:25], v[40:41], off offset:20
	;; [unrolled: 1-line block ×3, first 2 shown]
	global_load_b32 v56, v[26:27], off
	global_load_b64 v[26:27], v[42:43], off offset:20
	global_load_b64 v[42:43], v[44:45], off offset:4
	;; [unrolled: 1-line block ×3, first 2 shown]
	global_load_b32 v57, v[28:29], off
	global_load_b64 v[28:29], v[46:47], off offset:4
	global_load_b64 v[46:47], v[46:47], off offset:20
	global_load_b32 v58, v[32:33], off
	global_load_b32 v59, v[30:31], off
	global_load_b64 v[30:31], v[50:51], off offset:20
	global_load_b64 v[32:33], v[48:49], off offset:4
	;; [unrolled: 1-line block ×4, first 2 shown]
	global_load_b32 v34, v[34:35], off
	v_add_co_u32 v0, vcc_lo, 0x240, v0
	s_wait_alu 0xfffd
	v_add_co_ci_u32_e64 v1, null, 0, v1, vcc_lo
	s_wait_loadcnt 0x16
	v_ashrrev_i32_e32 v61, 4, v37
	s_wait_loadcnt 0x15
	v_cvt_f32_f16_e32 v53, v53
	s_wait_loadcnt 0x12
	v_cvt_f32_f16_e32 v54, v54
	;; [unrolled: 2-line block ×3, first 2 shown]
	v_add_nc_u32_e32 v11, 16, v11
	v_and_b32_e32 v62, 0x7070707, v37
	v_lshrrev_b32_e32 v37, 1, v37
	s_wait_loadcnt 0xd
	v_cvt_f32_f16_e32 v56, v56
	v_cvt_f32_f16_e32 v35, v52
	v_ashrrev_i32_e32 v52, 4, v36
	v_and_b32_e32 v60, 0x7070707, v36
	v_lshrrev_b32_e32 v36, 1, v36
	s_wait_loadcnt 0x9
	v_cvt_f32_f16_e32 v57, v57
	v_mul_f32_e32 v35, v53, v35
	s_wait_loadcnt 0x6
	v_cvt_f32_f16_e32 v58, v58
	s_wait_loadcnt 0x5
	v_cvt_f32_f16_e32 v59, v59
	v_perm_b32 v63, s17, 0xbfad9881, v60
	v_and_b32_e32 v64, 0x7070707, v52
	s_wait_alu 0xfffe
	v_perm_b32 v60, s23, 0x26190d01, v60
	v_and_or_b32 v36, v36, s24, 0x3020100
	s_wait_loadcnt 0x0
	v_cvt_f32_f16_e32 v34, v34
	v_lshrrev_b32_e32 v52, 1, v52
	v_mul_f32_e32 v55, v53, v55
	v_mul_f32_e32 v54, v53, v54
	;; [unrolled: 1-line block ×7, first 2 shown]
	v_perm_b32 v53, s17, 0xbfad9881, v64
	v_perm_b32 v64, s23, 0x26190d01, v64
	v_and_or_b32 v52, v52, s24, 0x3020100
	v_perm_b32 v36, v60, v63, v36
	v_perm_b32 v65, s17, 0xbfad9881, v62
	v_and_b32_e32 v66, 0x7070707, v61
	v_perm_b32 v62, s23, 0x26190d01, v62
	v_and_or_b32 v37, v37, s24, 0x3020100
	v_lshrrev_b32_e32 v61, 1, v61
	v_perm_b32 v52, v64, v53, v52
	v_dot4_i32_iu8 v20, v36, v20, 0 neg_lo:[1,1,0]
	v_dot4_i32_iu8 v18, v36, v18, 0 neg_lo:[1,1,0]
	;; [unrolled: 1-line block ×8, first 2 shown]
	v_perm_b32 v67, s17, 0xbfad9881, v66
	v_perm_b32 v66, s23, 0x26190d01, v66
	v_and_or_b32 v61, v61, s24, 0x3020100
	v_perm_b32 v37, v62, v65, v37
	v_dot4_i32_iu8 v16, v52, v16, v20 neg_lo:[1,1,0]
	v_dot4_i32_iu8 v18, v52, v38, v18 neg_lo:[1,1,0]
	;; [unrolled: 1-line block ×8, first 2 shown]
	v_perm_b32 v53, v66, v67, v61
	v_dot4_i32_iu8 v16, v37, v21, v16 neg_lo:[1,1,0]
	v_dot4_i32_iu8 v18, v37, v19, v18 neg_lo:[1,1,0]
	;; [unrolled: 1-line block ×16, first 2 shown]
	v_cvt_f32_i32_e32 v16, v16
	v_cvt_f32_i32_e32 v17, v17
	;; [unrolled: 1-line block ×8, first 2 shown]
	v_cmp_le_u32_e32 vcc_lo, s22, v11
	v_fmac_f32_e32 v12, v35, v16
	v_fmac_f32_e32 v10, v55, v17
	v_dual_fmac_f32 v8, v54, v18 :: v_dual_fmac_f32 v7, v56, v19
	v_dual_fmac_f32 v5, v57, v20 :: v_dual_fmac_f32 v4, v59, v21
	v_fmac_f32_e32 v3, v58, v22
	v_fmac_f32_e32 v2, v34, v23
	s_or_b32 s3, vcc_lo, s3
	s_wait_alu 0xfffe
	s_and_not1_b32 exec_lo, exec_lo, s3
	s_cbranch_execnz .LBB239_2
; %bb.3:
	s_or_b32 exec_lo, exec_lo, s3
.LBB239_4:
	s_delay_alu instid0(SALU_CYCLE_1)
	s_or_b32 exec_lo, exec_lo, s21
	s_mov_b32 s3, 0
	; wave barrier
	global_inv scope:SCOPE_SE
	s_mov_b32 s2, exec_lo
	v_cmpx_eq_u32_e32 0, v9
	s_cbranch_execz .LBB239_21
; %bb.5:
	v_mbcnt_lo_u32_b32 v13, -1, 0
	s_load_b64 s[0:1], s[0:1], 0x38
	s_mul_i32 s2, s10, s19
	s_mul_i32 s4, s18, s20
	s_wait_alu 0xfffe
	s_add_co_i32 s2, s2, ttmp9
	v_xor_b32_e32 v0, 16, v13
	v_xor_b32_e32 v1, 8, v13
	s_wait_alu 0xfffe
	s_add_co_i32 s2, s2, s4
	s_wait_alu 0xfffe
	s_lshl_b64 s[2:3], s[2:3], 2
	v_cmp_gt_i32_e32 vcc_lo, 32, v0
	s_wait_alu 0xfffd
	v_cndmask_b32_e32 v0, v13, v0, vcc_lo
	v_cmp_gt_i32_e32 vcc_lo, 32, v1
	s_wait_alu 0xfffd
	v_cndmask_b32_e32 v1, v13, v1, vcc_lo
	s_wait_kmcnt 0x0
	s_wait_alu 0xfffe
	s_add_nc_u64 s[0:1], s[0:1], s[2:3]
	s_delay_alu instid0(VALU_DEP_1)
	v_lshlrev_b32_e32 v1, 2, v1
	v_lshlrev_b32_e32 v0, 2, v0
	ds_bpermute_b32 v9, v0, v12
	s_wait_dscnt 0x0
	v_add_f32_e32 v11, v12, v9
	v_xor_b32_e32 v9, 4, v13
	ds_bpermute_b32 v12, v1, v11
	v_cmp_gt_i32_e32 vcc_lo, 32, v9
	s_wait_dscnt 0x0
	s_wait_alu 0xfffd
	v_dual_add_f32 v12, v11, v12 :: v_dual_cndmask_b32 v9, v13, v9
	v_xor_b32_e32 v11, 2, v13
	s_delay_alu instid0(VALU_DEP_2) | instskip(NEXT) | instid1(VALU_DEP_2)
	v_lshlrev_b32_e32 v9, 2, v9
	v_cmp_gt_i32_e32 vcc_lo, 32, v11
	ds_bpermute_b32 v14, v9, v12
	s_wait_dscnt 0x0
	s_wait_alu 0xfffd
	v_dual_cndmask_b32 v11, v13, v11 :: v_dual_add_f32 v14, v12, v14
	v_xor_b32_e32 v12, 1, v13
	s_delay_alu instid0(VALU_DEP_1) | instskip(SKIP_3) | instid1(VALU_DEP_2)
	v_cmp_gt_i32_e32 vcc_lo, 32, v12
	s_wait_alu 0xfffd
	v_cndmask_b32_e32 v12, v13, v12, vcc_lo
	v_cmp_eq_u32_e32 vcc_lo, 0, v6
	v_lshlrev_b32_e32 v12, 2, v12
	v_lshlrev_b32_e32 v11, 2, v11
	ds_bpermute_b32 v15, v11, v14
	s_wait_dscnt 0x0
	v_add_f32_e32 v13, v14, v15
	ds_bpermute_b32 v14, v12, v13
	s_and_saveexec_b32 s2, vcc_lo
	s_cbranch_execz .LBB239_7
; %bb.6:
	s_wait_dscnt 0x0
	v_dual_add_f32 v6, v13, v14 :: v_dual_mov_b32 v13, 0
	global_store_b32 v13, v6, s[0:1]
.LBB239_7:
	s_wait_alu 0xfffe
	s_or_b32 exec_lo, exec_lo, s2
	ds_bpermute_b32 v6, v0, v10
	s_wait_dscnt 0x0
	v_add_f32_e32 v6, v10, v6
	ds_bpermute_b32 v10, v1, v6
	s_wait_dscnt 0x0
	v_add_f32_e32 v6, v6, v10
	;; [unrolled: 3-line block ×4, first 2 shown]
	ds_bpermute_b32 v10, v12, v6
	s_and_saveexec_b32 s2, vcc_lo
	s_cbranch_execz .LBB239_9
; %bb.8:
	s_mov_b32 s7, 0
	s_wait_dscnt 0x0
	v_add_f32_e32 v6, v6, v10
	v_mov_b32_e32 v10, 0
	s_wait_alu 0xfffe
	s_lshl_b64 s[4:5], s[6:7], 2
	s_wait_alu 0xfffe
	s_add_nc_u64 s[4:5], s[0:1], s[4:5]
	global_store_b32 v10, v6, s[4:5]
.LBB239_9:
	s_wait_alu 0xfffe
	s_or_b32 exec_lo, exec_lo, s2
	ds_bpermute_b32 v6, v0, v8
	s_wait_dscnt 0x0
	v_add_f32_e32 v6, v8, v6
	ds_bpermute_b32 v8, v1, v6
	s_wait_dscnt 0x0
	v_add_f32_e32 v6, v6, v8
	;; [unrolled: 3-line block ×4, first 2 shown]
	ds_bpermute_b32 v8, v12, v6
	s_and_saveexec_b32 s2, vcc_lo
	s_cbranch_execz .LBB239_11
; %bb.10:
	s_lshl_b32 s4, s6, 1
	s_mov_b32 s5, 0
	s_wait_dscnt 0x0
	v_add_f32_e32 v6, v6, v8
	v_mov_b32_e32 v8, 0
	s_wait_alu 0xfffe
	s_lshl_b64 s[4:5], s[4:5], 2
	s_wait_alu 0xfffe
	s_add_nc_u64 s[4:5], s[0:1], s[4:5]
	global_store_b32 v8, v6, s[4:5]
.LBB239_11:
	s_wait_alu 0xfffe
	s_or_b32 exec_lo, exec_lo, s2
	ds_bpermute_b32 v6, v0, v7
	s_wait_dscnt 0x0
	v_add_f32_e32 v6, v7, v6
	ds_bpermute_b32 v7, v1, v6
	s_wait_dscnt 0x0
	v_add_f32_e32 v6, v6, v7
	;; [unrolled: 3-line block ×4, first 2 shown]
	ds_bpermute_b32 v7, v12, v6
	s_and_saveexec_b32 s2, vcc_lo
	s_cbranch_execz .LBB239_13
; %bb.12:
	s_mul_i32 s4, s6, 3
	s_mov_b32 s5, 0
	s_wait_dscnt 0x0
	v_dual_add_f32 v6, v6, v7 :: v_dual_mov_b32 v7, 0
	s_wait_alu 0xfffe
	s_lshl_b64 s[4:5], s[4:5], 2
	s_wait_alu 0xfffe
	s_add_nc_u64 s[4:5], s[0:1], s[4:5]
	global_store_b32 v7, v6, s[4:5]
.LBB239_13:
	s_wait_alu 0xfffe
	s_or_b32 exec_lo, exec_lo, s2
	ds_bpermute_b32 v6, v0, v5
	s_wait_dscnt 0x0
	v_add_f32_e32 v5, v5, v6
	ds_bpermute_b32 v6, v1, v5
	s_wait_dscnt 0x0
	v_add_f32_e32 v5, v5, v6
	ds_bpermute_b32 v6, v9, v5
	s_wait_dscnt 0x0
	v_add_f32_e32 v5, v5, v6
	ds_bpermute_b32 v6, v11, v5
	s_wait_dscnt 0x0
	v_add_f32_e32 v5, v5, v6
	ds_bpermute_b32 v6, v12, v5
	s_and_saveexec_b32 s2, vcc_lo
	s_cbranch_execz .LBB239_15
; %bb.14:
	s_lshl_b32 s4, s6, 2
	s_mov_b32 s5, 0
	s_wait_dscnt 0x0
	v_dual_add_f32 v5, v5, v6 :: v_dual_mov_b32 v6, 0
	s_wait_alu 0xfffe
	s_lshl_b64 s[4:5], s[4:5], 2
	s_wait_alu 0xfffe
	s_add_nc_u64 s[4:5], s[0:1], s[4:5]
	global_store_b32 v6, v5, s[4:5]
.LBB239_15:
	s_wait_alu 0xfffe
	s_or_b32 exec_lo, exec_lo, s2
	ds_bpermute_b32 v5, v0, v4
	s_wait_dscnt 0x0
	v_add_f32_e32 v4, v4, v5
	ds_bpermute_b32 v5, v1, v4
	s_wait_dscnt 0x0
	v_add_f32_e32 v4, v4, v5
	;; [unrolled: 3-line block ×4, first 2 shown]
	ds_bpermute_b32 v5, v12, v4
	s_and_saveexec_b32 s2, vcc_lo
	s_cbranch_execz .LBB239_17
; %bb.16:
	s_mul_i32 s4, s6, 5
	s_mov_b32 s5, 0
	s_wait_dscnt 0x0
	v_dual_add_f32 v4, v4, v5 :: v_dual_mov_b32 v5, 0
	s_wait_alu 0xfffe
	s_lshl_b64 s[4:5], s[4:5], 2
	s_wait_alu 0xfffe
	s_add_nc_u64 s[4:5], s[0:1], s[4:5]
	global_store_b32 v5, v4, s[4:5]
.LBB239_17:
	s_wait_alu 0xfffe
	s_or_b32 exec_lo, exec_lo, s2
	ds_bpermute_b32 v4, v0, v3
	s_wait_dscnt 0x0
	v_add_f32_e32 v3, v3, v4
	ds_bpermute_b32 v4, v1, v3
	s_wait_dscnt 0x0
	v_add_f32_e32 v3, v3, v4
	;; [unrolled: 3-line block ×4, first 2 shown]
	ds_bpermute_b32 v4, v12, v3
	s_and_saveexec_b32 s2, vcc_lo
	s_cbranch_execz .LBB239_19
; %bb.18:
	s_mul_i32 s4, s6, 6
	s_mov_b32 s5, 0
	s_wait_dscnt 0x0
	v_dual_add_f32 v3, v3, v4 :: v_dual_mov_b32 v4, 0
	s_wait_alu 0xfffe
	s_lshl_b64 s[4:5], s[4:5], 2
	s_wait_alu 0xfffe
	s_add_nc_u64 s[4:5], s[0:1], s[4:5]
	global_store_b32 v4, v3, s[4:5]
.LBB239_19:
	s_wait_alu 0xfffe
	s_or_b32 exec_lo, exec_lo, s2
	ds_bpermute_b32 v0, v0, v2
	s_wait_dscnt 0x0
	v_add_f32_e32 v0, v2, v0
	ds_bpermute_b32 v1, v1, v0
	s_wait_dscnt 0x0
	v_add_f32_e32 v0, v0, v1
	;; [unrolled: 3-line block ×4, first 2 shown]
	ds_bpermute_b32 v1, v12, v0
	s_and_b32 exec_lo, exec_lo, vcc_lo
	s_cbranch_execz .LBB239_21
; %bb.20:
	s_mul_i32 s2, s6, 7
	s_mov_b32 s3, 0
	s_wait_dscnt 0x0
	v_dual_add_f32 v0, v0, v1 :: v_dual_mov_b32 v1, 0
	s_wait_alu 0xfffe
	s_lshl_b64 s[2:3], s[2:3], 2
	s_wait_alu 0xfffe
	s_add_nc_u64 s[0:1], s[0:1], s[2:3]
	global_store_b32 v1, v0, s[0:1]
.LBB239_21:
	s_endpgm
	.section	.rodata,"a",@progbits
	.p2align	6, 0x0
	.amdhsa_kernel _ZL13mul_mat_vec_qIL9ggml_type20ELi8ELb0ELb0EEvPKvS2_PKi31ggml_cuda_mm_fusion_args_devicePfj15HIP_vector_typeIjLj3EEjjjS8_jjjS8_jjjj
		.amdhsa_group_segment_fixed_size 0
		.amdhsa_private_segment_fixed_size 0
		.amdhsa_kernarg_size 144
		.amdhsa_user_sgpr_count 2
		.amdhsa_user_sgpr_dispatch_ptr 0
		.amdhsa_user_sgpr_queue_ptr 0
		.amdhsa_user_sgpr_kernarg_segment_ptr 1
		.amdhsa_user_sgpr_dispatch_id 0
		.amdhsa_user_sgpr_private_segment_size 0
		.amdhsa_wavefront_size32 1
		.amdhsa_uses_dynamic_stack 0
		.amdhsa_enable_private_segment 0
		.amdhsa_system_sgpr_workgroup_id_x 1
		.amdhsa_system_sgpr_workgroup_id_y 1
		.amdhsa_system_sgpr_workgroup_id_z 1
		.amdhsa_system_sgpr_workgroup_info 0
		.amdhsa_system_vgpr_workitem_id 1
		.amdhsa_next_free_vgpr 68
		.amdhsa_next_free_sgpr 30
		.amdhsa_reserve_vcc 1
		.amdhsa_float_round_mode_32 0
		.amdhsa_float_round_mode_16_64 0
		.amdhsa_float_denorm_mode_32 3
		.amdhsa_float_denorm_mode_16_64 3
		.amdhsa_fp16_overflow 0
		.amdhsa_workgroup_processor_mode 1
		.amdhsa_memory_ordered 1
		.amdhsa_forward_progress 1
		.amdhsa_inst_pref_size 24
		.amdhsa_round_robin_scheduling 0
		.amdhsa_exception_fp_ieee_invalid_op 0
		.amdhsa_exception_fp_denorm_src 0
		.amdhsa_exception_fp_ieee_div_zero 0
		.amdhsa_exception_fp_ieee_overflow 0
		.amdhsa_exception_fp_ieee_underflow 0
		.amdhsa_exception_fp_ieee_inexact 0
		.amdhsa_exception_int_div_zero 0
	.end_amdhsa_kernel
	.section	.text._ZL13mul_mat_vec_qIL9ggml_type20ELi8ELb0ELb0EEvPKvS2_PKi31ggml_cuda_mm_fusion_args_devicePfj15HIP_vector_typeIjLj3EEjjjS8_jjjS8_jjjj,"axG",@progbits,_ZL13mul_mat_vec_qIL9ggml_type20ELi8ELb0ELb0EEvPKvS2_PKi31ggml_cuda_mm_fusion_args_devicePfj15HIP_vector_typeIjLj3EEjjjS8_jjjS8_jjjj,comdat
.Lfunc_end239:
	.size	_ZL13mul_mat_vec_qIL9ggml_type20ELi8ELb0ELb0EEvPKvS2_PKi31ggml_cuda_mm_fusion_args_devicePfj15HIP_vector_typeIjLj3EEjjjS8_jjjS8_jjjj, .Lfunc_end239-_ZL13mul_mat_vec_qIL9ggml_type20ELi8ELb0ELb0EEvPKvS2_PKi31ggml_cuda_mm_fusion_args_devicePfj15HIP_vector_typeIjLj3EEjjjS8_jjjS8_jjjj
                                        ; -- End function
	.set _ZL13mul_mat_vec_qIL9ggml_type20ELi8ELb0ELb0EEvPKvS2_PKi31ggml_cuda_mm_fusion_args_devicePfj15HIP_vector_typeIjLj3EEjjjS8_jjjS8_jjjj.num_vgpr, 68
	.set _ZL13mul_mat_vec_qIL9ggml_type20ELi8ELb0ELb0EEvPKvS2_PKi31ggml_cuda_mm_fusion_args_devicePfj15HIP_vector_typeIjLj3EEjjjS8_jjjS8_jjjj.num_agpr, 0
	.set _ZL13mul_mat_vec_qIL9ggml_type20ELi8ELb0ELb0EEvPKvS2_PKi31ggml_cuda_mm_fusion_args_devicePfj15HIP_vector_typeIjLj3EEjjjS8_jjjS8_jjjj.numbered_sgpr, 30
	.set _ZL13mul_mat_vec_qIL9ggml_type20ELi8ELb0ELb0EEvPKvS2_PKi31ggml_cuda_mm_fusion_args_devicePfj15HIP_vector_typeIjLj3EEjjjS8_jjjS8_jjjj.num_named_barrier, 0
	.set _ZL13mul_mat_vec_qIL9ggml_type20ELi8ELb0ELb0EEvPKvS2_PKi31ggml_cuda_mm_fusion_args_devicePfj15HIP_vector_typeIjLj3EEjjjS8_jjjS8_jjjj.private_seg_size, 0
	.set _ZL13mul_mat_vec_qIL9ggml_type20ELi8ELb0ELb0EEvPKvS2_PKi31ggml_cuda_mm_fusion_args_devicePfj15HIP_vector_typeIjLj3EEjjjS8_jjjS8_jjjj.uses_vcc, 1
	.set _ZL13mul_mat_vec_qIL9ggml_type20ELi8ELb0ELb0EEvPKvS2_PKi31ggml_cuda_mm_fusion_args_devicePfj15HIP_vector_typeIjLj3EEjjjS8_jjjS8_jjjj.uses_flat_scratch, 0
	.set _ZL13mul_mat_vec_qIL9ggml_type20ELi8ELb0ELb0EEvPKvS2_PKi31ggml_cuda_mm_fusion_args_devicePfj15HIP_vector_typeIjLj3EEjjjS8_jjjS8_jjjj.has_dyn_sized_stack, 0
	.set _ZL13mul_mat_vec_qIL9ggml_type20ELi8ELb0ELb0EEvPKvS2_PKi31ggml_cuda_mm_fusion_args_devicePfj15HIP_vector_typeIjLj3EEjjjS8_jjjS8_jjjj.has_recursion, 0
	.set _ZL13mul_mat_vec_qIL9ggml_type20ELi8ELb0ELb0EEvPKvS2_PKi31ggml_cuda_mm_fusion_args_devicePfj15HIP_vector_typeIjLj3EEjjjS8_jjjS8_jjjj.has_indirect_call, 0
	.section	.AMDGPU.csdata,"",@progbits
; Kernel info:
; codeLenInByte = 2968
; TotalNumSgprs: 32
; NumVgprs: 68
; ScratchSize: 0
; MemoryBound: 0
; FloatMode: 240
; IeeeMode: 1
; LDSByteSize: 0 bytes/workgroup (compile time only)
; SGPRBlocks: 0
; VGPRBlocks: 8
; NumSGPRsForWavesPerEU: 32
; NumVGPRsForWavesPerEU: 68
; Occupancy: 16
; WaveLimiterHint : 0
; COMPUTE_PGM_RSRC2:SCRATCH_EN: 0
; COMPUTE_PGM_RSRC2:USER_SGPR: 2
; COMPUTE_PGM_RSRC2:TRAP_HANDLER: 0
; COMPUTE_PGM_RSRC2:TGID_X_EN: 1
; COMPUTE_PGM_RSRC2:TGID_Y_EN: 1
; COMPUTE_PGM_RSRC2:TGID_Z_EN: 1
; COMPUTE_PGM_RSRC2:TIDIG_COMP_CNT: 1
	.section	.text._ZL17mul_mat_vec_q_moeIL9ggml_type23ELi2EEvPKvS2_PKiPfj15HIP_vector_typeIjLj3EEjjjjjjjjj,"axG",@progbits,_ZL17mul_mat_vec_q_moeIL9ggml_type23ELi2EEvPKvS2_PKiPfj15HIP_vector_typeIjLj3EEjjjjjjjjj,comdat
	.globl	_ZL17mul_mat_vec_q_moeIL9ggml_type23ELi2EEvPKvS2_PKiPfj15HIP_vector_typeIjLj3EEjjjjjjjjj ; -- Begin function _ZL17mul_mat_vec_q_moeIL9ggml_type23ELi2EEvPKvS2_PKiPfj15HIP_vector_typeIjLj3EEjjjjjjjjj
	.p2align	8
	.type	_ZL17mul_mat_vec_q_moeIL9ggml_type23ELi2EEvPKvS2_PKiPfj15HIP_vector_typeIjLj3EEjjjjjjjjj,@function
_ZL17mul_mat_vec_q_moeIL9ggml_type23ELi2EEvPKvS2_PKiPfj15HIP_vector_typeIjLj3EEjjjjjjjjj: ; @_ZL17mul_mat_vec_q_moeIL9ggml_type23ELi2EEvPKvS2_PKiPfj15HIP_vector_typeIjLj3EEjjjjjjjjj
; %bb.0:
	s_load_b256 s[4:11], s[0:1], 0x30
	v_bfe_u32 v6, v0, 10, 10
	s_mov_b32 s2, exec_lo
	s_wait_kmcnt 0x0
	s_delay_alu instid0(VALU_DEP_1)
	v_cmpx_gt_u32_e64 s11, v6
	s_cbranch_execz .LBB240_7
; %bb.1:
	s_clause 0x2
	s_load_b32 s2, s[0:1], 0x20
	s_load_b32 s20, s[0:1], 0x50
	s_load_b256 s[12:19], s[0:1], 0x0
	v_bfe_u32 v8, v0, 3, 7
	v_dual_mov_b32 v0, 0 :: v_dual_and_b32 v7, 0x3ff, v0
	v_mov_b32_e32 v1, 0
	s_mov_b32 s11, exec_lo
	s_wait_kmcnt 0x0
	s_lshr_b32 s3, s2, 8
	s_lshl_b32 s2, ttmp9, 1
	v_cmpx_gt_u32_e64 s3, v8
	s_cbranch_execz .LBB240_5
; %bb.2:
	s_mov_b32 s22, ttmp7
	v_lshrrev_b32_e32 v4, 3, v7
	v_mad_co_u64_u32 v[0:1], null, s20, v6, s[22:23]
	v_mov_b32_e32 v1, 0
	s_load_b96 s[20:22], s[0:1], 0x24
	s_mov_b32 s1, 0
	s_delay_alu instid0(VALU_DEP_1) | instskip(NEXT) | instid1(VALU_DEP_1)
	v_lshlrev_b64_e32 v[2:3], 2, v[0:1]
	v_add_co_u32 v2, vcc_lo, s16, v2
	s_delay_alu instid0(VALU_DEP_1)
	v_add_co_ci_u32_e64 v3, null, s17, v3, vcc_lo
	global_load_b32 v0, v[2:3], off
	v_mul_lo_u32 v2, s6, v6
	s_wait_kmcnt 0x0
	s_mul_hi_u32 s0, s20, ttmp7
	s_mov_b32 s6, 0x71594535
	s_add_co_i32 s0, ttmp7, s0
	s_delay_alu instid0(SALU_CYCLE_1) | instskip(NEXT) | instid1(SALU_CYCLE_1)
	s_lshr_b32 s0, s0, s21
	s_mul_i32 s0, s0, s22
	s_delay_alu instid0(VALU_DEP_1) | instskip(SKIP_1) | instid1(SALU_CYCLE_1)
	v_mad_co_u64_u32 v[2:3], null, v2, 36, 0
	s_sub_co_i32 s0, ttmp7, s0
	s_mul_i32 s0, s0, s9
	v_mad_co_u64_u32 v[2:3], null, 0x120, v4, v[2:3]
	v_and_b32_e32 v4, 7, v7
	v_lshlrev_b32_e32 v5, 2, v7
	s_delay_alu instid0(VALU_DEP_1) | instskip(NEXT) | instid1(VALU_DEP_4)
	v_and_b32_e32 v12, 28, v5
	v_mad_co_u64_u32 v[2:3], null, s0, 36, v[2:3]
	v_bfe_u32 v9, v5, 3, 2
	v_and_b32_e32 v10, 4, v5
	s_add_co_i32 s0, s2, 1
	v_lshrrev_b32_e32 v11, 1, v12
	v_lshlrev_b32_e32 v12, 2, v12
	v_mad_co_u64_u32 v[2:3], null, v4, 36, v[2:3]
	s_delay_alu instid0(VALU_DEP_1) | instskip(SKIP_1) | instid1(VALU_DEP_2)
	v_add_co_u32 v5, vcc_lo, s14, v2
	s_wait_alu 0xfffd
	v_add_co_ci_u32_e64 v13, null, s15, v3, vcc_lo
	s_wait_loadcnt 0x0
	v_mul_lo_u32 v0, v0, s8
	s_mov_b32 s8, 0x4040404
	s_delay_alu instid0(VALU_DEP_1)
	v_mad_co_u64_u32 v[2:3], null, s2, s5, v[0:1]
	s_wait_alu 0xfffe
	v_mad_co_u64_u32 v[3:4], null, s5, s0, v[0:1]
	v_add_co_u32 v4, vcc_lo, v5, 32
	s_wait_alu 0xfffd
	v_add_co_ci_u32_e64 v5, null, 0, v13, vcc_lo
	v_mov_b32_e32 v0, v1
	s_mov_b32 s5, 0xf6eaddcf
.LBB240_3:                              ; =>This Inner Loop Header: Depth=1
	v_add_nc_u32_e32 v21, v2, v8
	v_add_nc_u32_e32 v22, v3, v8
	s_clause 0x1
	global_load_b128 v[13:16], v[4:5], off offset:-16
	global_load_b128 v[17:20], v[4:5], off offset:-32
	v_add_nc_u32_e32 v8, 4, v8
	v_mad_co_i64_i32 v[25:26], null, 0x88, v21, s[12:13]
	v_mad_co_i64_i32 v[27:28], null, 0x88, v22, s[12:13]
	s_delay_alu instid0(VALU_DEP_3) | instskip(NEXT) | instid1(VALU_DEP_3)
	v_cmp_le_u32_e64 s0, s3, v8
	v_add_co_u32 v21, vcc_lo, v25, v12
	s_wait_alu 0xfffd
	s_delay_alu instid0(VALU_DEP_4)
	v_add_co_ci_u32_e64 v22, null, 0, v26, vcc_lo
	v_add_co_u32 v29, vcc_lo, v25, v9
	s_wait_alu 0xfffd
	v_add_co_ci_u32_e64 v30, null, 0, v26, vcc_lo
	v_add_co_u32 v31, vcc_lo, v27, v12
	s_wait_alu 0xfffd
	;; [unrolled: 3-line block ×3, first 2 shown]
	v_add_co_ci_u32_e64 v34, null, 0, v28, vcc_lo
	s_clause 0x5
	global_load_b128 v[21:24], v[21:22], off offset:8
	global_load_u8 v29, v[29:30], off offset:4
	global_load_b32 v30, v[27:28], off
	global_load_b32 v35, v[25:26], off
	global_load_b128 v[25:28], v[31:32], off offset:8
	global_load_u8 v31, v[33:34], off offset:4
	global_load_b32 v32, v[4:5], off
	v_add_co_u32 v4, vcc_lo, 0x480, v4
	s_wait_alu 0xfffd
	v_add_co_ci_u32_e64 v5, null, 0, v5, vcc_lo
	s_or_b32 s1, s0, s1
	s_wait_loadcnt 0x7
	v_cvt_f32_f16_e32 v17, v17
	s_wait_loadcnt 0x6
	v_ashrrev_i32_e32 v33, 4, v21
	v_and_b32_e32 v34, 0x7070707, v21
	v_lshrrev_b32_e32 v21, 1, v21
	v_ashrrev_i32_e32 v38, 4, v23
	v_and_b32_e32 v39, 0x7070707, v23
	v_lshrrev_b32_e32 v23, 1, v23
	;; [unrolled: 3-line block ×3, first 2 shown]
	s_wait_loadcnt 0x3
	v_lshrrev_b32_e32 v42, 16, v35
	s_wait_loadcnt 0x2
	v_ashrrev_i32_e32 v43, 4, v25
	v_and_b32_e32 v44, 0x7070707, v25
	v_lshrrev_b32_e32 v25, 1, v25
	s_wait_alu 0xfffe
	v_perm_b32 v52, s5, 0xbfad9881, v34
	v_and_b32_e32 v53, 0x7070707, v33
	v_perm_b32 v34, s6, 0x26190d01, v34
	v_and_or_b32 v21, v21, s8, 0x3020100
	v_lshrrev_b32_e32 v33, 1, v33
	v_perm_b32 v56, s5, 0xbfad9881, v39
	v_perm_b32 v39, s6, 0x26190d01, v39
	v_and_or_b32 v23, v23, s8, 0x3020100
	v_perm_b32 v58, s5, 0xbfad9881, v41
	v_perm_b32 v41, s6, 0x26190d01, v41
	v_and_or_b32 v24, v24, s8, 0x3020100
	v_lshrrev_b32_e32 v42, v11, v42
	v_perm_b32 v60, s5, 0xbfad9881, v44
	v_and_b32_e32 v61, 0x7070707, v43
	v_perm_b32 v44, s6, 0x26190d01, v44
	v_and_or_b32 v25, v25, s8, 0x3020100
	v_lshrrev_b32_e32 v43, 1, v43
	v_ashrrev_i32_e32 v36, 4, v22
	v_and_b32_e32 v37, 0x7070707, v22
	v_lshrrev_b32_e32 v22, 1, v22
	v_ashrrev_i32_e32 v45, 4, v26
	v_and_b32_e32 v46, 0x7070707, v26
	v_lshrrev_b32_e32 v26, 1, v26
	v_perm_b32 v68, s5, 0xbfad9881, v53
	v_perm_b32 v53, s6, 0x26190d01, v53
	;; [unrolled: 1-line block ×3, first 2 shown]
	v_and_or_b32 v33, v33, s8, 0x3020100
	v_perm_b32 v23, v39, v56, v23
	v_perm_b32 v24, v41, v58, v24
	v_lshlrev_b32_e32 v41, 4, v42
	v_perm_b32 v42, s5, 0xbfad9881, v61
	v_perm_b32 v56, s6, 0x26190d01, v61
	v_perm_b32 v25, v44, v60, v25
	v_and_or_b32 v43, v43, s8, 0x3020100
	v_ashrrev_i32_e32 v47, 4, v27
	v_and_b32_e32 v48, 0x7070707, v27
	v_lshrrev_b32_e32 v27, 1, v27
	v_perm_b32 v54, s5, 0xbfad9881, v37
	v_and_b32_e32 v55, 0x7070707, v36
	v_perm_b32 v37, s6, 0x26190d01, v37
	v_and_or_b32 v22, v22, s8, 0x3020100
	v_lshrrev_b32_e32 v36, 1, v36
	v_and_b32_e32 v57, 0x7070707, v38
	v_perm_b32 v62, s5, 0xbfad9881, v46
	v_and_b32_e32 v63, 0x7070707, v45
	v_perm_b32 v46, s6, 0x26190d01, v46
	v_and_or_b32 v26, v26, s8, 0x3020100
	v_lshrrev_b32_e32 v45, 1, v45
	v_perm_b32 v33, v53, v68, v33
	v_dot4_i32_iu8 v21, v21, v18, 0 neg_lo:[1,1,0]
	v_perm_b32 v42, v56, v42, v43
	v_dot4_i32_iu8 v18, v25, v18, 0 neg_lo:[1,1,0]
	v_perm_b32 v64, s5, 0xbfad9881, v48
	v_perm_b32 v48, s6, 0x26190d01, v48
	v_and_or_b32 v27, v27, s8, 0x3020100
	v_perm_b32 v34, s5, 0xbfad9881, v55
	v_perm_b32 v52, s6, 0x26190d01, v55
	;; [unrolled: 1-line block ×3, first 2 shown]
	v_and_or_b32 v36, v36, s8, 0x3020100
	v_perm_b32 v37, s5, 0xbfad9881, v57
	v_perm_b32 v54, s6, 0x26190d01, v57
	;; [unrolled: 1-line block ×5, first 2 shown]
	v_and_or_b32 v25, v45, s8, 0x3020100
	v_dot4_i32_iu8 v21, v33, v14, v21 neg_lo:[1,1,0]
	v_dot4_i32_iu8 v14, v42, v14, v18 neg_lo:[1,1,0]
	v_lshrrev_b32_e32 v38, 1, v38
	v_and_b32_e32 v65, 0x7070707, v47
	v_lshrrev_b32_e32 v47, 1, v47
	v_perm_b32 v18, v48, v64, v27
	v_perm_b32 v27, v52, v34, v36
	;; [unrolled: 1-line block ×3, first 2 shown]
	v_dot4_i32_iu8 v21, v22, v19, v21 neg_lo:[1,1,0]
	v_dot4_i32_iu8 v14, v26, v19, v14 neg_lo:[1,1,0]
	v_ashrrev_i32_e32 v49, 4, v28
	v_and_b32_e32 v50, 0x7070707, v28
	v_lshrrev_b32_e32 v28, 1, v28
	v_lshrrev_b32_e32 v51, 16, v30
	v_and_or_b32 v38, v38, s8, 0x3020100
	v_perm_b32 v43, s5, 0xbfad9881, v65
	v_perm_b32 v45, s6, 0x26190d01, v65
	v_and_or_b32 v19, v47, s8, 0x3020100
	v_dot4_i32_iu8 v21, v27, v15, v21 neg_lo:[1,1,0]
	v_dot4_i32_iu8 v14, v25, v15, v14 neg_lo:[1,1,0]
	v_and_b32_e32 v59, 0x7070707, v40
	v_lshrrev_b32_e32 v40, 1, v40
	v_perm_b32 v66, s5, 0xbfad9881, v50
	v_and_b32_e32 v67, 0x7070707, v49
	v_perm_b32 v50, s6, 0x26190d01, v50
	v_and_or_b32 v28, v28, s8, 0x3020100
	v_lshrrev_b32_e32 v49, 1, v49
	v_lshrrev_b32_e32 v51, v11, v51
	v_perm_b32 v25, v54, v37, v38
	v_perm_b32 v19, v45, v43, v19
	v_dot4_i32_iu8 v21, v23, v20, v21 neg_lo:[1,1,0]
	v_dot4_i32_iu8 v14, v18, v20, v14 neg_lo:[1,1,0]
	v_bfe_u32 v29, v29, v10, 4
	s_wait_loadcnt 0x1
	v_bfe_u32 v31, v31, v10, 4
	v_perm_b32 v39, s5, 0xbfad9881, v59
	v_perm_b32 v55, s6, 0x26190d01, v59
	v_and_or_b32 v40, v40, s8, 0x3020100
	v_perm_b32 v22, s5, 0xbfad9881, v67
	v_perm_b32 v26, s6, 0x26190d01, v67
	;; [unrolled: 1-line block ×3, first 2 shown]
	v_and_or_b32 v18, v49, s8, 0x3020100
	v_lshlrev_b32_e32 v20, 4, v51
	v_dot4_i32_iu8 v21, v25, v16, v21 neg_lo:[1,1,0]
	v_dot4_i32_iu8 v14, v19, v16, v14 neg_lo:[1,1,0]
	v_perm_b32 v23, v55, v39, v40
	v_and_or_b32 v16, v41, 48, v29
	v_perm_b32 v18, v26, v22, v18
	v_and_or_b32 v19, v20, 48, v31
	v_dot4_i32_iu8 v20, v24, v13, v21 neg_lo:[1,1,0]
	v_dot4_i32_iu8 v13, v15, v13, v14 neg_lo:[1,1,0]
	v_subrev_nc_u32_e32 v14, 32, v16
	s_delay_alu instid0(VALU_DEP_4) | instskip(SKIP_4) | instid1(VALU_DEP_3)
	v_subrev_nc_u32_e32 v15, 32, v19
	s_wait_loadcnt 0x0
	v_dot4_i32_iu8 v16, v23, v32, v20 neg_lo:[1,1,0]
	v_dot4_i32_iu8 v13, v18, v32, v13 neg_lo:[1,1,0]
	v_cvt_f32_f16_e32 v18, v35
	v_mul_lo_u32 v14, v14, v16
	s_delay_alu instid0(VALU_DEP_3) | instskip(SKIP_1) | instid1(VALU_DEP_4)
	v_mul_lo_u32 v13, v15, v13
	v_cvt_f32_f16_e32 v15, v30
	v_mul_f32_e32 v16, v18, v17
	s_delay_alu instid0(VALU_DEP_2) | instskip(SKIP_2) | instid1(VALU_DEP_1)
	v_mul_f32_e32 v15, v15, v17
	v_cvt_f32_i32_e32 v14, v14
	v_cvt_f32_i32_e32 v13, v13
	v_dual_fmac_f32 v1, v16, v14 :: v_dual_fmac_f32 v0, v15, v13
	s_and_not1_b32 exec_lo, exec_lo, s1
	s_cbranch_execnz .LBB240_3
; %bb.4:
	s_or_b32 exec_lo, exec_lo, s1
.LBB240_5:
	s_wait_alu 0xfffe
	s_or_b32 exec_lo, exec_lo, s11
	v_mbcnt_lo_u32_b32 v2, -1, 0
	s_delay_alu instid0(VALU_DEP_1) | instskip(SKIP_1) | instid1(VALU_DEP_2)
	v_xor_b32_e32 v3, 16, v2
	v_xor_b32_e32 v5, 8, v2
	v_cmp_gt_i32_e32 vcc_lo, 32, v3
	s_wait_alu 0xfffd
	v_cndmask_b32_e32 v3, v2, v3, vcc_lo
	s_delay_alu instid0(VALU_DEP_3) | instskip(NEXT) | instid1(VALU_DEP_2)
	v_cmp_gt_i32_e32 vcc_lo, 32, v5
	v_lshlrev_b32_e32 v3, 2, v3
	ds_bpermute_b32 v4, v3, v1
	ds_bpermute_b32 v3, v3, v0
	s_wait_alu 0xfffd
	v_cndmask_b32_e32 v5, v2, v5, vcc_lo
	s_wait_dscnt 0x0
	v_dual_add_f32 v1, v1, v4 :: v_dual_add_f32 v0, v0, v3
	s_delay_alu instid0(VALU_DEP_2) | instskip(SKIP_3) | instid1(VALU_DEP_1)
	v_lshlrev_b32_e32 v5, 2, v5
	ds_bpermute_b32 v3, v5, v1
	ds_bpermute_b32 v4, v5, v0
	v_xor_b32_e32 v5, 4, v2
	v_cmp_gt_i32_e32 vcc_lo, 32, v5
	s_wait_alu 0xfffd
	v_cndmask_b32_e32 v5, v2, v5, vcc_lo
	s_delay_alu instid0(VALU_DEP_1)
	v_lshlrev_b32_e32 v5, 2, v5
	s_wait_dscnt 0x0
	v_dual_add_f32 v1, v1, v3 :: v_dual_add_f32 v0, v0, v4
	ds_bpermute_b32 v3, v5, v1
	ds_bpermute_b32 v4, v5, v0
	v_xor_b32_e32 v5, 2, v2
	s_delay_alu instid0(VALU_DEP_1) | instskip(SKIP_2) | instid1(VALU_DEP_1)
	v_cmp_gt_i32_e32 vcc_lo, 32, v5
	s_wait_alu 0xfffd
	v_cndmask_b32_e32 v5, v2, v5, vcc_lo
	v_lshlrev_b32_e32 v5, 2, v5
	s_wait_dscnt 0x1
	v_add_f32_e32 v1, v1, v3
	s_wait_dscnt 0x0
	v_add_f32_e32 v3, v0, v4
	ds_bpermute_b32 v0, v5, v1
	ds_bpermute_b32 v4, v5, v3
	v_xor_b32_e32 v5, 1, v2
	s_delay_alu instid0(VALU_DEP_1) | instskip(SKIP_4) | instid1(VALU_DEP_2)
	v_cmp_gt_i32_e32 vcc_lo, 32, v5
	s_wait_alu 0xfffd
	v_cndmask_b32_e32 v2, v2, v5, vcc_lo
	v_cmp_gt_u32_e32 vcc_lo, 2, v7
	s_wait_dscnt 0x1
	v_dual_add_f32 v0, v1, v0 :: v_dual_lshlrev_b32 v5, 2, v2
	s_wait_dscnt 0x0
	v_dual_add_f32 v1, v3, v4 :: v_dual_add_nc_u32 v4, s2, v7
	ds_bpermute_b32 v2, v5, v0
	ds_bpermute_b32 v3, v5, v1
	v_cmp_gt_u32_e64 s0, s4, v4
	s_and_b32 s0, vcc_lo, s0
	s_wait_alu 0xfffe
	s_and_b32 exec_lo, exec_lo, s0
	s_cbranch_execz .LBB240_7
; %bb.6:
	v_mul_lo_u32 v4, s7, v6
	v_or_b32_e32 v6, s2, v7
	s_mul_i32 s0, s10, ttmp7
	s_wait_dscnt 0x1
	v_dual_mov_b32 v5, 0 :: v_dual_add_f32 v2, v0, v2
	s_wait_dscnt 0x0
	v_add_f32_e32 v3, v1, v3
	v_cmp_eq_u32_e32 vcc_lo, 1, v7
	s_wait_alu 0xfffe
	v_add3_u32 v4, v6, v4, s0
	s_wait_alu 0xfffd
	v_cndmask_b32_e32 v2, v2, v3, vcc_lo
	s_delay_alu instid0(VALU_DEP_2) | instskip(NEXT) | instid1(VALU_DEP_1)
	v_lshlrev_b64_e32 v[0:1], 2, v[4:5]
	v_add_co_u32 v0, vcc_lo, s18, v0
	s_wait_alu 0xfffd
	s_delay_alu instid0(VALU_DEP_2)
	v_add_co_ci_u32_e64 v1, null, s19, v1, vcc_lo
	global_store_b32 v[0:1], v2, off
.LBB240_7:
	s_endpgm
	.section	.rodata,"a",@progbits
	.p2align	6, 0x0
	.amdhsa_kernel _ZL17mul_mat_vec_q_moeIL9ggml_type23ELi2EEvPKvS2_PKiPfj15HIP_vector_typeIjLj3EEjjjjjjjjj
		.amdhsa_group_segment_fixed_size 0
		.amdhsa_private_segment_fixed_size 0
		.amdhsa_kernarg_size 84
		.amdhsa_user_sgpr_count 2
		.amdhsa_user_sgpr_dispatch_ptr 0
		.amdhsa_user_sgpr_queue_ptr 0
		.amdhsa_user_sgpr_kernarg_segment_ptr 1
		.amdhsa_user_sgpr_dispatch_id 0
		.amdhsa_user_sgpr_private_segment_size 0
		.amdhsa_wavefront_size32 1
		.amdhsa_uses_dynamic_stack 0
		.amdhsa_enable_private_segment 0
		.amdhsa_system_sgpr_workgroup_id_x 1
		.amdhsa_system_sgpr_workgroup_id_y 1
		.amdhsa_system_sgpr_workgroup_id_z 0
		.amdhsa_system_sgpr_workgroup_info 0
		.amdhsa_system_vgpr_workitem_id 1
		.amdhsa_next_free_vgpr 69
		.amdhsa_next_free_sgpr 24
		.amdhsa_reserve_vcc 1
		.amdhsa_float_round_mode_32 0
		.amdhsa_float_round_mode_16_64 0
		.amdhsa_float_denorm_mode_32 3
		.amdhsa_float_denorm_mode_16_64 3
		.amdhsa_fp16_overflow 0
		.amdhsa_workgroup_processor_mode 1
		.amdhsa_memory_ordered 1
		.amdhsa_forward_progress 1
		.amdhsa_inst_pref_size 19
		.amdhsa_round_robin_scheduling 0
		.amdhsa_exception_fp_ieee_invalid_op 0
		.amdhsa_exception_fp_denorm_src 0
		.amdhsa_exception_fp_ieee_div_zero 0
		.amdhsa_exception_fp_ieee_overflow 0
		.amdhsa_exception_fp_ieee_underflow 0
		.amdhsa_exception_fp_ieee_inexact 0
		.amdhsa_exception_int_div_zero 0
	.end_amdhsa_kernel
	.section	.text._ZL17mul_mat_vec_q_moeIL9ggml_type23ELi2EEvPKvS2_PKiPfj15HIP_vector_typeIjLj3EEjjjjjjjjj,"axG",@progbits,_ZL17mul_mat_vec_q_moeIL9ggml_type23ELi2EEvPKvS2_PKiPfj15HIP_vector_typeIjLj3EEjjjjjjjjj,comdat
.Lfunc_end240:
	.size	_ZL17mul_mat_vec_q_moeIL9ggml_type23ELi2EEvPKvS2_PKiPfj15HIP_vector_typeIjLj3EEjjjjjjjjj, .Lfunc_end240-_ZL17mul_mat_vec_q_moeIL9ggml_type23ELi2EEvPKvS2_PKiPfj15HIP_vector_typeIjLj3EEjjjjjjjjj
                                        ; -- End function
	.set _ZL17mul_mat_vec_q_moeIL9ggml_type23ELi2EEvPKvS2_PKiPfj15HIP_vector_typeIjLj3EEjjjjjjjjj.num_vgpr, 69
	.set _ZL17mul_mat_vec_q_moeIL9ggml_type23ELi2EEvPKvS2_PKiPfj15HIP_vector_typeIjLj3EEjjjjjjjjj.num_agpr, 0
	.set _ZL17mul_mat_vec_q_moeIL9ggml_type23ELi2EEvPKvS2_PKiPfj15HIP_vector_typeIjLj3EEjjjjjjjjj.numbered_sgpr, 24
	.set _ZL17mul_mat_vec_q_moeIL9ggml_type23ELi2EEvPKvS2_PKiPfj15HIP_vector_typeIjLj3EEjjjjjjjjj.num_named_barrier, 0
	.set _ZL17mul_mat_vec_q_moeIL9ggml_type23ELi2EEvPKvS2_PKiPfj15HIP_vector_typeIjLj3EEjjjjjjjjj.private_seg_size, 0
	.set _ZL17mul_mat_vec_q_moeIL9ggml_type23ELi2EEvPKvS2_PKiPfj15HIP_vector_typeIjLj3EEjjjjjjjjj.uses_vcc, 1
	.set _ZL17mul_mat_vec_q_moeIL9ggml_type23ELi2EEvPKvS2_PKiPfj15HIP_vector_typeIjLj3EEjjjjjjjjj.uses_flat_scratch, 0
	.set _ZL17mul_mat_vec_q_moeIL9ggml_type23ELi2EEvPKvS2_PKiPfj15HIP_vector_typeIjLj3EEjjjjjjjjj.has_dyn_sized_stack, 0
	.set _ZL17mul_mat_vec_q_moeIL9ggml_type23ELi2EEvPKvS2_PKiPfj15HIP_vector_typeIjLj3EEjjjjjjjjj.has_recursion, 0
	.set _ZL17mul_mat_vec_q_moeIL9ggml_type23ELi2EEvPKvS2_PKiPfj15HIP_vector_typeIjLj3EEjjjjjjjjj.has_indirect_call, 0
	.section	.AMDGPU.csdata,"",@progbits
; Kernel info:
; codeLenInByte = 2336
; TotalNumSgprs: 26
; NumVgprs: 69
; ScratchSize: 0
; MemoryBound: 0
; FloatMode: 240
; IeeeMode: 1
; LDSByteSize: 0 bytes/workgroup (compile time only)
; SGPRBlocks: 0
; VGPRBlocks: 8
; NumSGPRsForWavesPerEU: 26
; NumVGPRsForWavesPerEU: 69
; Occupancy: 16
; WaveLimiterHint : 1
; COMPUTE_PGM_RSRC2:SCRATCH_EN: 0
; COMPUTE_PGM_RSRC2:USER_SGPR: 2
; COMPUTE_PGM_RSRC2:TRAP_HANDLER: 0
; COMPUTE_PGM_RSRC2:TGID_X_EN: 1
; COMPUTE_PGM_RSRC2:TGID_Y_EN: 1
; COMPUTE_PGM_RSRC2:TGID_Z_EN: 0
; COMPUTE_PGM_RSRC2:TIDIG_COMP_CNT: 1
	.section	.text._ZL13mul_mat_vec_qIL9ggml_type23ELi1ELb1ELb1EEvPKvS2_PKi31ggml_cuda_mm_fusion_args_devicePfj15HIP_vector_typeIjLj3EEjjjS8_jjjS8_jjjj,"axG",@progbits,_ZL13mul_mat_vec_qIL9ggml_type23ELi1ELb1ELb1EEvPKvS2_PKi31ggml_cuda_mm_fusion_args_devicePfj15HIP_vector_typeIjLj3EEjjjS8_jjjS8_jjjj,comdat
	.globl	_ZL13mul_mat_vec_qIL9ggml_type23ELi1ELb1ELb1EEvPKvS2_PKi31ggml_cuda_mm_fusion_args_devicePfj15HIP_vector_typeIjLj3EEjjjS8_jjjS8_jjjj ; -- Begin function _ZL13mul_mat_vec_qIL9ggml_type23ELi1ELb1ELb1EEvPKvS2_PKi31ggml_cuda_mm_fusion_args_devicePfj15HIP_vector_typeIjLj3EEjjjS8_jjjS8_jjjj
	.p2align	8
	.type	_ZL13mul_mat_vec_qIL9ggml_type23ELi1ELb1ELb1EEvPKvS2_PKi31ggml_cuda_mm_fusion_args_devicePfj15HIP_vector_typeIjLj3EEjjjS8_jjjS8_jjjj,@function
_ZL13mul_mat_vec_qIL9ggml_type23ELi1ELb1ELb1EEvPKvS2_PKi31ggml_cuda_mm_fusion_args_devicePfj15HIP_vector_typeIjLj3EEjjjS8_jjjS8_jjjj: ; @_ZL13mul_mat_vec_qIL9ggml_type23ELi1ELb1ELb1EEvPKvS2_PKi31ggml_cuda_mm_fusion_args_devicePfj15HIP_vector_typeIjLj3EEjjjS8_jjjS8_jjjj
; %bb.0:
	s_clause 0x3
	s_load_b256 s[8:15], s[0:1], 0x0
	s_load_b128 s[16:19], s[0:1], 0x20
	s_load_b128 s[20:23], s[0:1], 0x40
	;; [unrolled: 1-line block ×3, first 2 shown]
	s_and_b32 s27, ttmp7, 0xffff
	s_wait_kmcnt 0x0
	s_cmp_lg_u64 s[12:13], 0
	s_cselect_b32 s2, -1, 0
	s_cmp_eq_u64 s[12:13], 0
	s_cbranch_scc1 .LBB241_42
; %bb.1:
	s_lshl_b32 s3, s27, 2
	s_load_b32 s29, s[12:13], s3 offset:0x0
	s_clause 0x1
	s_load_b32 s30, s[0:1], 0x50
	s_load_b32 s28, s[0:1], 0x78
	s_cbranch_execnz .LBB241_3
.LBB241_2:
	s_load_b64 s[12:13], s[0:1], 0x5c
	s_wait_kmcnt 0x0
	s_mul_hi_u32 s3, s12, s27
	s_delay_alu instid0(SALU_CYCLE_1) | instskip(NEXT) | instid1(SALU_CYCLE_1)
	s_add_co_i32 s3, s27, s3
	s_lshr_b32 s29, s3, s13
.LBB241_3:
	s_and_not1_b32 vcc_lo, exec_lo, s2
	s_mov_b32 s3, s27
	s_mov_b32 s31, s27
	s_cbranch_vccnz .LBB241_5
; %bb.4:
	s_mul_hi_u32 s2, s21, s27
	s_wait_kmcnt 0x0
	s_mov_b32 s3, s29
	s_add_co_i32 s2, s27, s2
	s_delay_alu instid0(SALU_CYCLE_1) | instskip(NEXT) | instid1(SALU_CYCLE_1)
	s_lshr_b32 s2, s2, s22
	s_mul_i32 s2, s2, s23
	s_delay_alu instid0(SALU_CYCLE_1)
	s_sub_co_i32 s31, s27, s2
.LBB241_5:
	s_load_b96 s[24:26], s[0:1], 0x80
	v_bfe_u32 v20, v0, 10, 10
	v_dual_mov_b32 v16, 0 :: v_dual_and_b32 v15, 0x3ff, v0
	s_lshr_b32 s21, ttmp7, 16
	s_cmp_lg_u64 s[14:15], 0
	s_delay_alu instid0(VALU_DEP_1) | instskip(SKIP_4) | instid1(VALU_DEP_1)
	v_dual_mov_b32 v17, 0 :: v_dual_lshlrev_b32 v14, 2, v15
	v_or_b32_e32 v0, v15, v20
	s_cselect_b32 s2, -1, 0
	s_mov_b32 s23, 0
	s_mul_i32 s12, s3, s6
	v_cmp_eq_u32_e32 vcc_lo, 0, v0
	s_and_b32 s13, s2, vcc_lo
	s_delay_alu instid0(SALU_CYCLE_1)
	s_and_saveexec_b32 s3, s13
	s_cbranch_execz .LBB241_7
; %bb.6:
	s_wait_kmcnt 0x0
	s_mul_i32 s22, s26, s21
	s_mov_b32 s13, s23
	s_lshl_b64 s[36:37], s[22:23], 2
	s_mov_b32 s34, ttmp9
	s_add_nc_u64 s[14:15], s[14:15], s[36:37]
	s_lshl_b64 s[22:23], s[12:13], 2
	s_ashr_i32 s35, ttmp9, 31
	s_add_nc_u64 s[14:15], s[14:15], s[22:23]
	s_lshl_b64 s[22:23], s[34:35], 2
	s_delay_alu instid0(SALU_CYCLE_1)
	s_add_nc_u64 s[14:15], s[14:15], s[22:23]
	global_load_b32 v17, v14, s[14:15]
.LBB241_7:
	s_or_b32 exec_lo, exec_lo, s3
	s_cmp_lg_u64 s[16:17], 0
	s_cselect_b32 s14, -1, 0
	s_cmp_lg_u64 s[18:19], 0
	s_cselect_b32 s3, -1, 0
	s_delay_alu instid0(SALU_CYCLE_1) | instskip(NEXT) | instid1(SALU_CYCLE_1)
	s_and_b32 s13, s3, s14
	s_and_b32 s13, s13, vcc_lo
	s_delay_alu instid0(SALU_CYCLE_1)
	s_and_saveexec_b32 s15, s13
	s_cbranch_execz .LBB241_9
; %bb.8:
	s_wait_kmcnt 0x0
	s_mul_i32 s34, s26, s21
	s_mov_b32 s35, 0
	s_mov_b32 s22, ttmp9
	s_lshl_b64 s[36:37], s[34:35], 2
	s_mov_b32 s13, s35
	s_add_nc_u64 s[18:19], s[18:19], s[36:37]
	s_lshl_b64 s[12:13], s[12:13], 2
	s_ashr_i32 s23, ttmp9, 31
	s_add_nc_u64 s[12:13], s[18:19], s[12:13]
	s_lshl_b64 s[18:19], s[22:23], 2
	s_delay_alu instid0(SALU_CYCLE_1)
	s_add_nc_u64 s[12:13], s[12:13], s[18:19]
	global_load_b32 v16, v14, s[12:13]
.LBB241_9:
	s_or_b32 exec_lo, exec_lo, s15
	v_lshl_add_u32 v0, v20, 5, v15
	v_mov_b32_e32 v21, 0
	v_cndmask_b32_e64 v18, 0, 1, s14
	v_mov_b32_e32 v19, 0
	s_lshr_b32 s15, s20, 8
	v_lshrrev_b32_e32 v22, 3, v0
	s_mov_b32 s18, exec_lo
	s_wait_alu 0xfffe
	s_delay_alu instid0(VALU_DEP_1)
	v_cmpx_gt_u32_e64 s15, v22
	s_cbranch_execz .LBB241_15
; %bb.10:
	v_lshrrev_b32_e32 v0, 3, v0
	s_mul_i32 s12, s31, s5
	s_mov_b32 s13, 0
	s_mul_hi_u32 s5, s7, s21
	s_mul_u64 s[22:23], s[12:13], 36
	s_wait_kmcnt 0x0
	s_mul_i32 s7, s25, s21
	v_mad_co_u64_u32 v[0:1], null, 0x120, v0, s[22:23]
	v_and_b32_e32 v3, 7, v15
	v_dual_mov_b32 v21, 0 :: v_dual_and_b32 v2, 28, v14
	s_add_co_i32 s5, s21, s5
	s_mul_i32 s30, s30, ttmp9
	s_lshr_b32 s5, s5, s28
	s_delay_alu instid0(VALU_DEP_3)
	v_mad_co_u64_u32 v[0:1], null, s7, 36, v[0:1]
	s_mul_i32 s5, s5, s24
	v_bfe_u32 v23, v14, 3, 2
	v_dual_mov_b32 v19, 0 :: v_dual_and_b32 v24, 4, v14
	v_lshrrev_b32_e32 v25, 1, v2
	v_lshlrev_b32_e32 v26, 2, v2
	v_mad_co_u64_u32 v[0:1], null, v3, 36, v[0:1]
	s_mul_i32 s4, s29, s4
	s_add_co_i32 s5, s5, s30
	s_mov_b32 s7, 0xf6eaddcf
	s_add_co_i32 s5, s4, s5
	v_add_co_u32 v0, vcc_lo, s10, v0
	s_delay_alu instid0(VALU_DEP_1)
	v_add_co_ci_u32_e64 v1, null, s11, v1, vcc_lo
	s_mov_b32 s10, 0x71594535
	v_add_co_u32 v12, vcc_lo, v0, 32
	s_wait_alu 0xfffd
	v_add_co_ci_u32_e64 v13, null, 0, v1, vcc_lo
	s_mov_b32 s11, 0x4040404
	s_branch .LBB241_12
.LBB241_11:                             ;   in Loop: Header=BB241_12 Depth=1
	s_wait_loadcnt 0x2
	v_and_b32_e32 v30, 0x7070707, v4
	v_ashrrev_i32_e32 v31, 4, v4
	v_lshrrev_b32_e32 v4, 1, v4
	v_add_nc_u32_e32 v22, 32, v22
	v_add_co_u32 v12, s4, 0x2400, v12
	v_perm_b32 v32, s7, 0xbfad9881, v30
	v_and_b32_e32 v33, 0x7070707, v31
	v_perm_b32 v30, s10, 0x26190d01, v30
	v_lshrrev_b32_e32 v31, 1, v31
	v_and_or_b32 v4, v4, s11, 0x3020100
	v_cmp_le_u32_e32 vcc_lo, s15, v22
	v_perm_b32 v34, s7, 0xbfad9881, v33
	v_perm_b32 v33, s10, 0x26190d01, v33
	v_and_or_b32 v31, v31, s11, 0x3020100
	v_perm_b32 v4, v30, v32, v4
	v_and_b32_e32 v30, 0x7070707, v5
	v_ashrrev_i32_e32 v32, 4, v5
	v_lshrrev_b32_e32 v5, 1, v5
	v_perm_b32 v31, v33, v34, v31
	v_dot4_i32_iu8 v4, v4, v9, 0 neg_lo:[1,1,0]
	v_perm_b32 v9, s7, 0xbfad9881, v30
	v_perm_b32 v30, s10, 0x26190d01, v30
	v_and_or_b32 v5, v5, s11, 0x3020100
	v_and_b32_e32 v33, 0x7070707, v32
	v_lshrrev_b32_e32 v32, 1, v32
	v_dot4_i32_iu8 v1, v31, v1, v4 neg_lo:[1,1,0]
	s_wait_alu 0xf1ff
	v_add_co_ci_u32_e64 v13, null, 0, v13, s4
	v_perm_b32 v5, v30, v9, v5
	v_perm_b32 v4, s7, 0xbfad9881, v33
	;; [unrolled: 1-line block ×3, first 2 shown]
	v_and_or_b32 v32, v32, s11, 0x3020100
	v_and_b32_e32 v9, 0x7070707, v6
	v_ashrrev_i32_e32 v30, 4, v6
	v_dot4_i32_iu8 v1, v5, v10, v1 neg_lo:[1,1,0]
	v_lshrrev_b32_e32 v5, 1, v6
	v_perm_b32 v4, v31, v4, v32
	v_perm_b32 v6, s7, 0xbfad9881, v9
	v_and_b32_e32 v10, 0x7070707, v30
	v_perm_b32 v9, s10, 0x26190d01, v9
	v_lshrrev_b32_e32 v30, 1, v30
	v_and_or_b32 v5, v5, s11, 0x3020100
	v_dot4_i32_iu8 v1, v4, v2, v1 neg_lo:[1,1,0]
	v_perm_b32 v2, s7, 0xbfad9881, v10
	v_perm_b32 v4, s10, 0x26190d01, v10
	v_and_or_b32 v10, v30, s11, 0x3020100
	v_perm_b32 v5, v9, v6, v5
	v_ashrrev_i32_e32 v6, 4, v7
	s_wait_loadcnt 0x0
	v_lshrrev_b32_e32 v9, 16, v28
	s_or_b32 s13, vcc_lo, s13
	v_perm_b32 v2, v4, v2, v10
	v_dot4_i32_iu8 v1, v5, v11, v1 neg_lo:[1,1,0]
	v_and_b32_e32 v4, 0x7070707, v7
	v_and_b32_e32 v5, 0x7070707, v6
	v_lshrrev_b32_e32 v6, 1, v6
	v_and_b32_e32 v10, 0xff, v29
	v_dot4_i32_iu8 v1, v2, v3, v1 neg_lo:[1,1,0]
	v_lshrrev_b32_e32 v2, 1, v7
	v_perm_b32 v3, s7, 0xbfad9881, v4
	v_perm_b32 v4, s10, 0x26190d01, v4
	v_lshrrev_b32_e32 v9, v25, v9
	v_perm_b32 v7, s7, 0xbfad9881, v5
	v_and_or_b32 v2, v2, s11, 0x3020100
	v_perm_b32 v5, s10, 0x26190d01, v5
	s_delay_alu instid0(VALU_DEP_2) | instskip(SKIP_3) | instid1(VALU_DEP_4)
	v_perm_b32 v2, v4, v3, v2
	v_and_or_b32 v3, v6, s11, 0x3020100
	v_bfe_u32 v4, v10, v24, 4
	v_lshlrev_b32_e32 v6, 4, v9
	v_dot4_i32_iu8 v0, v2, v0, v1 neg_lo:[1,1,0]
	s_delay_alu instid0(VALU_DEP_4) | instskip(NEXT) | instid1(VALU_DEP_3)
	v_perm_b32 v3, v5, v7, v3
	v_and_or_b32 v1, v6, 48, v4
	s_delay_alu instid0(VALU_DEP_2) | instskip(NEXT) | instid1(VALU_DEP_2)
	v_dot4_i32_iu8 v0, v3, v27, v0 neg_lo:[1,1,0]
	v_subrev_nc_u32_e32 v1, 32, v1
	s_delay_alu instid0(VALU_DEP_1) | instskip(SKIP_1) | instid1(VALU_DEP_1)
	v_mul_lo_u32 v0, v1, v0
	v_cvt_f32_f16_e32 v1, v28
	v_mul_f32_e32 v1, v1, v8
	s_delay_alu instid0(VALU_DEP_3) | instskip(NEXT) | instid1(VALU_DEP_1)
	v_cvt_f32_i32_e32 v0, v0
	v_fmac_f32_e32 v21, v1, v0
	s_and_not1_b32 exec_lo, exec_lo, s13
	s_cbranch_execz .LBB241_14
.LBB241_12:                             ; =>This Inner Loop Header: Depth=1
	v_add_nc_u32_e32 v30, s5, v22
	s_delay_alu instid0(VALU_DEP_1) | instskip(NEXT) | instid1(VALU_DEP_1)
	v_mad_co_i64_i32 v[31:32], null, 0x88, v30, s[8:9]
	v_add_co_u32 v4, vcc_lo, v31, v26
	s_wait_alu 0xfffd
	s_delay_alu instid0(VALU_DEP_2)
	v_add_co_ci_u32_e64 v5, null, 0, v32, vcc_lo
	v_add_co_u32 v28, vcc_lo, v31, v23
	s_wait_alu 0xfffd
	v_add_co_ci_u32_e64 v29, null, 0, v32, vcc_lo
	s_clause 0x2
	global_load_b128 v[8:11], v[12:13], off offset:-32
	global_load_b128 v[0:3], v[12:13], off offset:-16
	global_load_b32 v27, v[12:13], off
	s_clause 0x2
	global_load_b128 v[4:7], v[4:5], off offset:8
	global_load_u8 v29, v[28:29], off offset:4
	global_load_b32 v28, v[31:32], off
	s_and_not1_b32 vcc_lo, exec_lo, s14
	s_wait_loadcnt 0x5
	v_cvt_f32_f16_e32 v8, v8
	s_wait_alu 0xfffe
	s_cbranch_vccnz .LBB241_11
; %bb.13:                               ;   in Loop: Header=BB241_12 Depth=1
	v_mad_co_i64_i32 v[34:35], null, 0x88, v30, s[16:17]
	s_delay_alu instid0(VALU_DEP_1) | instskip(SKIP_1) | instid1(VALU_DEP_2)
	v_add_co_u32 v30, vcc_lo, v34, v26
	s_wait_alu 0xfffd
	v_add_co_ci_u32_e64 v31, null, 0, v35, vcc_lo
	v_add_co_u32 v36, vcc_lo, v34, v23
	s_wait_alu 0xfffd
	v_add_co_ci_u32_e64 v37, null, 0, v35, vcc_lo
	s_clause 0x2
	global_load_b128 v[30:33], v[30:31], off offset:8
	global_load_u8 v36, v[36:37], off offset:4
	global_load_b32 v34, v[34:35], off
	s_wait_loadcnt 0x2
	v_ashrrev_i32_e32 v35, 4, v30
	v_and_b32_e32 v37, 0x7070707, v30
	v_lshrrev_b32_e32 v30, 1, v30
	v_ashrrev_i32_e32 v38, 4, v31
	v_and_b32_e32 v39, 0x7070707, v31
	v_and_b32_e32 v46, 0x7070707, v35
	v_perm_b32 v45, s7, 0xbfad9881, v37
	v_perm_b32 v37, s10, 0x26190d01, v37
	v_and_or_b32 v30, v30, s11, 0x3020100
	v_lshrrev_b32_e32 v35, 1, v35
	v_lshrrev_b32_e32 v31, 1, v31
	v_perm_b32 v51, s7, 0xbfad9881, v46
	v_perm_b32 v46, s10, 0x26190d01, v46
	;; [unrolled: 1-line block ×3, first 2 shown]
	v_and_or_b32 v35, v35, s11, 0x3020100
	v_and_b32_e32 v41, 0x7070707, v32
	v_perm_b32 v47, s7, 0xbfad9881, v39
	v_and_b32_e32 v48, 0x7070707, v38
	v_perm_b32 v39, s10, 0x26190d01, v39
	v_and_or_b32 v31, v31, s11, 0x3020100
	v_lshrrev_b32_e32 v38, 1, v38
	v_perm_b32 v35, v46, v51, v35
	v_dot4_i32_iu8 v30, v30, v9, 0 neg_lo:[1,1,0]
	v_ashrrev_i32_e32 v40, 4, v32
	v_lshrrev_b32_e32 v32, 1, v32
	v_perm_b32 v49, s7, 0xbfad9881, v41
	v_perm_b32 v37, s10, 0x26190d01, v41
	;; [unrolled: 1-line block ×5, first 2 shown]
	v_and_or_b32 v38, v38, s11, 0x3020100
	v_dot4_i32_iu8 v30, v35, v1, v30 neg_lo:[1,1,0]
	v_and_b32_e32 v50, 0x7070707, v40
	v_and_or_b32 v32, v32, s11, 0x3020100
	v_lshrrev_b32_e32 v40, 1, v40
	v_perm_b32 v38, v45, v41, v38
	v_dot4_i32_iu8 v30, v31, v10, v30 neg_lo:[1,1,0]
	v_ashrrev_i32_e32 v42, 4, v33
	v_and_b32_e32 v43, 0x7070707, v33
	v_lshrrev_b32_e32 v33, 1, v33
	s_wait_loadcnt 0x0
	v_lshrrev_b32_e32 v44, 16, v34
	v_perm_b32 v31, s7, 0xbfad9881, v50
	v_perm_b32 v41, s10, 0x26190d01, v50
	;; [unrolled: 1-line block ×3, first 2 shown]
	v_and_or_b32 v37, v40, s11, 0x3020100
	v_dot4_i32_iu8 v30, v38, v2, v30 neg_lo:[1,1,0]
	v_perm_b32 v35, s7, 0xbfad9881, v43
	v_and_b32_e32 v39, 0x7070707, v42
	v_perm_b32 v43, s10, 0x26190d01, v43
	v_and_or_b32 v33, v33, s11, 0x3020100
	v_lshrrev_b32_e32 v38, 1, v42
	v_lshrrev_b32_e32 v40, v25, v44
	v_perm_b32 v31, v41, v31, v37
	v_dot4_i32_iu8 v30, v32, v11, v30 neg_lo:[1,1,0]
	v_bfe_u32 v36, v36, v24, 4
	v_perm_b32 v32, s7, 0xbfad9881, v39
	v_perm_b32 v37, s10, 0x26190d01, v39
	;; [unrolled: 1-line block ×3, first 2 shown]
	v_and_or_b32 v35, v38, s11, 0x3020100
	v_dot4_i32_iu8 v30, v31, v3, v30 neg_lo:[1,1,0]
	v_lshlrev_b32_e32 v31, 4, v40
	s_delay_alu instid0(VALU_DEP_3) | instskip(NEXT) | instid1(VALU_DEP_3)
	v_perm_b32 v32, v37, v32, v35
	v_dot4_i32_iu8 v30, v33, v0, v30 neg_lo:[1,1,0]
	s_delay_alu instid0(VALU_DEP_3) | instskip(NEXT) | instid1(VALU_DEP_2)
	v_and_or_b32 v31, v31, 48, v36
	v_dot4_i32_iu8 v30, v32, v27, v30 neg_lo:[1,1,0]
	s_delay_alu instid0(VALU_DEP_2) | instskip(NEXT) | instid1(VALU_DEP_1)
	v_subrev_nc_u32_e32 v31, 32, v31
	v_mul_lo_u32 v30, v30, v31
	v_cvt_f32_f16_e32 v31, v34
	s_delay_alu instid0(VALU_DEP_1) | instskip(NEXT) | instid1(VALU_DEP_3)
	v_mul_f32_e32 v31, v8, v31
	v_cvt_f32_i32_e32 v30, v30
	s_delay_alu instid0(VALU_DEP_1)
	v_fmac_f32_e32 v19, v31, v30
	s_branch .LBB241_11
.LBB241_14:
	s_or_b32 exec_lo, exec_lo, s13
.LBB241_15:
	s_delay_alu instid0(SALU_CYCLE_1)
	s_or_b32 exec_lo, exec_lo, s18
	s_load_b32 s5, s[0:1], 0x30
	v_cmp_eq_u32_e64 s4, 0, v20
	s_mov_b32 s7, exec_lo
	v_cmpx_ne_u32_e32 0, v20
	s_cbranch_execz .LBB241_19
; %bb.16:
	v_add_nc_u32_e32 v0, -1, v20
	s_and_b32 vcc_lo, exec_lo, s14
	s_delay_alu instid0(VALU_DEP_1)
	v_lshlrev_b32_e32 v0, 7, v0
	s_wait_alu 0xfffe
	s_cbranch_vccz .LBB241_18
; %bb.17:
	s_delay_alu instid0(VALU_DEP_1)
	v_lshl_add_u32 v1, v15, 2, v0
	ds_store_b32 v1, v19 offset:896
.LBB241_18:
	s_delay_alu instid0(VALU_DEP_1)
	v_lshl_add_u32 v0, v15, 2, v0
	ds_store_b32 v0, v21
.LBB241_19:
	s_wait_alu 0xfffe
	s_or_b32 exec_lo, exec_lo, s7
	s_wait_loadcnt_dscnt 0x0
	s_barrier_signal -1
	s_barrier_wait -1
	global_inv scope:SCOPE_SE
	s_and_saveexec_b32 s7, s4
	s_cbranch_execz .LBB241_61
; %bb.20:
	ds_load_b32 v0, v14
	v_cmp_ne_u32_e32 vcc_lo, 1, v18
	v_add_nc_u32_e32 v1, 0x380, v14
	s_cbranch_vccnz .LBB241_22
; %bb.21:
	ds_load_b32 v2, v1
	s_wait_dscnt 0x0
	v_add_f32_e32 v19, v19, v2
.LBB241_22:
	ds_load_b32 v2, v14 offset:128
	v_cmp_ne_u32_e32 vcc_lo, 1, v18
	s_cbranch_vccnz .LBB241_24
; %bb.23:
	ds_load_b32 v3, v1 offset:128
	s_wait_dscnt 0x0
	v_add_f32_e32 v19, v19, v3
.LBB241_24:
	ds_load_b32 v3, v14 offset:256
	v_cmp_ne_u32_e32 vcc_lo, 1, v18
	s_cbranch_vccnz .LBB241_26
; %bb.25:
	ds_load_b32 v4, v1 offset:256
	s_wait_dscnt 0x0
	v_add_f32_e32 v19, v19, v4
.LBB241_26:
	;; [unrolled: 8-line block ×6, first 2 shown]
	s_wait_dscnt 0x6
	v_add_f32_e32 v0, v21, v0
	v_mbcnt_lo_u32_b32 v1, -1, 0
	s_wait_dscnt 0x5
	s_delay_alu instid0(VALU_DEP_2) | instskip(NEXT) | instid1(VALU_DEP_2)
	v_add_f32_e32 v0, v0, v2
	v_xor_b32_e32 v2, 16, v1
	s_wait_dscnt 0x4
	s_delay_alu instid0(VALU_DEP_2) | instskip(NEXT) | instid1(VALU_DEP_2)
	v_add_f32_e32 v0, v0, v3
	v_cmp_gt_i32_e32 vcc_lo, 32, v2
	v_xor_b32_e32 v3, 8, v1
	s_wait_dscnt 0x3
	s_delay_alu instid0(VALU_DEP_3)
	v_add_f32_e32 v0, v0, v4
	s_wait_alu 0xfffd
	v_cndmask_b32_e32 v2, v1, v2, vcc_lo
	v_cmp_gt_i32_e32 vcc_lo, 32, v3
	s_wait_dscnt 0x2
	s_wait_alu 0xfffd
	v_dual_add_f32 v0, v0, v5 :: v_dual_cndmask_b32 v3, v1, v3
	s_wait_dscnt 0x1
	s_delay_alu instid0(VALU_DEP_1) | instskip(SKIP_1) | instid1(VALU_DEP_1)
	v_dual_add_f32 v0, v0, v6 :: v_dual_lshlrev_b32 v3, 2, v3
	s_wait_dscnt 0x0
	v_add_f32_e32 v4, v0, v7
	v_lshlrev_b32_e32 v0, 2, v2
	ds_bpermute_b32 v2, v0, v4
	s_wait_dscnt 0x0
	v_add_f32_e32 v2, v4, v2
	v_xor_b32_e32 v4, 4, v1
	ds_bpermute_b32 v5, v3, v2
	v_cmp_gt_i32_e32 vcc_lo, 32, v4
	s_wait_alu 0xfffd
	v_cndmask_b32_e32 v4, v1, v4, vcc_lo
	s_delay_alu instid0(VALU_DEP_1)
	v_lshlrev_b32_e32 v4, 2, v4
	s_wait_dscnt 0x0
	v_add_f32_e32 v2, v2, v5
	v_xor_b32_e32 v5, 2, v1
	ds_bpermute_b32 v6, v4, v2
	v_cmp_gt_i32_e32 vcc_lo, 32, v5
	s_wait_alu 0xfffd
	v_cndmask_b32_e32 v5, v1, v5, vcc_lo
	s_wait_dscnt 0x0
	s_delay_alu instid0(VALU_DEP_1)
	v_dual_add_f32 v2, v2, v6 :: v_dual_lshlrev_b32 v5, 2, v5
	v_xor_b32_e32 v6, 1, v1
	ds_bpermute_b32 v7, v5, v2
	v_cmp_gt_i32_e32 vcc_lo, 32, v6
	s_wait_alu 0xfffd
	v_cndmask_b32_e32 v1, v1, v6, vcc_lo
	v_cmp_ne_u32_e32 vcc_lo, 1, v18
	s_delay_alu instid0(VALU_DEP_2)
	v_lshlrev_b32_e32 v6, 2, v1
	s_wait_dscnt 0x0
	v_add_f32_e32 v1, v2, v7
	ds_bpermute_b32 v2, v6, v1
	s_cbranch_vccnz .LBB241_36
; %bb.35:
	ds_bpermute_b32 v0, v0, v19
	s_wait_dscnt 0x0
	v_add_f32_e32 v0, v19, v0
	ds_bpermute_b32 v3, v3, v0
	s_wait_dscnt 0x0
	v_add_f32_e32 v0, v0, v3
	;; [unrolled: 3-line block ×5, first 2 shown]
.LBB241_36:
	v_cmp_eq_u32_e32 vcc_lo, 0, v15
	s_and_b32 exec_lo, exec_lo, vcc_lo
	s_cbranch_execz .LBB241_61
; %bb.37:
	s_wait_dscnt 0x0
	v_add_f32_e32 v0, v1, v2
	v_cmp_ne_u32_e32 vcc_lo, 1, v18
	s_delay_alu instid0(VALU_DEP_2) | instskip(NEXT) | instid1(VALU_DEP_1)
	v_add_f32_e32 v1, v17, v0
	v_cndmask_b32_e64 v0, v0, v1, s2
	s_cbranch_vccnz .LBB241_60
; %bb.38:
	v_add_f32_e32 v1, v16, v19
	s_wait_kmcnt 0x0
	s_cmp_lt_i32 s5, 2
	s_mov_b32 s2, 0
	s_delay_alu instid0(VALU_DEP_1)
	v_cndmask_b32_e64 v1, v19, v1, s3
	s_cbranch_scc1 .LBB241_43
; %bb.39:
	s_cmp_gt_i32 s5, 2
	s_cbranch_scc0 .LBB241_44
; %bb.40:
	s_cmp_eq_u32 s5, 3
	s_cbranch_scc0 .LBB241_45
; %bb.41:
	v_max_num_f32_e32 v2, v1, v1
	s_mov_b32 s3, 0xc0e00000
	s_delay_alu instid0(VALU_DEP_1) | instskip(NEXT) | instid1(VALU_DEP_1)
	v_min_num_f32_e32 v2, 0x40e00000, v2
	v_mul_f32_e32 v3, 0xbfd9db23, v2
	s_delay_alu instid0(VALU_DEP_1) | instskip(NEXT) | instid1(VALU_DEP_1)
	v_mul_f32_e32 v4, 0x3fb8aa3b, v3
	v_fma_f32 v5, 0x3fb8aa3b, v3, -v4
	v_rndne_f32_e32 v6, v4
	s_delay_alu instid0(VALU_DEP_1) | instskip(NEXT) | instid1(VALU_DEP_1)
	v_dual_fmamk_f32 v5, v3, 0x32a5705f, v5 :: v_dual_sub_f32 v4, v4, v6
	v_add_f32_e32 v4, v4, v5
	v_cvt_i32_f32_e32 v5, v6
	v_cmp_ngt_f32_e32 vcc_lo, 0xc2ce8ed0, v3
	s_delay_alu instid0(VALU_DEP_3) | instskip(NEXT) | instid1(TRANS32_DEP_1)
	v_exp_f32_e32 v4, v4
	v_ldexp_f32 v4, v4, v5
	s_wait_alu 0xfffd
	s_delay_alu instid0(VALU_DEP_1) | instskip(SKIP_2) | instid1(VALU_DEP_2)
	v_cndmask_b32_e32 v4, 0, v4, vcc_lo
	v_cmp_nlt_f32_e32 vcc_lo, 0x42b17218, v3
	s_wait_alu 0xfffd
	v_cndmask_b32_e32 v3, 0x7f800000, v4, vcc_lo
	s_delay_alu instid0(VALU_DEP_1) | instskip(NEXT) | instid1(VALU_DEP_1)
	v_add_f32_e32 v3, 1.0, v3
	v_div_scale_f32 v4, null, v3, v3, v2
	v_div_scale_f32 v7, vcc_lo, v2, v3, v2
	s_delay_alu instid0(VALU_DEP_2) | instskip(NEXT) | instid1(TRANS32_DEP_1)
	v_rcp_f32_e32 v5, v4
	v_fma_f32 v6, -v4, v5, 1.0
	s_delay_alu instid0(VALU_DEP_1) | instskip(NEXT) | instid1(VALU_DEP_1)
	v_fmac_f32_e32 v5, v6, v5
	v_mul_f32_e32 v6, v7, v5
	s_delay_alu instid0(VALU_DEP_1) | instskip(NEXT) | instid1(VALU_DEP_1)
	v_fma_f32 v8, -v4, v6, v7
	v_fmac_f32_e32 v6, v8, v5
	s_delay_alu instid0(VALU_DEP_1) | instskip(SKIP_1) | instid1(VALU_DEP_1)
	v_fma_f32 v4, -v4, v6, v7
	s_wait_alu 0xfffd
	v_div_fmas_f32 v4, v4, v5, v6
	s_delay_alu instid0(VALU_DEP_1) | instskip(SKIP_2) | instid1(VALU_DEP_1)
	v_div_fixup_f32 v2, v4, v3, v2
	v_max_num_f32_e32 v7, v0, v0
	s_wait_alu 0xfffe
	v_minmax_num_f32 v5, v7, 0x40e00000, s3
	s_mov_b32 s3, 0
	s_delay_alu instid0(VALU_DEP_1) | instskip(NEXT) | instid1(VALU_DEP_1)
	v_add_f32_e32 v3, 1.0, v5
	v_mul_f32_e32 v2, v3, v2
	s_branch .LBB241_46
.LBB241_42:
                                        ; implicit-def: $sgpr29
	s_clause 0x1
	s_load_b32 s30, s[0:1], 0x50
	s_load_b32 s28, s[0:1], 0x78
	s_branch .LBB241_2
.LBB241_43:
	s_mov_b32 s3, 0
                                        ; implicit-def: $vgpr2
	s_cbranch_execnz .LBB241_50
	s_branch .LBB241_51
.LBB241_44:
	s_mov_b32 s4, -1
	s_mov_b32 s3, 0
                                        ; implicit-def: $vgpr2
	s_branch .LBB241_47
.LBB241_45:
	s_mov_b32 s3, -1
                                        ; implicit-def: $vgpr2
.LBB241_46:
	s_mov_b32 s4, 0
.LBB241_47:
	s_wait_alu 0xfffe
	s_and_b32 vcc_lo, exec_lo, s4
	s_wait_alu 0xfffe
	s_cbranch_vccz .LBB241_49
; %bb.48:
	v_mul_f32_e32 v2, 0xbfb8aa3b, v1
	v_cmp_nlt_f32_e32 vcc_lo, 0x42ce8ed0, v1
	s_delay_alu instid0(VALU_DEP_2) | instskip(SKIP_1) | instid1(VALU_DEP_2)
	v_rndne_f32_e32 v3, v2
	v_fma_f32 v4, 0xbfb8aa3b, v1, -v2
	v_sub_f32_e32 v2, v2, v3
	s_delay_alu instid0(VALU_DEP_2) | instskip(SKIP_1) | instid1(VALU_DEP_2)
	v_fmamk_f32 v4, v1, 0xb2a5705f, v4
	v_cvt_i32_f32_e32 v3, v3
	v_add_f32_e32 v2, v2, v4
	s_delay_alu instid0(VALU_DEP_1) | instskip(NEXT) | instid1(TRANS32_DEP_1)
	v_exp_f32_e32 v2, v2
	v_ldexp_f32 v2, v2, v3
	s_wait_alu 0xfffd
	s_delay_alu instid0(VALU_DEP_1) | instskip(SKIP_2) | instid1(VALU_DEP_2)
	v_cndmask_b32_e32 v2, 0, v2, vcc_lo
	v_cmp_ngt_f32_e32 vcc_lo, 0xc2b17218, v1
	s_wait_alu 0xfffd
	v_cndmask_b32_e32 v2, 0x7f800000, v2, vcc_lo
	s_delay_alu instid0(VALU_DEP_1) | instskip(NEXT) | instid1(VALU_DEP_1)
	v_add_f32_e32 v2, 1.0, v2
	v_div_scale_f32 v3, null, v2, v2, v1
	s_delay_alu instid0(VALU_DEP_1) | instskip(NEXT) | instid1(TRANS32_DEP_1)
	v_rcp_f32_e32 v4, v3
	v_fma_f32 v5, -v3, v4, 1.0
	s_delay_alu instid0(VALU_DEP_1) | instskip(SKIP_1) | instid1(VALU_DEP_1)
	v_fmac_f32_e32 v4, v5, v4
	v_div_scale_f32 v5, vcc_lo, v1, v2, v1
	v_mul_f32_e32 v6, v5, v4
	s_delay_alu instid0(VALU_DEP_1) | instskip(NEXT) | instid1(VALU_DEP_1)
	v_fma_f32 v7, -v3, v6, v5
	v_fmac_f32_e32 v6, v7, v4
	s_delay_alu instid0(VALU_DEP_1) | instskip(SKIP_1) | instid1(VALU_DEP_1)
	v_fma_f32 v3, -v3, v6, v5
	s_wait_alu 0xfffd
	v_div_fmas_f32 v3, v3, v4, v6
	s_delay_alu instid0(VALU_DEP_1) | instskip(NEXT) | instid1(VALU_DEP_1)
	v_div_fixup_f32 v2, v3, v2, v1
	v_mul_f32_e32 v2, v0, v2
.LBB241_49:
	s_branch .LBB241_51
.LBB241_50:
	s_cmp_lg_u32 s5, 1
	s_mov_b32 s2, -1
	s_cselect_b32 s3, -1, 0
.LBB241_51:
	s_wait_alu 0xfffe
	s_and_not1_b32 vcc_lo, exec_lo, s3
	s_wait_alu 0xfffe
	s_cbranch_vccz .LBB241_53
; %bb.52:
	s_and_not1_b32 vcc_lo, exec_lo, s2
	s_wait_alu 0xfffe
	s_cbranch_vccz .LBB241_54
	s_branch .LBB241_59
.LBB241_53:
	v_mul_f32_e32 v2, v1, v0
	s_cbranch_execnz .LBB241_59
.LBB241_54:
	v_mul_f32_e32 v2, 0x3d372713, v1
	v_mul_f32_e32 v3, 0x3f4c422a, v1
	s_delay_alu instid0(VALU_DEP_2) | instskip(NEXT) | instid1(VALU_DEP_1)
	v_fma_f32 v2, v1, v2, 1.0
	v_mul_f32_e32 v2, v3, v2
                                        ; implicit-def: $vgpr3
	s_delay_alu instid0(VALU_DEP_1)
	v_cmp_ngt_f32_e64 s2, 0x3f200000, |v2|
	s_and_saveexec_b32 s3, s2
	s_wait_alu 0xfffe
	s_xor_b32 s2, exec_lo, s3
	s_cbranch_execz .LBB241_56
; %bb.55:
	v_add_f32_e64 v3, |v2|, |v2|
	s_delay_alu instid0(VALU_DEP_1) | instskip(SKIP_1) | instid1(VALU_DEP_2)
	v_mul_f32_e32 v4, 0x3fb8aa3b, v3
	v_cmp_ngt_f32_e32 vcc_lo, 0xc2ce8ed0, v3
	v_rndne_f32_e32 v5, v4
	v_fma_f32 v6, 0x3fb8aa3b, v3, -v4
	s_delay_alu instid0(VALU_DEP_2) | instskip(NEXT) | instid1(VALU_DEP_2)
	v_sub_f32_e32 v4, v4, v5
	v_fmamk_f32 v6, v3, 0x32a5705f, v6
	v_cvt_i32_f32_e32 v5, v5
	s_delay_alu instid0(VALU_DEP_2) | instskip(NEXT) | instid1(VALU_DEP_1)
	v_add_f32_e32 v4, v4, v6
	v_exp_f32_e32 v4, v4
	s_delay_alu instid0(TRANS32_DEP_1) | instskip(SKIP_1) | instid1(VALU_DEP_1)
	v_ldexp_f32 v4, v4, v5
	s_wait_alu 0xfffd
	v_cndmask_b32_e32 v4, 0, v4, vcc_lo
	v_cmp_nlt_f32_e32 vcc_lo, 0x42b17218, v3
	s_wait_alu 0xfffd
	s_delay_alu instid0(VALU_DEP_2) | instskip(NEXT) | instid1(VALU_DEP_1)
	v_cndmask_b32_e32 v3, 0x7f800000, v4, vcc_lo
	v_add_f32_e32 v3, 1.0, v3
	s_delay_alu instid0(VALU_DEP_1) | instskip(NEXT) | instid1(TRANS32_DEP_1)
	v_rcp_f32_e32 v3, v3
	v_fma_f32 v3, v3, -2.0, 1.0
.LBB241_56:
	s_wait_alu 0xfffe
	s_and_not1_saveexec_b32 s2, s2
	s_cbranch_execz .LBB241_58
; %bb.57:
	v_mul_f32_e32 v3, v2, v2
	s_mov_b32 s3, 0xbbbac73d
	s_wait_alu 0xfffe
	s_delay_alu instid0(VALU_DEP_1) | instskip(NEXT) | instid1(VALU_DEP_1)
	v_fmaak_f32 v4, s3, v3, 0x3ca908c9
	v_fmaak_f32 v4, v3, v4, 0xbd5c1c4e
	s_delay_alu instid0(VALU_DEP_1) | instskip(NEXT) | instid1(VALU_DEP_1)
	v_fmaak_f32 v4, v3, v4, 0x3e088382
	v_fmaak_f32 v4, v3, v4, 0xbeaaaa99
	s_delay_alu instid0(VALU_DEP_1) | instskip(NEXT) | instid1(VALU_DEP_1)
	v_mul_f32_e64 v4, |v2|, v4
	v_fma_f32 v3, v3, v4, |v2|
.LBB241_58:
	s_wait_alu 0xfffe
	s_or_b32 exec_lo, exec_lo, s2
	s_delay_alu instid0(VALU_DEP_1) | instskip(NEXT) | instid1(VALU_DEP_1)
	v_bfi_b32 v2, 0x7fffffff, v3, v2
	v_dual_mul_f32 v1, 0.5, v1 :: v_dual_add_f32 v2, 1.0, v2
	s_delay_alu instid0(VALU_DEP_1) | instskip(NEXT) | instid1(VALU_DEP_1)
	v_mul_f32_e32 v1, v1, v2
	v_mul_f32_e32 v2, v0, v1
.LBB241_59:
	s_delay_alu instid0(VALU_DEP_1)
	v_mov_b32_e32 v0, v2
.LBB241_60:
	s_load_b64 s[0:1], s[0:1], 0x38
	s_mul_i32 s2, s6, s27
	s_wait_kmcnt 0x0
	s_mul_i32 s3, s26, s21
	s_wait_alu 0xfffe
	s_add_co_i32 s2, s2, ttmp9
	s_wait_alu 0xfffe
	s_add_co_i32 s2, s2, s3
	s_mov_b32 s3, 0
	s_wait_alu 0xfffe
	s_lshl_b64 s[2:3], s[2:3], 2
	s_wait_alu 0xfffe
	s_add_nc_u64 s[0:1], s[0:1], s[2:3]
	global_store_b32 v14, v0, s[0:1]
.LBB241_61:
	s_endpgm
	.section	.rodata,"a",@progbits
	.p2align	6, 0x0
	.amdhsa_kernel _ZL13mul_mat_vec_qIL9ggml_type23ELi1ELb1ELb1EEvPKvS2_PKi31ggml_cuda_mm_fusion_args_devicePfj15HIP_vector_typeIjLj3EEjjjS8_jjjS8_jjjj
		.amdhsa_group_segment_fixed_size 1792
		.amdhsa_private_segment_fixed_size 0
		.amdhsa_kernarg_size 144
		.amdhsa_user_sgpr_count 2
		.amdhsa_user_sgpr_dispatch_ptr 0
		.amdhsa_user_sgpr_queue_ptr 0
		.amdhsa_user_sgpr_kernarg_segment_ptr 1
		.amdhsa_user_sgpr_dispatch_id 0
		.amdhsa_user_sgpr_private_segment_size 0
		.amdhsa_wavefront_size32 1
		.amdhsa_uses_dynamic_stack 0
		.amdhsa_enable_private_segment 0
		.amdhsa_system_sgpr_workgroup_id_x 1
		.amdhsa_system_sgpr_workgroup_id_y 1
		.amdhsa_system_sgpr_workgroup_id_z 1
		.amdhsa_system_sgpr_workgroup_info 0
		.amdhsa_system_vgpr_workitem_id 1
		.amdhsa_next_free_vgpr 52
		.amdhsa_next_free_sgpr 38
		.amdhsa_reserve_vcc 1
		.amdhsa_float_round_mode_32 0
		.amdhsa_float_round_mode_16_64 0
		.amdhsa_float_denorm_mode_32 3
		.amdhsa_float_denorm_mode_16_64 3
		.amdhsa_fp16_overflow 0
		.amdhsa_workgroup_processor_mode 1
		.amdhsa_memory_ordered 1
		.amdhsa_forward_progress 1
		.amdhsa_inst_pref_size 32
		.amdhsa_round_robin_scheduling 0
		.amdhsa_exception_fp_ieee_invalid_op 0
		.amdhsa_exception_fp_denorm_src 0
		.amdhsa_exception_fp_ieee_div_zero 0
		.amdhsa_exception_fp_ieee_overflow 0
		.amdhsa_exception_fp_ieee_underflow 0
		.amdhsa_exception_fp_ieee_inexact 0
		.amdhsa_exception_int_div_zero 0
	.end_amdhsa_kernel
	.section	.text._ZL13mul_mat_vec_qIL9ggml_type23ELi1ELb1ELb1EEvPKvS2_PKi31ggml_cuda_mm_fusion_args_devicePfj15HIP_vector_typeIjLj3EEjjjS8_jjjS8_jjjj,"axG",@progbits,_ZL13mul_mat_vec_qIL9ggml_type23ELi1ELb1ELb1EEvPKvS2_PKi31ggml_cuda_mm_fusion_args_devicePfj15HIP_vector_typeIjLj3EEjjjS8_jjjS8_jjjj,comdat
.Lfunc_end241:
	.size	_ZL13mul_mat_vec_qIL9ggml_type23ELi1ELb1ELb1EEvPKvS2_PKi31ggml_cuda_mm_fusion_args_devicePfj15HIP_vector_typeIjLj3EEjjjS8_jjjS8_jjjj, .Lfunc_end241-_ZL13mul_mat_vec_qIL9ggml_type23ELi1ELb1ELb1EEvPKvS2_PKi31ggml_cuda_mm_fusion_args_devicePfj15HIP_vector_typeIjLj3EEjjjS8_jjjS8_jjjj
                                        ; -- End function
	.set _ZL13mul_mat_vec_qIL9ggml_type23ELi1ELb1ELb1EEvPKvS2_PKi31ggml_cuda_mm_fusion_args_devicePfj15HIP_vector_typeIjLj3EEjjjS8_jjjS8_jjjj.num_vgpr, 52
	.set _ZL13mul_mat_vec_qIL9ggml_type23ELi1ELb1ELb1EEvPKvS2_PKi31ggml_cuda_mm_fusion_args_devicePfj15HIP_vector_typeIjLj3EEjjjS8_jjjS8_jjjj.num_agpr, 0
	.set _ZL13mul_mat_vec_qIL9ggml_type23ELi1ELb1ELb1EEvPKvS2_PKi31ggml_cuda_mm_fusion_args_devicePfj15HIP_vector_typeIjLj3EEjjjS8_jjjS8_jjjj.numbered_sgpr, 38
	.set _ZL13mul_mat_vec_qIL9ggml_type23ELi1ELb1ELb1EEvPKvS2_PKi31ggml_cuda_mm_fusion_args_devicePfj15HIP_vector_typeIjLj3EEjjjS8_jjjS8_jjjj.num_named_barrier, 0
	.set _ZL13mul_mat_vec_qIL9ggml_type23ELi1ELb1ELb1EEvPKvS2_PKi31ggml_cuda_mm_fusion_args_devicePfj15HIP_vector_typeIjLj3EEjjjS8_jjjS8_jjjj.private_seg_size, 0
	.set _ZL13mul_mat_vec_qIL9ggml_type23ELi1ELb1ELb1EEvPKvS2_PKi31ggml_cuda_mm_fusion_args_devicePfj15HIP_vector_typeIjLj3EEjjjS8_jjjS8_jjjj.uses_vcc, 1
	.set _ZL13mul_mat_vec_qIL9ggml_type23ELi1ELb1ELb1EEvPKvS2_PKi31ggml_cuda_mm_fusion_args_devicePfj15HIP_vector_typeIjLj3EEjjjS8_jjjS8_jjjj.uses_flat_scratch, 0
	.set _ZL13mul_mat_vec_qIL9ggml_type23ELi1ELb1ELb1EEvPKvS2_PKi31ggml_cuda_mm_fusion_args_devicePfj15HIP_vector_typeIjLj3EEjjjS8_jjjS8_jjjj.has_dyn_sized_stack, 0
	.set _ZL13mul_mat_vec_qIL9ggml_type23ELi1ELb1ELb1EEvPKvS2_PKi31ggml_cuda_mm_fusion_args_devicePfj15HIP_vector_typeIjLj3EEjjjS8_jjjS8_jjjj.has_recursion, 0
	.set _ZL13mul_mat_vec_qIL9ggml_type23ELi1ELb1ELb1EEvPKvS2_PKi31ggml_cuda_mm_fusion_args_devicePfj15HIP_vector_typeIjLj3EEjjjS8_jjjS8_jjjj.has_indirect_call, 0
	.section	.AMDGPU.csdata,"",@progbits
; Kernel info:
; codeLenInByte = 4088
; TotalNumSgprs: 40
; NumVgprs: 52
; ScratchSize: 0
; MemoryBound: 0
; FloatMode: 240
; IeeeMode: 1
; LDSByteSize: 1792 bytes/workgroup (compile time only)
; SGPRBlocks: 0
; VGPRBlocks: 6
; NumSGPRsForWavesPerEU: 40
; NumVGPRsForWavesPerEU: 52
; Occupancy: 16
; WaveLimiterHint : 0
; COMPUTE_PGM_RSRC2:SCRATCH_EN: 0
; COMPUTE_PGM_RSRC2:USER_SGPR: 2
; COMPUTE_PGM_RSRC2:TRAP_HANDLER: 0
; COMPUTE_PGM_RSRC2:TGID_X_EN: 1
; COMPUTE_PGM_RSRC2:TGID_Y_EN: 1
; COMPUTE_PGM_RSRC2:TGID_Z_EN: 1
; COMPUTE_PGM_RSRC2:TIDIG_COMP_CNT: 1
	.section	.text._ZL13mul_mat_vec_qIL9ggml_type23ELi1ELb0ELb1EEvPKvS2_PKi31ggml_cuda_mm_fusion_args_devicePfj15HIP_vector_typeIjLj3EEjjjS8_jjjS8_jjjj,"axG",@progbits,_ZL13mul_mat_vec_qIL9ggml_type23ELi1ELb0ELb1EEvPKvS2_PKi31ggml_cuda_mm_fusion_args_devicePfj15HIP_vector_typeIjLj3EEjjjS8_jjjS8_jjjj,comdat
	.globl	_ZL13mul_mat_vec_qIL9ggml_type23ELi1ELb0ELb1EEvPKvS2_PKi31ggml_cuda_mm_fusion_args_devicePfj15HIP_vector_typeIjLj3EEjjjS8_jjjS8_jjjj ; -- Begin function _ZL13mul_mat_vec_qIL9ggml_type23ELi1ELb0ELb1EEvPKvS2_PKi31ggml_cuda_mm_fusion_args_devicePfj15HIP_vector_typeIjLj3EEjjjS8_jjjS8_jjjj
	.p2align	8
	.type	_ZL13mul_mat_vec_qIL9ggml_type23ELi1ELb0ELb1EEvPKvS2_PKi31ggml_cuda_mm_fusion_args_devicePfj15HIP_vector_typeIjLj3EEjjjS8_jjjS8_jjjj,@function
_ZL13mul_mat_vec_qIL9ggml_type23ELi1ELb0ELb1EEvPKvS2_PKi31ggml_cuda_mm_fusion_args_devicePfj15HIP_vector_typeIjLj3EEjjjS8_jjjS8_jjjj: ; @_ZL13mul_mat_vec_qIL9ggml_type23ELi1ELb0ELb1EEvPKvS2_PKi31ggml_cuda_mm_fusion_args_devicePfj15HIP_vector_typeIjLj3EEjjjS8_jjjS8_jjjj
; %bb.0:
	s_clause 0x1
	s_load_b64 s[2:3], s[0:1], 0x10
	s_load_b128 s[8:11], s[0:1], 0x40
	s_and_b32 s15, ttmp7, 0xffff
	s_wait_kmcnt 0x0
	s_cmp_lg_u64 s[2:3], 0
	s_cselect_b32 s12, -1, 0
	s_cmp_eq_u64 s[2:3], 0
	s_cbranch_scc1 .LBB242_15
; %bb.1:
	s_lshl_b32 s4, s15, 2
	s_load_b32 s19, s[2:3], s4 offset:0x0
	s_clause 0x1
	s_load_b128 s[4:7], s[0:1], 0x68
	s_load_b32 s20, s[0:1], 0x50
	s_cbranch_execnz .LBB242_3
.LBB242_2:
	s_load_b64 s[2:3], s[0:1], 0x5c
	s_wait_kmcnt 0x0
	s_mul_hi_u32 s2, s2, s15
	s_delay_alu instid0(SALU_CYCLE_1) | instskip(NEXT) | instid1(SALU_CYCLE_1)
	s_add_co_i32 s2, s15, s2
	s_lshr_b32 s19, s2, s3
.LBB242_3:
	s_load_b32 s21, s[0:1], 0x78
	s_and_not1_b32 vcc_lo, exec_lo, s12
	s_mov_b32 s2, s15
	s_cbranch_vccnz .LBB242_5
; %bb.4:
	s_mul_hi_u32 s2, s9, s15
	s_delay_alu instid0(SALU_CYCLE_1) | instskip(NEXT) | instid1(SALU_CYCLE_1)
	s_add_co_i32 s2, s15, s2
	s_lshr_b32 s2, s2, s10
	s_delay_alu instid0(SALU_CYCLE_1) | instskip(NEXT) | instid1(SALU_CYCLE_1)
	s_mul_i32 s2, s2, s11
	s_sub_co_i32 s2, s15, s2
.LBB242_5:
	s_load_b96 s[12:14], s[0:1], 0x80
	v_bfe_u32 v4, v0, 10, 10
	v_dual_mov_b32 v5, 0 :: v_dual_and_b32 v2, 0x3ff, v0
	s_lshr_b32 s17, s8, 8
	s_lshr_b32 s16, ttmp7, 16
	s_mov_b32 s18, exec_lo
	s_delay_alu instid0(VALU_DEP_1) | instskip(SKIP_1) | instid1(VALU_DEP_2)
	v_lshl_add_u32 v0, v4, 5, v2
	v_lshlrev_b32_e32 v3, 2, v2
	v_lshrrev_b32_e32 v6, 3, v0
	s_delay_alu instid0(VALU_DEP_1)
	v_cmpx_gt_u32_e64 s17, v6
	s_cbranch_execz .LBB242_9
; %bb.6:
	v_lshrrev_b32_e32 v0, 3, v0
	s_wait_kmcnt 0x0
	s_mul_i32 s2, s2, s5
	s_mov_b32 s3, 0
	v_and_b32_e32 v7, 7, v2
	s_mul_u64 s[8:9], s[2:3], 36
	s_mul_i32 s2, s13, s16
	v_mad_co_u64_u32 v[0:1], null, 0x120, v0, s[8:9]
	s_load_b128 s[8:11], s[0:1], 0x0
	v_dual_mov_b32 v5, 0 :: v_dual_and_b32 v10, 28, v3
	s_mul_i32 s20, s20, ttmp9
	v_and_b32_e32 v8, 4, v3
	s_mul_i32 s4, s19, s4
	v_mad_co_u64_u32 v[0:1], null, s2, 36, v[0:1]
	s_mul_hi_u32 s2, s7, s16
	v_lshrrev_b32_e32 v9, 1, v10
	s_wait_alu 0xfffe
	s_add_co_i32 s2, s16, s2
	v_lshlrev_b32_e32 v10, 2, v10
	s_wait_alu 0xfffe
	s_lshr_b32 s2, s2, s21
	s_mov_b32 s5, 0xf6eaddcf
	v_mad_co_u64_u32 v[0:1], null, v7, 36, v[0:1]
	s_wait_alu 0xfffe
	s_mul_i32 s2, s2, s12
	v_bfe_u32 v7, v3, 3, 2
	s_wait_alu 0xfffe
	s_add_co_i32 s2, s2, s20
	s_mov_b32 s7, 0x71594535
	s_wait_alu 0xfffe
	s_add_co_i32 s4, s4, s2
	s_wait_kmcnt 0x0
	v_add_co_u32 v0, vcc_lo, s10, v0
	s_delay_alu instid0(VALU_DEP_1)
	v_add_co_ci_u32_e64 v1, null, s11, v1, vcc_lo
	s_mov_b32 s10, 0x4040404
	v_add_co_u32 v0, vcc_lo, v0, 32
	s_wait_alu 0xfffd
	v_add_co_ci_u32_e64 v1, null, 0, v1, vcc_lo
.LBB242_7:                              ; =>This Inner Loop Header: Depth=1
	v_add_nc_u32_e32 v19, s4, v6
	s_clause 0x1
	global_load_b128 v[11:14], v[0:1], off offset:-32
	global_load_b128 v[15:18], v[0:1], off offset:-16
	v_add_nc_u32_e32 v6, 32, v6
	v_mad_co_i64_i32 v[23:24], null, 0x88, v19, s[8:9]
	s_delay_alu instid0(VALU_DEP_2)
	v_cmp_le_u32_e64 s2, s17, v6
	s_or_b32 s3, s2, s3
	v_add_co_u32 v19, vcc_lo, v23, v10
	s_wait_alu 0xfffd
	v_add_co_ci_u32_e64 v20, null, 0, v24, vcc_lo
	v_add_co_u32 v25, vcc_lo, v23, v7
	s_wait_alu 0xfffd
	v_add_co_ci_u32_e64 v26, null, 0, v24, vcc_lo
	s_clause 0x2
	global_load_b128 v[19:22], v[19:20], off offset:8
	global_load_u8 v25, v[25:26], off offset:4
	global_load_b32 v23, v[23:24], off
	global_load_b32 v24, v[0:1], off
	v_add_co_u32 v0, vcc_lo, 0x2400, v0
	s_wait_alu 0xfffd
	v_add_co_ci_u32_e64 v1, null, 0, v1, vcc_lo
	s_wait_loadcnt 0x5
	v_cvt_f32_f16_e32 v11, v11
	s_wait_loadcnt 0x3
	v_ashrrev_i32_e32 v26, 4, v19
	v_and_b32_e32 v27, 0x7070707, v19
	v_lshrrev_b32_e32 v19, 1, v19
	v_ashrrev_i32_e32 v28, 4, v20
	v_and_b32_e32 v29, 0x7070707, v20
	v_and_b32_e32 v36, 0x7070707, v26
	v_perm_b32 v35, s5, 0xbfad9881, v27
	v_perm_b32 v27, s7, 0x26190d01, v27
	s_wait_alu 0xfffe
	v_and_or_b32 v19, v19, s10, 0x3020100
	v_lshrrev_b32_e32 v26, 1, v26
	v_lshrrev_b32_e32 v20, 1, v20
	v_perm_b32 v43, s5, 0xbfad9881, v36
	v_perm_b32 v36, s7, 0x26190d01, v36
	;; [unrolled: 1-line block ×3, first 2 shown]
	v_and_or_b32 v26, v26, s10, 0x3020100
	v_ashrrev_i32_e32 v32, 4, v22
	v_perm_b32 v37, s5, 0xbfad9881, v29
	v_and_b32_e32 v38, 0x7070707, v28
	v_perm_b32 v29, s7, 0x26190d01, v29
	v_and_or_b32 v20, v20, s10, 0x3020100
	v_lshrrev_b32_e32 v28, 1, v28
	v_perm_b32 v26, v36, v43, v26
	v_dot4_i32_iu8 v12, v19, v12, 0 neg_lo:[1,1,0]
	v_ashrrev_i32_e32 v30, 4, v21
	v_and_b32_e32 v31, 0x7070707, v21
	v_lshrrev_b32_e32 v21, 1, v21
	v_and_b32_e32 v42, 0x7070707, v32
	v_lshrrev_b32_e32 v27, 1, v32
	v_perm_b32 v32, s5, 0xbfad9881, v38
	v_perm_b32 v19, s7, 0x26190d01, v38
	v_perm_b32 v20, v29, v37, v20
	v_and_or_b32 v28, v28, s10, 0x3020100
	v_dot4_i32_iu8 v12, v26, v16, v12 neg_lo:[1,1,0]
	v_perm_b32 v39, s5, 0xbfad9881, v31
	v_and_b32_e32 v40, 0x7070707, v30
	v_perm_b32 v31, s7, 0x26190d01, v31
	v_and_or_b32 v21, v21, s10, 0x3020100
	v_lshrrev_b32_e32 v30, 1, v30
	v_perm_b32 v19, v19, v32, v28
	v_dot4_i32_iu8 v12, v20, v13, v12 neg_lo:[1,1,0]
	v_and_b32_e32 v33, 0x7070707, v22
	v_lshrrev_b32_e32 v22, 1, v22
	s_wait_loadcnt 0x1
	v_lshrrev_b32_e32 v34, 16, v23
	v_perm_b32 v26, s5, 0xbfad9881, v40
	v_perm_b32 v13, s7, 0x26190d01, v40
	;; [unrolled: 1-line block ×3, first 2 shown]
	v_and_or_b32 v21, v30, s10, 0x3020100
	v_dot4_i32_iu8 v12, v19, v17, v12 neg_lo:[1,1,0]
	v_perm_b32 v41, s5, 0xbfad9881, v33
	v_perm_b32 v33, s7, 0x26190d01, v33
	v_and_or_b32 v22, v22, s10, 0x3020100
	v_lshrrev_b32_e32 v16, v9, v34
	v_perm_b32 v13, v13, v26, v21
	v_dot4_i32_iu8 v12, v20, v14, v12 neg_lo:[1,1,0]
	v_bfe_u32 v25, v25, v8, 4
	v_perm_b32 v17, s5, 0xbfad9881, v42
	v_perm_b32 v19, s7, 0x26190d01, v42
	;; [unrolled: 1-line block ×3, first 2 shown]
	v_and_or_b32 v20, v27, s10, 0x3020100
	v_lshlrev_b32_e32 v16, 4, v16
	v_dot4_i32_iu8 v12, v13, v18, v12 neg_lo:[1,1,0]
	s_delay_alu instid0(VALU_DEP_3) | instskip(NEXT) | instid1(VALU_DEP_3)
	v_perm_b32 v13, v19, v17, v20
	v_and_or_b32 v16, v16, 48, v25
	s_delay_alu instid0(VALU_DEP_3) | instskip(NEXT) | instid1(VALU_DEP_2)
	v_dot4_i32_iu8 v12, v14, v15, v12 neg_lo:[1,1,0]
	v_subrev_nc_u32_e32 v14, 32, v16
	s_wait_loadcnt 0x0
	s_delay_alu instid0(VALU_DEP_2) | instskip(SKIP_1) | instid1(VALU_DEP_2)
	v_dot4_i32_iu8 v12, v13, v24, v12 neg_lo:[1,1,0]
	v_cvt_f32_f16_e32 v13, v23
	v_mul_lo_u32 v12, v14, v12
	s_delay_alu instid0(VALU_DEP_2) | instskip(NEXT) | instid1(VALU_DEP_2)
	v_mul_f32_e32 v11, v13, v11
	v_cvt_f32_i32_e32 v12, v12
	s_delay_alu instid0(VALU_DEP_1)
	v_fmac_f32_e32 v5, v11, v12
	s_and_not1_b32 exec_lo, exec_lo, s3
	s_cbranch_execnz .LBB242_7
; %bb.8:
	s_or_b32 exec_lo, exec_lo, s3
.LBB242_9:
	s_delay_alu instid0(SALU_CYCLE_1) | instskip(NEXT) | instid1(SALU_CYCLE_1)
	s_or_b32 exec_lo, exec_lo, s18
	s_mov_b32 s3, exec_lo
	v_cmp_eq_u32_e32 vcc_lo, 0, v4
	v_cmpx_ne_u32_e32 0, v4
; %bb.10:
	v_lshlrev_b32_e32 v0, 7, v4
	s_delay_alu instid0(VALU_DEP_1)
	v_add3_u32 v0, v0, v3, 0xffffff80
	ds_store_b32 v0, v5
; %bb.11:
	s_wait_alu 0xfffe
	s_or_b32 exec_lo, exec_lo, s3
	s_wait_dscnt 0x0
	s_barrier_signal -1
	s_barrier_wait -1
	global_inv scope:SCOPE_SE
	s_and_saveexec_b32 s2, vcc_lo
	s_cbranch_execz .LBB242_14
; %bb.12:
	ds_load_2addr_b32 v[0:1], v3 offset1:32
	ds_load_2addr_b32 v[6:7], v3 offset0:64 offset1:96
	ds_load_2addr_b32 v[8:9], v3 offset0:128 offset1:160
	s_mov_b32 s3, 0
	s_wait_dscnt 0x2
	v_add_f32_e32 v0, v5, v0
	s_delay_alu instid0(VALU_DEP_1) | instskip(SKIP_4) | instid1(VALU_DEP_2)
	v_add_f32_e32 v0, v0, v1
	ds_load_b32 v1, v3 offset:768
	v_mbcnt_lo_u32_b32 v3, -1, 0
	s_wait_dscnt 0x2
	v_add_f32_e32 v0, v0, v6
	v_xor_b32_e32 v4, 16, v3
	s_delay_alu instid0(VALU_DEP_2) | instskip(NEXT) | instid1(VALU_DEP_2)
	v_add_f32_e32 v0, v0, v7
	v_cmp_gt_i32_e32 vcc_lo, 32, v4
	s_wait_dscnt 0x1
	s_delay_alu instid0(VALU_DEP_2) | instskip(SKIP_2) | instid1(VALU_DEP_2)
	v_add_f32_e32 v0, v0, v8
	s_wait_alu 0xfffd
	v_cndmask_b32_e32 v4, v3, v4, vcc_lo
	v_add_f32_e32 v0, v0, v9
	s_wait_dscnt 0x0
	s_delay_alu instid0(VALU_DEP_1)
	v_dual_add_f32 v0, v0, v1 :: v_dual_lshlrev_b32 v1, 2, v4
	v_xor_b32_e32 v4, 8, v3
	ds_bpermute_b32 v1, v1, v0
	v_cmp_gt_i32_e32 vcc_lo, 32, v4
	s_wait_alu 0xfffd
	v_cndmask_b32_e32 v4, v3, v4, vcc_lo
	s_delay_alu instid0(VALU_DEP_1) | instskip(SKIP_4) | instid1(VALU_DEP_1)
	v_lshlrev_b32_e32 v4, 2, v4
	s_wait_dscnt 0x0
	v_add_f32_e32 v0, v0, v1
	ds_bpermute_b32 v1, v4, v0
	v_xor_b32_e32 v4, 4, v3
	v_cmp_gt_i32_e32 vcc_lo, 32, v4
	s_wait_alu 0xfffd
	v_cndmask_b32_e32 v4, v3, v4, vcc_lo
	s_delay_alu instid0(VALU_DEP_1) | instskip(SKIP_4) | instid1(VALU_DEP_1)
	v_lshlrev_b32_e32 v4, 2, v4
	s_wait_dscnt 0x0
	v_add_f32_e32 v0, v0, v1
	ds_bpermute_b32 v1, v4, v0
	v_xor_b32_e32 v4, 2, v3
	;; [unrolled: 9-line block ×3, first 2 shown]
	v_cmp_gt_i32_e32 vcc_lo, 32, v4
	s_wait_alu 0xfffd
	v_cndmask_b32_e32 v3, v3, v4, vcc_lo
	v_cmp_eq_u32_e32 vcc_lo, 0, v2
	s_wait_dscnt 0x0
	s_delay_alu instid0(VALU_DEP_2)
	v_dual_add_f32 v0, v0, v1 :: v_dual_lshlrev_b32 v3, 2, v3
	ds_bpermute_b32 v1, v3, v0
	s_and_b32 exec_lo, exec_lo, vcc_lo
	s_cbranch_execz .LBB242_14
; %bb.13:
	s_load_b64 s[0:1], s[0:1], 0x38
	s_wait_kmcnt 0x0
	s_mul_i32 s2, s6, s15
	s_mul_i32 s4, s14, s16
	s_wait_alu 0xfffe
	s_add_co_i32 s2, s2, ttmp9
	v_mov_b32_e32 v2, 0
	s_wait_alu 0xfffe
	s_add_co_i32 s2, s2, s4
	s_wait_dscnt 0x0
	v_add_f32_e32 v0, v0, v1
	s_wait_alu 0xfffe
	s_lshl_b64 s[2:3], s[2:3], 2
	s_wait_alu 0xfffe
	s_add_nc_u64 s[0:1], s[0:1], s[2:3]
	global_store_b32 v2, v0, s[0:1]
.LBB242_14:
	s_endpgm
.LBB242_15:
                                        ; implicit-def: $sgpr19
	s_clause 0x1
	s_load_b128 s[4:7], s[0:1], 0x68
	s_load_b32 s20, s[0:1], 0x50
	s_branch .LBB242_2
	.section	.rodata,"a",@progbits
	.p2align	6, 0x0
	.amdhsa_kernel _ZL13mul_mat_vec_qIL9ggml_type23ELi1ELb0ELb1EEvPKvS2_PKi31ggml_cuda_mm_fusion_args_devicePfj15HIP_vector_typeIjLj3EEjjjS8_jjjS8_jjjj
		.amdhsa_group_segment_fixed_size 896
		.amdhsa_private_segment_fixed_size 0
		.amdhsa_kernarg_size 144
		.amdhsa_user_sgpr_count 2
		.amdhsa_user_sgpr_dispatch_ptr 0
		.amdhsa_user_sgpr_queue_ptr 0
		.amdhsa_user_sgpr_kernarg_segment_ptr 1
		.amdhsa_user_sgpr_dispatch_id 0
		.amdhsa_user_sgpr_private_segment_size 0
		.amdhsa_wavefront_size32 1
		.amdhsa_uses_dynamic_stack 0
		.amdhsa_enable_private_segment 0
		.amdhsa_system_sgpr_workgroup_id_x 1
		.amdhsa_system_sgpr_workgroup_id_y 1
		.amdhsa_system_sgpr_workgroup_id_z 1
		.amdhsa_system_sgpr_workgroup_info 0
		.amdhsa_system_vgpr_workitem_id 1
		.amdhsa_next_free_vgpr 44
		.amdhsa_next_free_sgpr 22
		.amdhsa_reserve_vcc 1
		.amdhsa_float_round_mode_32 0
		.amdhsa_float_round_mode_16_64 0
		.amdhsa_float_denorm_mode_32 3
		.amdhsa_float_denorm_mode_16_64 3
		.amdhsa_fp16_overflow 0
		.amdhsa_workgroup_processor_mode 1
		.amdhsa_memory_ordered 1
		.amdhsa_forward_progress 1
		.amdhsa_inst_pref_size 14
		.amdhsa_round_robin_scheduling 0
		.amdhsa_exception_fp_ieee_invalid_op 0
		.amdhsa_exception_fp_denorm_src 0
		.amdhsa_exception_fp_ieee_div_zero 0
		.amdhsa_exception_fp_ieee_overflow 0
		.amdhsa_exception_fp_ieee_underflow 0
		.amdhsa_exception_fp_ieee_inexact 0
		.amdhsa_exception_int_div_zero 0
	.end_amdhsa_kernel
	.section	.text._ZL13mul_mat_vec_qIL9ggml_type23ELi1ELb0ELb1EEvPKvS2_PKi31ggml_cuda_mm_fusion_args_devicePfj15HIP_vector_typeIjLj3EEjjjS8_jjjS8_jjjj,"axG",@progbits,_ZL13mul_mat_vec_qIL9ggml_type23ELi1ELb0ELb1EEvPKvS2_PKi31ggml_cuda_mm_fusion_args_devicePfj15HIP_vector_typeIjLj3EEjjjS8_jjjS8_jjjj,comdat
.Lfunc_end242:
	.size	_ZL13mul_mat_vec_qIL9ggml_type23ELi1ELb0ELb1EEvPKvS2_PKi31ggml_cuda_mm_fusion_args_devicePfj15HIP_vector_typeIjLj3EEjjjS8_jjjS8_jjjj, .Lfunc_end242-_ZL13mul_mat_vec_qIL9ggml_type23ELi1ELb0ELb1EEvPKvS2_PKi31ggml_cuda_mm_fusion_args_devicePfj15HIP_vector_typeIjLj3EEjjjS8_jjjS8_jjjj
                                        ; -- End function
	.set _ZL13mul_mat_vec_qIL9ggml_type23ELi1ELb0ELb1EEvPKvS2_PKi31ggml_cuda_mm_fusion_args_devicePfj15HIP_vector_typeIjLj3EEjjjS8_jjjS8_jjjj.num_vgpr, 44
	.set _ZL13mul_mat_vec_qIL9ggml_type23ELi1ELb0ELb1EEvPKvS2_PKi31ggml_cuda_mm_fusion_args_devicePfj15HIP_vector_typeIjLj3EEjjjS8_jjjS8_jjjj.num_agpr, 0
	.set _ZL13mul_mat_vec_qIL9ggml_type23ELi1ELb0ELb1EEvPKvS2_PKi31ggml_cuda_mm_fusion_args_devicePfj15HIP_vector_typeIjLj3EEjjjS8_jjjS8_jjjj.numbered_sgpr, 22
	.set _ZL13mul_mat_vec_qIL9ggml_type23ELi1ELb0ELb1EEvPKvS2_PKi31ggml_cuda_mm_fusion_args_devicePfj15HIP_vector_typeIjLj3EEjjjS8_jjjS8_jjjj.num_named_barrier, 0
	.set _ZL13mul_mat_vec_qIL9ggml_type23ELi1ELb0ELb1EEvPKvS2_PKi31ggml_cuda_mm_fusion_args_devicePfj15HIP_vector_typeIjLj3EEjjjS8_jjjS8_jjjj.private_seg_size, 0
	.set _ZL13mul_mat_vec_qIL9ggml_type23ELi1ELb0ELb1EEvPKvS2_PKi31ggml_cuda_mm_fusion_args_devicePfj15HIP_vector_typeIjLj3EEjjjS8_jjjS8_jjjj.uses_vcc, 1
	.set _ZL13mul_mat_vec_qIL9ggml_type23ELi1ELb0ELb1EEvPKvS2_PKi31ggml_cuda_mm_fusion_args_devicePfj15HIP_vector_typeIjLj3EEjjjS8_jjjS8_jjjj.uses_flat_scratch, 0
	.set _ZL13mul_mat_vec_qIL9ggml_type23ELi1ELb0ELb1EEvPKvS2_PKi31ggml_cuda_mm_fusion_args_devicePfj15HIP_vector_typeIjLj3EEjjjS8_jjjS8_jjjj.has_dyn_sized_stack, 0
	.set _ZL13mul_mat_vec_qIL9ggml_type23ELi1ELb0ELb1EEvPKvS2_PKi31ggml_cuda_mm_fusion_args_devicePfj15HIP_vector_typeIjLj3EEjjjS8_jjjS8_jjjj.has_recursion, 0
	.set _ZL13mul_mat_vec_qIL9ggml_type23ELi1ELb0ELb1EEvPKvS2_PKi31ggml_cuda_mm_fusion_args_devicePfj15HIP_vector_typeIjLj3EEjjjS8_jjjS8_jjjj.has_indirect_call, 0
	.section	.AMDGPU.csdata,"",@progbits
; Kernel info:
; codeLenInByte = 1764
; TotalNumSgprs: 24
; NumVgprs: 44
; ScratchSize: 0
; MemoryBound: 0
; FloatMode: 240
; IeeeMode: 1
; LDSByteSize: 896 bytes/workgroup (compile time only)
; SGPRBlocks: 0
; VGPRBlocks: 5
; NumSGPRsForWavesPerEU: 24
; NumVGPRsForWavesPerEU: 44
; Occupancy: 16
; WaveLimiterHint : 0
; COMPUTE_PGM_RSRC2:SCRATCH_EN: 0
; COMPUTE_PGM_RSRC2:USER_SGPR: 2
; COMPUTE_PGM_RSRC2:TRAP_HANDLER: 0
; COMPUTE_PGM_RSRC2:TGID_X_EN: 1
; COMPUTE_PGM_RSRC2:TGID_Y_EN: 1
; COMPUTE_PGM_RSRC2:TGID_Z_EN: 1
; COMPUTE_PGM_RSRC2:TIDIG_COMP_CNT: 1
	.section	.text._ZL13mul_mat_vec_qIL9ggml_type23ELi1ELb1ELb0EEvPKvS2_PKi31ggml_cuda_mm_fusion_args_devicePfj15HIP_vector_typeIjLj3EEjjjS8_jjjS8_jjjj,"axG",@progbits,_ZL13mul_mat_vec_qIL9ggml_type23ELi1ELb1ELb0EEvPKvS2_PKi31ggml_cuda_mm_fusion_args_devicePfj15HIP_vector_typeIjLj3EEjjjS8_jjjS8_jjjj,comdat
	.globl	_ZL13mul_mat_vec_qIL9ggml_type23ELi1ELb1ELb0EEvPKvS2_PKi31ggml_cuda_mm_fusion_args_devicePfj15HIP_vector_typeIjLj3EEjjjS8_jjjS8_jjjj ; -- Begin function _ZL13mul_mat_vec_qIL9ggml_type23ELi1ELb1ELb0EEvPKvS2_PKi31ggml_cuda_mm_fusion_args_devicePfj15HIP_vector_typeIjLj3EEjjjS8_jjjS8_jjjj
	.p2align	8
	.type	_ZL13mul_mat_vec_qIL9ggml_type23ELi1ELb1ELb0EEvPKvS2_PKi31ggml_cuda_mm_fusion_args_devicePfj15HIP_vector_typeIjLj3EEjjjS8_jjjS8_jjjj,@function
_ZL13mul_mat_vec_qIL9ggml_type23ELi1ELb1ELb0EEvPKvS2_PKi31ggml_cuda_mm_fusion_args_devicePfj15HIP_vector_typeIjLj3EEjjjS8_jjjS8_jjjj: ; @_ZL13mul_mat_vec_qIL9ggml_type23ELi1ELb1ELb0EEvPKvS2_PKi31ggml_cuda_mm_fusion_args_devicePfj15HIP_vector_typeIjLj3EEjjjS8_jjjS8_jjjj
; %bb.0:
	s_clause 0x3
	s_load_b256 s[8:15], s[0:1], 0x0
	s_load_b128 s[16:19], s[0:1], 0x20
	s_load_b128 s[20:23], s[0:1], 0x40
	;; [unrolled: 1-line block ×3, first 2 shown]
	s_and_b32 s27, ttmp7, 0xffff
	s_wait_kmcnt 0x0
	s_cmp_lg_u64 s[12:13], 0
	s_cselect_b32 s2, -1, 0
	s_cmp_eq_u64 s[12:13], 0
	s_cbranch_scc1 .LBB243_42
; %bb.1:
	s_lshl_b32 s3, s27, 2
	s_load_b32 s29, s[12:13], s3 offset:0x0
	s_clause 0x1
	s_load_b32 s30, s[0:1], 0x50
	s_load_b32 s28, s[0:1], 0x78
	s_cbranch_execnz .LBB243_3
.LBB243_2:
	s_load_b64 s[12:13], s[0:1], 0x5c
	s_wait_kmcnt 0x0
	s_mul_hi_u32 s3, s12, s27
	s_delay_alu instid0(SALU_CYCLE_1) | instskip(NEXT) | instid1(SALU_CYCLE_1)
	s_add_co_i32 s3, s27, s3
	s_lshr_b32 s29, s3, s13
.LBB243_3:
	s_and_not1_b32 vcc_lo, exec_lo, s2
	s_mov_b32 s3, s27
	s_mov_b32 s31, s27
	s_cbranch_vccnz .LBB243_5
; %bb.4:
	s_mul_hi_u32 s2, s21, s27
	s_wait_kmcnt 0x0
	s_mov_b32 s3, s29
	s_add_co_i32 s2, s27, s2
	s_delay_alu instid0(SALU_CYCLE_1) | instskip(NEXT) | instid1(SALU_CYCLE_1)
	s_lshr_b32 s2, s2, s22
	s_mul_i32 s2, s2, s23
	s_delay_alu instid0(SALU_CYCLE_1)
	s_sub_co_i32 s31, s27, s2
.LBB243_5:
	s_load_b96 s[24:26], s[0:1], 0x80
	v_bfe_u32 v20, v0, 10, 10
	v_dual_mov_b32 v16, 0 :: v_dual_and_b32 v15, 0x3ff, v0
	s_lshr_b32 s21, ttmp7, 16
	s_cmp_lg_u64 s[14:15], 0
	s_delay_alu instid0(VALU_DEP_1) | instskip(SKIP_4) | instid1(VALU_DEP_1)
	v_dual_mov_b32 v17, 0 :: v_dual_lshlrev_b32 v14, 2, v15
	v_or_b32_e32 v0, v15, v20
	s_cselect_b32 s2, -1, 0
	s_mov_b32 s23, 0
	s_mul_i32 s12, s3, s6
	v_cmp_eq_u32_e32 vcc_lo, 0, v0
	s_and_b32 s13, s2, vcc_lo
	s_delay_alu instid0(SALU_CYCLE_1)
	s_and_saveexec_b32 s3, s13
	s_cbranch_execz .LBB243_7
; %bb.6:
	s_wait_kmcnt 0x0
	s_mul_i32 s22, s26, s21
	s_mov_b32 s13, s23
	s_lshl_b64 s[36:37], s[22:23], 2
	s_mov_b32 s34, ttmp9
	s_add_nc_u64 s[14:15], s[14:15], s[36:37]
	s_lshl_b64 s[22:23], s[12:13], 2
	s_ashr_i32 s35, ttmp9, 31
	s_add_nc_u64 s[14:15], s[14:15], s[22:23]
	s_lshl_b64 s[22:23], s[34:35], 2
	s_delay_alu instid0(SALU_CYCLE_1)
	s_add_nc_u64 s[14:15], s[14:15], s[22:23]
	global_load_b32 v17, v14, s[14:15]
.LBB243_7:
	s_or_b32 exec_lo, exec_lo, s3
	s_cmp_lg_u64 s[16:17], 0
	s_cselect_b32 s14, -1, 0
	s_cmp_lg_u64 s[18:19], 0
	s_cselect_b32 s3, -1, 0
	s_delay_alu instid0(SALU_CYCLE_1) | instskip(NEXT) | instid1(SALU_CYCLE_1)
	s_and_b32 s13, s3, s14
	s_and_b32 s13, s13, vcc_lo
	s_delay_alu instid0(SALU_CYCLE_1)
	s_and_saveexec_b32 s15, s13
	s_cbranch_execz .LBB243_9
; %bb.8:
	s_wait_kmcnt 0x0
	s_mul_i32 s34, s26, s21
	s_mov_b32 s35, 0
	s_mov_b32 s22, ttmp9
	s_lshl_b64 s[36:37], s[34:35], 2
	s_mov_b32 s13, s35
	s_add_nc_u64 s[18:19], s[18:19], s[36:37]
	s_lshl_b64 s[12:13], s[12:13], 2
	s_ashr_i32 s23, ttmp9, 31
	s_add_nc_u64 s[12:13], s[18:19], s[12:13]
	s_lshl_b64 s[18:19], s[22:23], 2
	s_delay_alu instid0(SALU_CYCLE_1)
	s_add_nc_u64 s[12:13], s[12:13], s[18:19]
	global_load_b32 v16, v14, s[12:13]
.LBB243_9:
	s_or_b32 exec_lo, exec_lo, s15
	v_lshl_add_u32 v0, v20, 5, v15
	v_mov_b32_e32 v21, 0
	v_cndmask_b32_e64 v18, 0, 1, s14
	v_mov_b32_e32 v19, 0
	s_lshr_b32 s15, s20, 8
	v_lshrrev_b32_e32 v22, 3, v0
	s_mov_b32 s18, exec_lo
	s_wait_alu 0xfffe
	s_delay_alu instid0(VALU_DEP_1)
	v_cmpx_gt_u32_e64 s15, v22
	s_cbranch_execz .LBB243_15
; %bb.10:
	v_lshrrev_b32_e32 v0, 3, v0
	s_mul_i32 s12, s31, s5
	s_mov_b32 s13, 0
	s_mul_hi_u32 s5, s7, s21
	s_mul_u64 s[22:23], s[12:13], 36
	s_wait_kmcnt 0x0
	s_mul_i32 s7, s25, s21
	v_mad_co_u64_u32 v[0:1], null, 0x120, v0, s[22:23]
	v_and_b32_e32 v3, 7, v15
	v_dual_mov_b32 v21, 0 :: v_dual_and_b32 v2, 28, v14
	s_add_co_i32 s5, s21, s5
	s_mul_i32 s30, s30, ttmp9
	s_lshr_b32 s5, s5, s28
	s_delay_alu instid0(VALU_DEP_3)
	v_mad_co_u64_u32 v[0:1], null, s7, 36, v[0:1]
	s_mul_i32 s5, s5, s24
	v_bfe_u32 v23, v14, 3, 2
	v_dual_mov_b32 v19, 0 :: v_dual_and_b32 v24, 4, v14
	v_lshrrev_b32_e32 v25, 1, v2
	v_lshlrev_b32_e32 v26, 2, v2
	v_mad_co_u64_u32 v[0:1], null, v3, 36, v[0:1]
	s_mul_i32 s4, s29, s4
	s_add_co_i32 s5, s5, s30
	s_mov_b32 s7, 0xf6eaddcf
	s_add_co_i32 s5, s4, s5
	v_add_co_u32 v0, vcc_lo, s10, v0
	s_delay_alu instid0(VALU_DEP_1)
	v_add_co_ci_u32_e64 v1, null, s11, v1, vcc_lo
	s_mov_b32 s10, 0x71594535
	v_add_co_u32 v12, vcc_lo, v0, 32
	s_wait_alu 0xfffd
	v_add_co_ci_u32_e64 v13, null, 0, v1, vcc_lo
	s_mov_b32 s11, 0x4040404
	s_branch .LBB243_12
.LBB243_11:                             ;   in Loop: Header=BB243_12 Depth=1
	s_wait_loadcnt 0x2
	v_and_b32_e32 v30, 0x7070707, v4
	v_ashrrev_i32_e32 v31, 4, v4
	v_lshrrev_b32_e32 v4, 1, v4
	v_add_nc_u32_e32 v22, 32, v22
	v_add_co_u32 v12, s4, 0x2400, v12
	v_perm_b32 v32, s7, 0xbfad9881, v30
	v_and_b32_e32 v33, 0x7070707, v31
	v_perm_b32 v30, s10, 0x26190d01, v30
	v_lshrrev_b32_e32 v31, 1, v31
	v_and_or_b32 v4, v4, s11, 0x3020100
	v_cmp_le_u32_e32 vcc_lo, s15, v22
	v_perm_b32 v34, s7, 0xbfad9881, v33
	v_perm_b32 v33, s10, 0x26190d01, v33
	v_and_or_b32 v31, v31, s11, 0x3020100
	v_perm_b32 v4, v30, v32, v4
	v_and_b32_e32 v30, 0x7070707, v5
	v_ashrrev_i32_e32 v32, 4, v5
	v_lshrrev_b32_e32 v5, 1, v5
	v_perm_b32 v31, v33, v34, v31
	v_dot4_i32_iu8 v4, v4, v9, 0 neg_lo:[1,1,0]
	v_perm_b32 v9, s7, 0xbfad9881, v30
	v_perm_b32 v30, s10, 0x26190d01, v30
	v_and_or_b32 v5, v5, s11, 0x3020100
	v_and_b32_e32 v33, 0x7070707, v32
	v_lshrrev_b32_e32 v32, 1, v32
	v_dot4_i32_iu8 v1, v31, v1, v4 neg_lo:[1,1,0]
	s_wait_alu 0xf1ff
	v_add_co_ci_u32_e64 v13, null, 0, v13, s4
	v_perm_b32 v5, v30, v9, v5
	v_perm_b32 v4, s7, 0xbfad9881, v33
	v_perm_b32 v31, s10, 0x26190d01, v33
	v_and_or_b32 v32, v32, s11, 0x3020100
	v_and_b32_e32 v9, 0x7070707, v6
	v_ashrrev_i32_e32 v30, 4, v6
	v_dot4_i32_iu8 v1, v5, v10, v1 neg_lo:[1,1,0]
	v_lshrrev_b32_e32 v5, 1, v6
	v_perm_b32 v4, v31, v4, v32
	v_perm_b32 v6, s7, 0xbfad9881, v9
	v_and_b32_e32 v10, 0x7070707, v30
	v_perm_b32 v9, s10, 0x26190d01, v9
	v_lshrrev_b32_e32 v30, 1, v30
	v_and_or_b32 v5, v5, s11, 0x3020100
	v_dot4_i32_iu8 v1, v4, v2, v1 neg_lo:[1,1,0]
	v_perm_b32 v2, s7, 0xbfad9881, v10
	v_perm_b32 v4, s10, 0x26190d01, v10
	v_and_or_b32 v10, v30, s11, 0x3020100
	v_perm_b32 v5, v9, v6, v5
	v_ashrrev_i32_e32 v6, 4, v7
	s_wait_loadcnt 0x0
	v_lshrrev_b32_e32 v9, 16, v28
	s_or_b32 s13, vcc_lo, s13
	v_perm_b32 v2, v4, v2, v10
	v_dot4_i32_iu8 v1, v5, v11, v1 neg_lo:[1,1,0]
	v_and_b32_e32 v4, 0x7070707, v7
	v_and_b32_e32 v5, 0x7070707, v6
	v_lshrrev_b32_e32 v6, 1, v6
	v_and_b32_e32 v10, 0xff, v29
	v_dot4_i32_iu8 v1, v2, v3, v1 neg_lo:[1,1,0]
	v_lshrrev_b32_e32 v2, 1, v7
	v_perm_b32 v3, s7, 0xbfad9881, v4
	v_perm_b32 v4, s10, 0x26190d01, v4
	v_lshrrev_b32_e32 v9, v25, v9
	v_perm_b32 v7, s7, 0xbfad9881, v5
	v_and_or_b32 v2, v2, s11, 0x3020100
	v_perm_b32 v5, s10, 0x26190d01, v5
	s_delay_alu instid0(VALU_DEP_2) | instskip(SKIP_3) | instid1(VALU_DEP_4)
	v_perm_b32 v2, v4, v3, v2
	v_and_or_b32 v3, v6, s11, 0x3020100
	v_bfe_u32 v4, v10, v24, 4
	v_lshlrev_b32_e32 v6, 4, v9
	v_dot4_i32_iu8 v0, v2, v0, v1 neg_lo:[1,1,0]
	s_delay_alu instid0(VALU_DEP_4) | instskip(NEXT) | instid1(VALU_DEP_3)
	v_perm_b32 v3, v5, v7, v3
	v_and_or_b32 v1, v6, 48, v4
	s_delay_alu instid0(VALU_DEP_2) | instskip(NEXT) | instid1(VALU_DEP_2)
	v_dot4_i32_iu8 v0, v3, v27, v0 neg_lo:[1,1,0]
	v_subrev_nc_u32_e32 v1, 32, v1
	s_delay_alu instid0(VALU_DEP_1) | instskip(SKIP_1) | instid1(VALU_DEP_1)
	v_mul_lo_u32 v0, v1, v0
	v_cvt_f32_f16_e32 v1, v28
	v_mul_f32_e32 v1, v1, v8
	s_delay_alu instid0(VALU_DEP_3) | instskip(NEXT) | instid1(VALU_DEP_1)
	v_cvt_f32_i32_e32 v0, v0
	v_fmac_f32_e32 v21, v1, v0
	s_and_not1_b32 exec_lo, exec_lo, s13
	s_cbranch_execz .LBB243_14
.LBB243_12:                             ; =>This Inner Loop Header: Depth=1
	v_add_nc_u32_e32 v30, s5, v22
	s_delay_alu instid0(VALU_DEP_1) | instskip(NEXT) | instid1(VALU_DEP_1)
	v_mad_co_i64_i32 v[31:32], null, 0x88, v30, s[8:9]
	v_add_co_u32 v4, vcc_lo, v31, v26
	s_wait_alu 0xfffd
	s_delay_alu instid0(VALU_DEP_2)
	v_add_co_ci_u32_e64 v5, null, 0, v32, vcc_lo
	v_add_co_u32 v28, vcc_lo, v31, v23
	s_wait_alu 0xfffd
	v_add_co_ci_u32_e64 v29, null, 0, v32, vcc_lo
	s_clause 0x2
	global_load_b128 v[8:11], v[12:13], off offset:-32
	global_load_b128 v[0:3], v[12:13], off offset:-16
	global_load_b32 v27, v[12:13], off
	s_clause 0x2
	global_load_b128 v[4:7], v[4:5], off offset:8
	global_load_u8 v29, v[28:29], off offset:4
	global_load_b32 v28, v[31:32], off
	s_and_not1_b32 vcc_lo, exec_lo, s14
	s_wait_loadcnt 0x5
	v_cvt_f32_f16_e32 v8, v8
	s_wait_alu 0xfffe
	s_cbranch_vccnz .LBB243_11
; %bb.13:                               ;   in Loop: Header=BB243_12 Depth=1
	v_mad_co_i64_i32 v[34:35], null, 0x88, v30, s[16:17]
	s_delay_alu instid0(VALU_DEP_1) | instskip(SKIP_1) | instid1(VALU_DEP_2)
	v_add_co_u32 v30, vcc_lo, v34, v26
	s_wait_alu 0xfffd
	v_add_co_ci_u32_e64 v31, null, 0, v35, vcc_lo
	v_add_co_u32 v36, vcc_lo, v34, v23
	s_wait_alu 0xfffd
	v_add_co_ci_u32_e64 v37, null, 0, v35, vcc_lo
	s_clause 0x2
	global_load_b128 v[30:33], v[30:31], off offset:8
	global_load_u8 v36, v[36:37], off offset:4
	global_load_b32 v34, v[34:35], off
	s_wait_loadcnt 0x2
	v_ashrrev_i32_e32 v35, 4, v30
	v_and_b32_e32 v37, 0x7070707, v30
	v_lshrrev_b32_e32 v30, 1, v30
	v_ashrrev_i32_e32 v38, 4, v31
	v_and_b32_e32 v39, 0x7070707, v31
	v_and_b32_e32 v46, 0x7070707, v35
	v_perm_b32 v45, s7, 0xbfad9881, v37
	v_perm_b32 v37, s10, 0x26190d01, v37
	v_and_or_b32 v30, v30, s11, 0x3020100
	v_lshrrev_b32_e32 v35, 1, v35
	v_lshrrev_b32_e32 v31, 1, v31
	v_perm_b32 v51, s7, 0xbfad9881, v46
	v_perm_b32 v46, s10, 0x26190d01, v46
	;; [unrolled: 1-line block ×3, first 2 shown]
	v_and_or_b32 v35, v35, s11, 0x3020100
	v_and_b32_e32 v41, 0x7070707, v32
	v_perm_b32 v47, s7, 0xbfad9881, v39
	v_and_b32_e32 v48, 0x7070707, v38
	v_perm_b32 v39, s10, 0x26190d01, v39
	v_and_or_b32 v31, v31, s11, 0x3020100
	v_lshrrev_b32_e32 v38, 1, v38
	v_perm_b32 v35, v46, v51, v35
	v_dot4_i32_iu8 v30, v30, v9, 0 neg_lo:[1,1,0]
	v_ashrrev_i32_e32 v40, 4, v32
	v_lshrrev_b32_e32 v32, 1, v32
	v_perm_b32 v49, s7, 0xbfad9881, v41
	v_perm_b32 v37, s10, 0x26190d01, v41
	;; [unrolled: 1-line block ×5, first 2 shown]
	v_and_or_b32 v38, v38, s11, 0x3020100
	v_dot4_i32_iu8 v30, v35, v1, v30 neg_lo:[1,1,0]
	v_and_b32_e32 v50, 0x7070707, v40
	v_and_or_b32 v32, v32, s11, 0x3020100
	v_lshrrev_b32_e32 v40, 1, v40
	v_perm_b32 v38, v45, v41, v38
	v_dot4_i32_iu8 v30, v31, v10, v30 neg_lo:[1,1,0]
	v_ashrrev_i32_e32 v42, 4, v33
	v_and_b32_e32 v43, 0x7070707, v33
	v_lshrrev_b32_e32 v33, 1, v33
	s_wait_loadcnt 0x0
	v_lshrrev_b32_e32 v44, 16, v34
	v_perm_b32 v31, s7, 0xbfad9881, v50
	v_perm_b32 v41, s10, 0x26190d01, v50
	;; [unrolled: 1-line block ×3, first 2 shown]
	v_and_or_b32 v37, v40, s11, 0x3020100
	v_dot4_i32_iu8 v30, v38, v2, v30 neg_lo:[1,1,0]
	v_perm_b32 v35, s7, 0xbfad9881, v43
	v_and_b32_e32 v39, 0x7070707, v42
	v_perm_b32 v43, s10, 0x26190d01, v43
	v_and_or_b32 v33, v33, s11, 0x3020100
	v_lshrrev_b32_e32 v38, 1, v42
	v_lshrrev_b32_e32 v40, v25, v44
	v_perm_b32 v31, v41, v31, v37
	v_dot4_i32_iu8 v30, v32, v11, v30 neg_lo:[1,1,0]
	v_bfe_u32 v36, v36, v24, 4
	v_perm_b32 v32, s7, 0xbfad9881, v39
	v_perm_b32 v37, s10, 0x26190d01, v39
	;; [unrolled: 1-line block ×3, first 2 shown]
	v_and_or_b32 v35, v38, s11, 0x3020100
	v_dot4_i32_iu8 v30, v31, v3, v30 neg_lo:[1,1,0]
	v_lshlrev_b32_e32 v31, 4, v40
	s_delay_alu instid0(VALU_DEP_3) | instskip(NEXT) | instid1(VALU_DEP_3)
	v_perm_b32 v32, v37, v32, v35
	v_dot4_i32_iu8 v30, v33, v0, v30 neg_lo:[1,1,0]
	s_delay_alu instid0(VALU_DEP_3) | instskip(NEXT) | instid1(VALU_DEP_2)
	v_and_or_b32 v31, v31, 48, v36
	v_dot4_i32_iu8 v30, v32, v27, v30 neg_lo:[1,1,0]
	s_delay_alu instid0(VALU_DEP_2) | instskip(NEXT) | instid1(VALU_DEP_1)
	v_subrev_nc_u32_e32 v31, 32, v31
	v_mul_lo_u32 v30, v30, v31
	v_cvt_f32_f16_e32 v31, v34
	s_delay_alu instid0(VALU_DEP_1) | instskip(NEXT) | instid1(VALU_DEP_3)
	v_mul_f32_e32 v31, v8, v31
	v_cvt_f32_i32_e32 v30, v30
	s_delay_alu instid0(VALU_DEP_1)
	v_fmac_f32_e32 v19, v31, v30
	s_branch .LBB243_11
.LBB243_14:
	s_or_b32 exec_lo, exec_lo, s13
.LBB243_15:
	s_delay_alu instid0(SALU_CYCLE_1)
	s_or_b32 exec_lo, exec_lo, s18
	s_load_b32 s5, s[0:1], 0x30
	v_cmp_eq_u32_e64 s4, 0, v20
	s_mov_b32 s7, exec_lo
	v_cmpx_ne_u32_e32 0, v20
	s_cbranch_execz .LBB243_19
; %bb.16:
	v_add_nc_u32_e32 v0, -1, v20
	s_and_b32 vcc_lo, exec_lo, s14
	s_delay_alu instid0(VALU_DEP_1)
	v_lshlrev_b32_e32 v0, 7, v0
	s_wait_alu 0xfffe
	s_cbranch_vccz .LBB243_18
; %bb.17:
	s_delay_alu instid0(VALU_DEP_1)
	v_lshl_add_u32 v1, v15, 2, v0
	ds_store_b32 v1, v19 offset:896
.LBB243_18:
	s_delay_alu instid0(VALU_DEP_1)
	v_lshl_add_u32 v0, v15, 2, v0
	ds_store_b32 v0, v21
.LBB243_19:
	s_wait_alu 0xfffe
	s_or_b32 exec_lo, exec_lo, s7
	s_wait_loadcnt_dscnt 0x0
	s_barrier_signal -1
	s_barrier_wait -1
	global_inv scope:SCOPE_SE
	s_and_saveexec_b32 s7, s4
	s_cbranch_execz .LBB243_61
; %bb.20:
	ds_load_b32 v0, v14
	v_cmp_ne_u32_e32 vcc_lo, 1, v18
	v_add_nc_u32_e32 v1, 0x380, v14
	s_cbranch_vccnz .LBB243_22
; %bb.21:
	ds_load_b32 v2, v1
	s_wait_dscnt 0x0
	v_add_f32_e32 v19, v19, v2
.LBB243_22:
	ds_load_b32 v2, v14 offset:128
	v_cmp_ne_u32_e32 vcc_lo, 1, v18
	s_cbranch_vccnz .LBB243_24
; %bb.23:
	ds_load_b32 v3, v1 offset:128
	s_wait_dscnt 0x0
	v_add_f32_e32 v19, v19, v3
.LBB243_24:
	ds_load_b32 v3, v14 offset:256
	v_cmp_ne_u32_e32 vcc_lo, 1, v18
	s_cbranch_vccnz .LBB243_26
; %bb.25:
	ds_load_b32 v4, v1 offset:256
	s_wait_dscnt 0x0
	v_add_f32_e32 v19, v19, v4
.LBB243_26:
	;; [unrolled: 8-line block ×6, first 2 shown]
	s_wait_dscnt 0x6
	v_add_f32_e32 v0, v21, v0
	v_mbcnt_lo_u32_b32 v1, -1, 0
	s_wait_dscnt 0x5
	s_delay_alu instid0(VALU_DEP_2) | instskip(NEXT) | instid1(VALU_DEP_2)
	v_add_f32_e32 v0, v0, v2
	v_xor_b32_e32 v2, 16, v1
	s_wait_dscnt 0x4
	s_delay_alu instid0(VALU_DEP_2) | instskip(NEXT) | instid1(VALU_DEP_2)
	v_add_f32_e32 v0, v0, v3
	v_cmp_gt_i32_e32 vcc_lo, 32, v2
	v_xor_b32_e32 v3, 8, v1
	s_wait_dscnt 0x3
	s_delay_alu instid0(VALU_DEP_3)
	v_add_f32_e32 v0, v0, v4
	s_wait_alu 0xfffd
	v_cndmask_b32_e32 v2, v1, v2, vcc_lo
	v_cmp_gt_i32_e32 vcc_lo, 32, v3
	s_wait_dscnt 0x2
	s_wait_alu 0xfffd
	v_dual_add_f32 v0, v0, v5 :: v_dual_cndmask_b32 v3, v1, v3
	s_wait_dscnt 0x1
	s_delay_alu instid0(VALU_DEP_1) | instskip(SKIP_1) | instid1(VALU_DEP_1)
	v_dual_add_f32 v0, v0, v6 :: v_dual_lshlrev_b32 v3, 2, v3
	s_wait_dscnt 0x0
	v_add_f32_e32 v4, v0, v7
	v_lshlrev_b32_e32 v0, 2, v2
	ds_bpermute_b32 v2, v0, v4
	s_wait_dscnt 0x0
	v_add_f32_e32 v2, v4, v2
	v_xor_b32_e32 v4, 4, v1
	ds_bpermute_b32 v5, v3, v2
	v_cmp_gt_i32_e32 vcc_lo, 32, v4
	s_wait_alu 0xfffd
	v_cndmask_b32_e32 v4, v1, v4, vcc_lo
	s_delay_alu instid0(VALU_DEP_1)
	v_lshlrev_b32_e32 v4, 2, v4
	s_wait_dscnt 0x0
	v_add_f32_e32 v2, v2, v5
	v_xor_b32_e32 v5, 2, v1
	ds_bpermute_b32 v6, v4, v2
	v_cmp_gt_i32_e32 vcc_lo, 32, v5
	s_wait_alu 0xfffd
	v_cndmask_b32_e32 v5, v1, v5, vcc_lo
	s_wait_dscnt 0x0
	s_delay_alu instid0(VALU_DEP_1)
	v_dual_add_f32 v2, v2, v6 :: v_dual_lshlrev_b32 v5, 2, v5
	v_xor_b32_e32 v6, 1, v1
	ds_bpermute_b32 v7, v5, v2
	v_cmp_gt_i32_e32 vcc_lo, 32, v6
	s_wait_alu 0xfffd
	v_cndmask_b32_e32 v1, v1, v6, vcc_lo
	v_cmp_ne_u32_e32 vcc_lo, 1, v18
	s_delay_alu instid0(VALU_DEP_2)
	v_lshlrev_b32_e32 v6, 2, v1
	s_wait_dscnt 0x0
	v_add_f32_e32 v1, v2, v7
	ds_bpermute_b32 v2, v6, v1
	s_cbranch_vccnz .LBB243_36
; %bb.35:
	ds_bpermute_b32 v0, v0, v19
	s_wait_dscnt 0x0
	v_add_f32_e32 v0, v19, v0
	ds_bpermute_b32 v3, v3, v0
	s_wait_dscnt 0x0
	v_add_f32_e32 v0, v0, v3
	;; [unrolled: 3-line block ×5, first 2 shown]
.LBB243_36:
	v_cmp_eq_u32_e32 vcc_lo, 0, v15
	s_and_b32 exec_lo, exec_lo, vcc_lo
	s_cbranch_execz .LBB243_61
; %bb.37:
	s_wait_dscnt 0x0
	v_add_f32_e32 v0, v1, v2
	v_cmp_ne_u32_e32 vcc_lo, 1, v18
	s_delay_alu instid0(VALU_DEP_2) | instskip(NEXT) | instid1(VALU_DEP_1)
	v_add_f32_e32 v1, v17, v0
	v_cndmask_b32_e64 v0, v0, v1, s2
	s_cbranch_vccnz .LBB243_60
; %bb.38:
	v_add_f32_e32 v1, v16, v19
	s_wait_kmcnt 0x0
	s_cmp_lt_i32 s5, 2
	s_mov_b32 s2, 0
	s_delay_alu instid0(VALU_DEP_1)
	v_cndmask_b32_e64 v1, v19, v1, s3
	s_cbranch_scc1 .LBB243_43
; %bb.39:
	s_cmp_gt_i32 s5, 2
	s_cbranch_scc0 .LBB243_44
; %bb.40:
	s_cmp_eq_u32 s5, 3
	s_cbranch_scc0 .LBB243_45
; %bb.41:
	v_max_num_f32_e32 v2, v1, v1
	s_mov_b32 s3, 0xc0e00000
	s_delay_alu instid0(VALU_DEP_1) | instskip(NEXT) | instid1(VALU_DEP_1)
	v_min_num_f32_e32 v2, 0x40e00000, v2
	v_mul_f32_e32 v3, 0xbfd9db23, v2
	s_delay_alu instid0(VALU_DEP_1) | instskip(NEXT) | instid1(VALU_DEP_1)
	v_mul_f32_e32 v4, 0x3fb8aa3b, v3
	v_fma_f32 v5, 0x3fb8aa3b, v3, -v4
	v_rndne_f32_e32 v6, v4
	s_delay_alu instid0(VALU_DEP_1) | instskip(NEXT) | instid1(VALU_DEP_1)
	v_dual_fmamk_f32 v5, v3, 0x32a5705f, v5 :: v_dual_sub_f32 v4, v4, v6
	v_add_f32_e32 v4, v4, v5
	v_cvt_i32_f32_e32 v5, v6
	v_cmp_ngt_f32_e32 vcc_lo, 0xc2ce8ed0, v3
	s_delay_alu instid0(VALU_DEP_3) | instskip(NEXT) | instid1(TRANS32_DEP_1)
	v_exp_f32_e32 v4, v4
	v_ldexp_f32 v4, v4, v5
	s_wait_alu 0xfffd
	s_delay_alu instid0(VALU_DEP_1) | instskip(SKIP_2) | instid1(VALU_DEP_2)
	v_cndmask_b32_e32 v4, 0, v4, vcc_lo
	v_cmp_nlt_f32_e32 vcc_lo, 0x42b17218, v3
	s_wait_alu 0xfffd
	v_cndmask_b32_e32 v3, 0x7f800000, v4, vcc_lo
	s_delay_alu instid0(VALU_DEP_1) | instskip(NEXT) | instid1(VALU_DEP_1)
	v_add_f32_e32 v3, 1.0, v3
	v_div_scale_f32 v4, null, v3, v3, v2
	v_div_scale_f32 v7, vcc_lo, v2, v3, v2
	s_delay_alu instid0(VALU_DEP_2) | instskip(NEXT) | instid1(TRANS32_DEP_1)
	v_rcp_f32_e32 v5, v4
	v_fma_f32 v6, -v4, v5, 1.0
	s_delay_alu instid0(VALU_DEP_1) | instskip(NEXT) | instid1(VALU_DEP_1)
	v_fmac_f32_e32 v5, v6, v5
	v_mul_f32_e32 v6, v7, v5
	s_delay_alu instid0(VALU_DEP_1) | instskip(NEXT) | instid1(VALU_DEP_1)
	v_fma_f32 v8, -v4, v6, v7
	v_fmac_f32_e32 v6, v8, v5
	s_delay_alu instid0(VALU_DEP_1) | instskip(SKIP_1) | instid1(VALU_DEP_1)
	v_fma_f32 v4, -v4, v6, v7
	s_wait_alu 0xfffd
	v_div_fmas_f32 v4, v4, v5, v6
	s_delay_alu instid0(VALU_DEP_1) | instskip(SKIP_2) | instid1(VALU_DEP_1)
	v_div_fixup_f32 v2, v4, v3, v2
	v_max_num_f32_e32 v7, v0, v0
	s_wait_alu 0xfffe
	v_minmax_num_f32 v5, v7, 0x40e00000, s3
	s_mov_b32 s3, 0
	s_delay_alu instid0(VALU_DEP_1) | instskip(NEXT) | instid1(VALU_DEP_1)
	v_add_f32_e32 v3, 1.0, v5
	v_mul_f32_e32 v2, v3, v2
	s_branch .LBB243_46
.LBB243_42:
                                        ; implicit-def: $sgpr29
	s_clause 0x1
	s_load_b32 s30, s[0:1], 0x50
	s_load_b32 s28, s[0:1], 0x78
	s_branch .LBB243_2
.LBB243_43:
	s_mov_b32 s3, 0
                                        ; implicit-def: $vgpr2
	s_cbranch_execnz .LBB243_50
	s_branch .LBB243_51
.LBB243_44:
	s_mov_b32 s4, -1
	s_mov_b32 s3, 0
                                        ; implicit-def: $vgpr2
	s_branch .LBB243_47
.LBB243_45:
	s_mov_b32 s3, -1
                                        ; implicit-def: $vgpr2
.LBB243_46:
	s_mov_b32 s4, 0
.LBB243_47:
	s_wait_alu 0xfffe
	s_and_b32 vcc_lo, exec_lo, s4
	s_wait_alu 0xfffe
	s_cbranch_vccz .LBB243_49
; %bb.48:
	v_mul_f32_e32 v2, 0xbfb8aa3b, v1
	v_cmp_nlt_f32_e32 vcc_lo, 0x42ce8ed0, v1
	s_delay_alu instid0(VALU_DEP_2) | instskip(SKIP_1) | instid1(VALU_DEP_2)
	v_rndne_f32_e32 v3, v2
	v_fma_f32 v4, 0xbfb8aa3b, v1, -v2
	v_sub_f32_e32 v2, v2, v3
	s_delay_alu instid0(VALU_DEP_2) | instskip(SKIP_1) | instid1(VALU_DEP_2)
	v_fmamk_f32 v4, v1, 0xb2a5705f, v4
	v_cvt_i32_f32_e32 v3, v3
	v_add_f32_e32 v2, v2, v4
	s_delay_alu instid0(VALU_DEP_1) | instskip(NEXT) | instid1(TRANS32_DEP_1)
	v_exp_f32_e32 v2, v2
	v_ldexp_f32 v2, v2, v3
	s_wait_alu 0xfffd
	s_delay_alu instid0(VALU_DEP_1) | instskip(SKIP_2) | instid1(VALU_DEP_2)
	v_cndmask_b32_e32 v2, 0, v2, vcc_lo
	v_cmp_ngt_f32_e32 vcc_lo, 0xc2b17218, v1
	s_wait_alu 0xfffd
	v_cndmask_b32_e32 v2, 0x7f800000, v2, vcc_lo
	s_delay_alu instid0(VALU_DEP_1) | instskip(NEXT) | instid1(VALU_DEP_1)
	v_add_f32_e32 v2, 1.0, v2
	v_div_scale_f32 v3, null, v2, v2, v1
	s_delay_alu instid0(VALU_DEP_1) | instskip(NEXT) | instid1(TRANS32_DEP_1)
	v_rcp_f32_e32 v4, v3
	v_fma_f32 v5, -v3, v4, 1.0
	s_delay_alu instid0(VALU_DEP_1) | instskip(SKIP_1) | instid1(VALU_DEP_1)
	v_fmac_f32_e32 v4, v5, v4
	v_div_scale_f32 v5, vcc_lo, v1, v2, v1
	v_mul_f32_e32 v6, v5, v4
	s_delay_alu instid0(VALU_DEP_1) | instskip(NEXT) | instid1(VALU_DEP_1)
	v_fma_f32 v7, -v3, v6, v5
	v_fmac_f32_e32 v6, v7, v4
	s_delay_alu instid0(VALU_DEP_1) | instskip(SKIP_1) | instid1(VALU_DEP_1)
	v_fma_f32 v3, -v3, v6, v5
	s_wait_alu 0xfffd
	v_div_fmas_f32 v3, v3, v4, v6
	s_delay_alu instid0(VALU_DEP_1) | instskip(NEXT) | instid1(VALU_DEP_1)
	v_div_fixup_f32 v2, v3, v2, v1
	v_mul_f32_e32 v2, v0, v2
.LBB243_49:
	s_branch .LBB243_51
.LBB243_50:
	s_cmp_lg_u32 s5, 1
	s_mov_b32 s2, -1
	s_cselect_b32 s3, -1, 0
.LBB243_51:
	s_wait_alu 0xfffe
	s_and_not1_b32 vcc_lo, exec_lo, s3
	s_wait_alu 0xfffe
	s_cbranch_vccz .LBB243_53
; %bb.52:
	s_and_not1_b32 vcc_lo, exec_lo, s2
	s_wait_alu 0xfffe
	s_cbranch_vccz .LBB243_54
	s_branch .LBB243_59
.LBB243_53:
	v_mul_f32_e32 v2, v1, v0
	s_cbranch_execnz .LBB243_59
.LBB243_54:
	v_mul_f32_e32 v2, 0x3d372713, v1
	v_mul_f32_e32 v3, 0x3f4c422a, v1
	s_delay_alu instid0(VALU_DEP_2) | instskip(NEXT) | instid1(VALU_DEP_1)
	v_fma_f32 v2, v1, v2, 1.0
	v_mul_f32_e32 v2, v3, v2
                                        ; implicit-def: $vgpr3
	s_delay_alu instid0(VALU_DEP_1)
	v_cmp_ngt_f32_e64 s2, 0x3f200000, |v2|
	s_and_saveexec_b32 s3, s2
	s_wait_alu 0xfffe
	s_xor_b32 s2, exec_lo, s3
	s_cbranch_execz .LBB243_56
; %bb.55:
	v_add_f32_e64 v3, |v2|, |v2|
	s_delay_alu instid0(VALU_DEP_1) | instskip(SKIP_1) | instid1(VALU_DEP_2)
	v_mul_f32_e32 v4, 0x3fb8aa3b, v3
	v_cmp_ngt_f32_e32 vcc_lo, 0xc2ce8ed0, v3
	v_rndne_f32_e32 v5, v4
	v_fma_f32 v6, 0x3fb8aa3b, v3, -v4
	s_delay_alu instid0(VALU_DEP_2) | instskip(NEXT) | instid1(VALU_DEP_2)
	v_sub_f32_e32 v4, v4, v5
	v_fmamk_f32 v6, v3, 0x32a5705f, v6
	v_cvt_i32_f32_e32 v5, v5
	s_delay_alu instid0(VALU_DEP_2) | instskip(NEXT) | instid1(VALU_DEP_1)
	v_add_f32_e32 v4, v4, v6
	v_exp_f32_e32 v4, v4
	s_delay_alu instid0(TRANS32_DEP_1) | instskip(SKIP_1) | instid1(VALU_DEP_1)
	v_ldexp_f32 v4, v4, v5
	s_wait_alu 0xfffd
	v_cndmask_b32_e32 v4, 0, v4, vcc_lo
	v_cmp_nlt_f32_e32 vcc_lo, 0x42b17218, v3
	s_wait_alu 0xfffd
	s_delay_alu instid0(VALU_DEP_2) | instskip(NEXT) | instid1(VALU_DEP_1)
	v_cndmask_b32_e32 v3, 0x7f800000, v4, vcc_lo
	v_add_f32_e32 v3, 1.0, v3
	s_delay_alu instid0(VALU_DEP_1) | instskip(NEXT) | instid1(TRANS32_DEP_1)
	v_rcp_f32_e32 v3, v3
	v_fma_f32 v3, v3, -2.0, 1.0
.LBB243_56:
	s_wait_alu 0xfffe
	s_and_not1_saveexec_b32 s2, s2
	s_cbranch_execz .LBB243_58
; %bb.57:
	v_mul_f32_e32 v3, v2, v2
	s_mov_b32 s3, 0xbbbac73d
	s_wait_alu 0xfffe
	s_delay_alu instid0(VALU_DEP_1) | instskip(NEXT) | instid1(VALU_DEP_1)
	v_fmaak_f32 v4, s3, v3, 0x3ca908c9
	v_fmaak_f32 v4, v3, v4, 0xbd5c1c4e
	s_delay_alu instid0(VALU_DEP_1) | instskip(NEXT) | instid1(VALU_DEP_1)
	v_fmaak_f32 v4, v3, v4, 0x3e088382
	v_fmaak_f32 v4, v3, v4, 0xbeaaaa99
	s_delay_alu instid0(VALU_DEP_1) | instskip(NEXT) | instid1(VALU_DEP_1)
	v_mul_f32_e64 v4, |v2|, v4
	v_fma_f32 v3, v3, v4, |v2|
.LBB243_58:
	s_wait_alu 0xfffe
	s_or_b32 exec_lo, exec_lo, s2
	s_delay_alu instid0(VALU_DEP_1) | instskip(NEXT) | instid1(VALU_DEP_1)
	v_bfi_b32 v2, 0x7fffffff, v3, v2
	v_dual_mul_f32 v1, 0.5, v1 :: v_dual_add_f32 v2, 1.0, v2
	s_delay_alu instid0(VALU_DEP_1) | instskip(NEXT) | instid1(VALU_DEP_1)
	v_mul_f32_e32 v1, v1, v2
	v_mul_f32_e32 v2, v0, v1
.LBB243_59:
	s_delay_alu instid0(VALU_DEP_1)
	v_mov_b32_e32 v0, v2
.LBB243_60:
	s_load_b64 s[0:1], s[0:1], 0x38
	s_mul_i32 s2, s6, s27
	s_wait_kmcnt 0x0
	s_mul_i32 s3, s26, s21
	s_wait_alu 0xfffe
	s_add_co_i32 s2, s2, ttmp9
	s_wait_alu 0xfffe
	s_add_co_i32 s2, s2, s3
	s_mov_b32 s3, 0
	s_wait_alu 0xfffe
	s_lshl_b64 s[2:3], s[2:3], 2
	s_wait_alu 0xfffe
	s_add_nc_u64 s[0:1], s[0:1], s[2:3]
	global_store_b32 v14, v0, s[0:1]
.LBB243_61:
	s_endpgm
	.section	.rodata,"a",@progbits
	.p2align	6, 0x0
	.amdhsa_kernel _ZL13mul_mat_vec_qIL9ggml_type23ELi1ELb1ELb0EEvPKvS2_PKi31ggml_cuda_mm_fusion_args_devicePfj15HIP_vector_typeIjLj3EEjjjS8_jjjS8_jjjj
		.amdhsa_group_segment_fixed_size 1792
		.amdhsa_private_segment_fixed_size 0
		.amdhsa_kernarg_size 144
		.amdhsa_user_sgpr_count 2
		.amdhsa_user_sgpr_dispatch_ptr 0
		.amdhsa_user_sgpr_queue_ptr 0
		.amdhsa_user_sgpr_kernarg_segment_ptr 1
		.amdhsa_user_sgpr_dispatch_id 0
		.amdhsa_user_sgpr_private_segment_size 0
		.amdhsa_wavefront_size32 1
		.amdhsa_uses_dynamic_stack 0
		.amdhsa_enable_private_segment 0
		.amdhsa_system_sgpr_workgroup_id_x 1
		.amdhsa_system_sgpr_workgroup_id_y 1
		.amdhsa_system_sgpr_workgroup_id_z 1
		.amdhsa_system_sgpr_workgroup_info 0
		.amdhsa_system_vgpr_workitem_id 1
		.amdhsa_next_free_vgpr 52
		.amdhsa_next_free_sgpr 38
		.amdhsa_reserve_vcc 1
		.amdhsa_float_round_mode_32 0
		.amdhsa_float_round_mode_16_64 0
		.amdhsa_float_denorm_mode_32 3
		.amdhsa_float_denorm_mode_16_64 3
		.amdhsa_fp16_overflow 0
		.amdhsa_workgroup_processor_mode 1
		.amdhsa_memory_ordered 1
		.amdhsa_forward_progress 1
		.amdhsa_inst_pref_size 32
		.amdhsa_round_robin_scheduling 0
		.amdhsa_exception_fp_ieee_invalid_op 0
		.amdhsa_exception_fp_denorm_src 0
		.amdhsa_exception_fp_ieee_div_zero 0
		.amdhsa_exception_fp_ieee_overflow 0
		.amdhsa_exception_fp_ieee_underflow 0
		.amdhsa_exception_fp_ieee_inexact 0
		.amdhsa_exception_int_div_zero 0
	.end_amdhsa_kernel
	.section	.text._ZL13mul_mat_vec_qIL9ggml_type23ELi1ELb1ELb0EEvPKvS2_PKi31ggml_cuda_mm_fusion_args_devicePfj15HIP_vector_typeIjLj3EEjjjS8_jjjS8_jjjj,"axG",@progbits,_ZL13mul_mat_vec_qIL9ggml_type23ELi1ELb1ELb0EEvPKvS2_PKi31ggml_cuda_mm_fusion_args_devicePfj15HIP_vector_typeIjLj3EEjjjS8_jjjS8_jjjj,comdat
.Lfunc_end243:
	.size	_ZL13mul_mat_vec_qIL9ggml_type23ELi1ELb1ELb0EEvPKvS2_PKi31ggml_cuda_mm_fusion_args_devicePfj15HIP_vector_typeIjLj3EEjjjS8_jjjS8_jjjj, .Lfunc_end243-_ZL13mul_mat_vec_qIL9ggml_type23ELi1ELb1ELb0EEvPKvS2_PKi31ggml_cuda_mm_fusion_args_devicePfj15HIP_vector_typeIjLj3EEjjjS8_jjjS8_jjjj
                                        ; -- End function
	.set _ZL13mul_mat_vec_qIL9ggml_type23ELi1ELb1ELb0EEvPKvS2_PKi31ggml_cuda_mm_fusion_args_devicePfj15HIP_vector_typeIjLj3EEjjjS8_jjjS8_jjjj.num_vgpr, 52
	.set _ZL13mul_mat_vec_qIL9ggml_type23ELi1ELb1ELb0EEvPKvS2_PKi31ggml_cuda_mm_fusion_args_devicePfj15HIP_vector_typeIjLj3EEjjjS8_jjjS8_jjjj.num_agpr, 0
	.set _ZL13mul_mat_vec_qIL9ggml_type23ELi1ELb1ELb0EEvPKvS2_PKi31ggml_cuda_mm_fusion_args_devicePfj15HIP_vector_typeIjLj3EEjjjS8_jjjS8_jjjj.numbered_sgpr, 38
	.set _ZL13mul_mat_vec_qIL9ggml_type23ELi1ELb1ELb0EEvPKvS2_PKi31ggml_cuda_mm_fusion_args_devicePfj15HIP_vector_typeIjLj3EEjjjS8_jjjS8_jjjj.num_named_barrier, 0
	.set _ZL13mul_mat_vec_qIL9ggml_type23ELi1ELb1ELb0EEvPKvS2_PKi31ggml_cuda_mm_fusion_args_devicePfj15HIP_vector_typeIjLj3EEjjjS8_jjjS8_jjjj.private_seg_size, 0
	.set _ZL13mul_mat_vec_qIL9ggml_type23ELi1ELb1ELb0EEvPKvS2_PKi31ggml_cuda_mm_fusion_args_devicePfj15HIP_vector_typeIjLj3EEjjjS8_jjjS8_jjjj.uses_vcc, 1
	.set _ZL13mul_mat_vec_qIL9ggml_type23ELi1ELb1ELb0EEvPKvS2_PKi31ggml_cuda_mm_fusion_args_devicePfj15HIP_vector_typeIjLj3EEjjjS8_jjjS8_jjjj.uses_flat_scratch, 0
	.set _ZL13mul_mat_vec_qIL9ggml_type23ELi1ELb1ELb0EEvPKvS2_PKi31ggml_cuda_mm_fusion_args_devicePfj15HIP_vector_typeIjLj3EEjjjS8_jjjS8_jjjj.has_dyn_sized_stack, 0
	.set _ZL13mul_mat_vec_qIL9ggml_type23ELi1ELb1ELb0EEvPKvS2_PKi31ggml_cuda_mm_fusion_args_devicePfj15HIP_vector_typeIjLj3EEjjjS8_jjjS8_jjjj.has_recursion, 0
	.set _ZL13mul_mat_vec_qIL9ggml_type23ELi1ELb1ELb0EEvPKvS2_PKi31ggml_cuda_mm_fusion_args_devicePfj15HIP_vector_typeIjLj3EEjjjS8_jjjS8_jjjj.has_indirect_call, 0
	.section	.AMDGPU.csdata,"",@progbits
; Kernel info:
; codeLenInByte = 4088
; TotalNumSgprs: 40
; NumVgprs: 52
; ScratchSize: 0
; MemoryBound: 0
; FloatMode: 240
; IeeeMode: 1
; LDSByteSize: 1792 bytes/workgroup (compile time only)
; SGPRBlocks: 0
; VGPRBlocks: 6
; NumSGPRsForWavesPerEU: 40
; NumVGPRsForWavesPerEU: 52
; Occupancy: 16
; WaveLimiterHint : 0
; COMPUTE_PGM_RSRC2:SCRATCH_EN: 0
; COMPUTE_PGM_RSRC2:USER_SGPR: 2
; COMPUTE_PGM_RSRC2:TRAP_HANDLER: 0
; COMPUTE_PGM_RSRC2:TGID_X_EN: 1
; COMPUTE_PGM_RSRC2:TGID_Y_EN: 1
; COMPUTE_PGM_RSRC2:TGID_Z_EN: 1
; COMPUTE_PGM_RSRC2:TIDIG_COMP_CNT: 1
	.section	.text._ZL13mul_mat_vec_qIL9ggml_type23ELi1ELb0ELb0EEvPKvS2_PKi31ggml_cuda_mm_fusion_args_devicePfj15HIP_vector_typeIjLj3EEjjjS8_jjjS8_jjjj,"axG",@progbits,_ZL13mul_mat_vec_qIL9ggml_type23ELi1ELb0ELb0EEvPKvS2_PKi31ggml_cuda_mm_fusion_args_devicePfj15HIP_vector_typeIjLj3EEjjjS8_jjjS8_jjjj,comdat
	.globl	_ZL13mul_mat_vec_qIL9ggml_type23ELi1ELb0ELb0EEvPKvS2_PKi31ggml_cuda_mm_fusion_args_devicePfj15HIP_vector_typeIjLj3EEjjjS8_jjjS8_jjjj ; -- Begin function _ZL13mul_mat_vec_qIL9ggml_type23ELi1ELb0ELb0EEvPKvS2_PKi31ggml_cuda_mm_fusion_args_devicePfj15HIP_vector_typeIjLj3EEjjjS8_jjjS8_jjjj
	.p2align	8
	.type	_ZL13mul_mat_vec_qIL9ggml_type23ELi1ELb0ELb0EEvPKvS2_PKi31ggml_cuda_mm_fusion_args_devicePfj15HIP_vector_typeIjLj3EEjjjS8_jjjS8_jjjj,@function
_ZL13mul_mat_vec_qIL9ggml_type23ELi1ELb0ELb0EEvPKvS2_PKi31ggml_cuda_mm_fusion_args_devicePfj15HIP_vector_typeIjLj3EEjjjS8_jjjS8_jjjj: ; @_ZL13mul_mat_vec_qIL9ggml_type23ELi1ELb0ELb0EEvPKvS2_PKi31ggml_cuda_mm_fusion_args_devicePfj15HIP_vector_typeIjLj3EEjjjS8_jjjS8_jjjj
; %bb.0:
	s_clause 0x1
	s_load_b64 s[2:3], s[0:1], 0x10
	s_load_b128 s[8:11], s[0:1], 0x40
	s_and_b32 s15, ttmp7, 0xffff
	s_wait_kmcnt 0x0
	s_cmp_lg_u64 s[2:3], 0
	s_cselect_b32 s12, -1, 0
	s_cmp_eq_u64 s[2:3], 0
	s_cbranch_scc1 .LBB244_15
; %bb.1:
	s_lshl_b32 s4, s15, 2
	s_load_b32 s19, s[2:3], s4 offset:0x0
	s_clause 0x1
	s_load_b128 s[4:7], s[0:1], 0x68
	s_load_b32 s20, s[0:1], 0x50
	s_cbranch_execnz .LBB244_3
.LBB244_2:
	s_load_b64 s[2:3], s[0:1], 0x5c
	s_wait_kmcnt 0x0
	s_mul_hi_u32 s2, s2, s15
	s_delay_alu instid0(SALU_CYCLE_1) | instskip(NEXT) | instid1(SALU_CYCLE_1)
	s_add_co_i32 s2, s15, s2
	s_lshr_b32 s19, s2, s3
.LBB244_3:
	s_load_b32 s21, s[0:1], 0x78
	s_and_not1_b32 vcc_lo, exec_lo, s12
	s_mov_b32 s2, s15
	s_cbranch_vccnz .LBB244_5
; %bb.4:
	s_mul_hi_u32 s2, s9, s15
	s_delay_alu instid0(SALU_CYCLE_1) | instskip(NEXT) | instid1(SALU_CYCLE_1)
	s_add_co_i32 s2, s15, s2
	s_lshr_b32 s2, s2, s10
	s_delay_alu instid0(SALU_CYCLE_1) | instskip(NEXT) | instid1(SALU_CYCLE_1)
	s_mul_i32 s2, s2, s11
	s_sub_co_i32 s2, s15, s2
.LBB244_5:
	s_load_b96 s[12:14], s[0:1], 0x80
	v_bfe_u32 v4, v0, 10, 10
	v_dual_mov_b32 v5, 0 :: v_dual_and_b32 v2, 0x3ff, v0
	s_lshr_b32 s17, s8, 8
	s_lshr_b32 s16, ttmp7, 16
	s_mov_b32 s18, exec_lo
	s_delay_alu instid0(VALU_DEP_1) | instskip(SKIP_1) | instid1(VALU_DEP_2)
	v_lshl_add_u32 v0, v4, 5, v2
	v_lshlrev_b32_e32 v3, 2, v2
	v_lshrrev_b32_e32 v6, 3, v0
	s_delay_alu instid0(VALU_DEP_1)
	v_cmpx_gt_u32_e64 s17, v6
	s_cbranch_execz .LBB244_9
; %bb.6:
	v_lshrrev_b32_e32 v0, 3, v0
	s_wait_kmcnt 0x0
	s_mul_i32 s2, s2, s5
	s_mov_b32 s3, 0
	v_and_b32_e32 v7, 7, v2
	s_mul_u64 s[8:9], s[2:3], 36
	s_mul_i32 s2, s13, s16
	v_mad_co_u64_u32 v[0:1], null, 0x120, v0, s[8:9]
	s_load_b128 s[8:11], s[0:1], 0x0
	v_dual_mov_b32 v5, 0 :: v_dual_and_b32 v10, 28, v3
	s_mul_i32 s20, s20, ttmp9
	v_and_b32_e32 v8, 4, v3
	s_mul_i32 s4, s19, s4
	v_mad_co_u64_u32 v[0:1], null, s2, 36, v[0:1]
	s_mul_hi_u32 s2, s7, s16
	v_lshrrev_b32_e32 v9, 1, v10
	s_wait_alu 0xfffe
	s_add_co_i32 s2, s16, s2
	v_lshlrev_b32_e32 v10, 2, v10
	s_wait_alu 0xfffe
	s_lshr_b32 s2, s2, s21
	s_mov_b32 s5, 0xf6eaddcf
	v_mad_co_u64_u32 v[0:1], null, v7, 36, v[0:1]
	s_wait_alu 0xfffe
	s_mul_i32 s2, s2, s12
	v_bfe_u32 v7, v3, 3, 2
	s_wait_alu 0xfffe
	s_add_co_i32 s2, s2, s20
	s_mov_b32 s7, 0x71594535
	s_wait_alu 0xfffe
	s_add_co_i32 s4, s4, s2
	s_wait_kmcnt 0x0
	v_add_co_u32 v0, vcc_lo, s10, v0
	s_delay_alu instid0(VALU_DEP_1)
	v_add_co_ci_u32_e64 v1, null, s11, v1, vcc_lo
	s_mov_b32 s10, 0x4040404
	v_add_co_u32 v0, vcc_lo, v0, 32
	s_wait_alu 0xfffd
	v_add_co_ci_u32_e64 v1, null, 0, v1, vcc_lo
.LBB244_7:                              ; =>This Inner Loop Header: Depth=1
	v_add_nc_u32_e32 v19, s4, v6
	s_clause 0x1
	global_load_b128 v[11:14], v[0:1], off offset:-32
	global_load_b128 v[15:18], v[0:1], off offset:-16
	v_add_nc_u32_e32 v6, 32, v6
	v_mad_co_i64_i32 v[23:24], null, 0x88, v19, s[8:9]
	s_delay_alu instid0(VALU_DEP_2)
	v_cmp_le_u32_e64 s2, s17, v6
	s_or_b32 s3, s2, s3
	v_add_co_u32 v19, vcc_lo, v23, v10
	s_wait_alu 0xfffd
	v_add_co_ci_u32_e64 v20, null, 0, v24, vcc_lo
	v_add_co_u32 v25, vcc_lo, v23, v7
	s_wait_alu 0xfffd
	v_add_co_ci_u32_e64 v26, null, 0, v24, vcc_lo
	s_clause 0x2
	global_load_b128 v[19:22], v[19:20], off offset:8
	global_load_u8 v25, v[25:26], off offset:4
	global_load_b32 v23, v[23:24], off
	global_load_b32 v24, v[0:1], off
	v_add_co_u32 v0, vcc_lo, 0x2400, v0
	s_wait_alu 0xfffd
	v_add_co_ci_u32_e64 v1, null, 0, v1, vcc_lo
	s_wait_loadcnt 0x5
	v_cvt_f32_f16_e32 v11, v11
	s_wait_loadcnt 0x3
	v_ashrrev_i32_e32 v26, 4, v19
	v_and_b32_e32 v27, 0x7070707, v19
	v_lshrrev_b32_e32 v19, 1, v19
	v_ashrrev_i32_e32 v28, 4, v20
	v_and_b32_e32 v29, 0x7070707, v20
	v_and_b32_e32 v36, 0x7070707, v26
	v_perm_b32 v35, s5, 0xbfad9881, v27
	v_perm_b32 v27, s7, 0x26190d01, v27
	s_wait_alu 0xfffe
	v_and_or_b32 v19, v19, s10, 0x3020100
	v_lshrrev_b32_e32 v26, 1, v26
	v_lshrrev_b32_e32 v20, 1, v20
	v_perm_b32 v43, s5, 0xbfad9881, v36
	v_perm_b32 v36, s7, 0x26190d01, v36
	;; [unrolled: 1-line block ×3, first 2 shown]
	v_and_or_b32 v26, v26, s10, 0x3020100
	v_ashrrev_i32_e32 v32, 4, v22
	v_perm_b32 v37, s5, 0xbfad9881, v29
	v_and_b32_e32 v38, 0x7070707, v28
	v_perm_b32 v29, s7, 0x26190d01, v29
	v_and_or_b32 v20, v20, s10, 0x3020100
	v_lshrrev_b32_e32 v28, 1, v28
	v_perm_b32 v26, v36, v43, v26
	v_dot4_i32_iu8 v12, v19, v12, 0 neg_lo:[1,1,0]
	v_ashrrev_i32_e32 v30, 4, v21
	v_and_b32_e32 v31, 0x7070707, v21
	v_lshrrev_b32_e32 v21, 1, v21
	v_and_b32_e32 v42, 0x7070707, v32
	v_lshrrev_b32_e32 v27, 1, v32
	v_perm_b32 v32, s5, 0xbfad9881, v38
	v_perm_b32 v19, s7, 0x26190d01, v38
	;; [unrolled: 1-line block ×3, first 2 shown]
	v_and_or_b32 v28, v28, s10, 0x3020100
	v_dot4_i32_iu8 v12, v26, v16, v12 neg_lo:[1,1,0]
	v_perm_b32 v39, s5, 0xbfad9881, v31
	v_and_b32_e32 v40, 0x7070707, v30
	v_perm_b32 v31, s7, 0x26190d01, v31
	v_and_or_b32 v21, v21, s10, 0x3020100
	v_lshrrev_b32_e32 v30, 1, v30
	v_perm_b32 v19, v19, v32, v28
	v_dot4_i32_iu8 v12, v20, v13, v12 neg_lo:[1,1,0]
	v_and_b32_e32 v33, 0x7070707, v22
	v_lshrrev_b32_e32 v22, 1, v22
	s_wait_loadcnt 0x1
	v_lshrrev_b32_e32 v34, 16, v23
	v_perm_b32 v26, s5, 0xbfad9881, v40
	v_perm_b32 v13, s7, 0x26190d01, v40
	;; [unrolled: 1-line block ×3, first 2 shown]
	v_and_or_b32 v21, v30, s10, 0x3020100
	v_dot4_i32_iu8 v12, v19, v17, v12 neg_lo:[1,1,0]
	v_perm_b32 v41, s5, 0xbfad9881, v33
	v_perm_b32 v33, s7, 0x26190d01, v33
	v_and_or_b32 v22, v22, s10, 0x3020100
	v_lshrrev_b32_e32 v16, v9, v34
	v_perm_b32 v13, v13, v26, v21
	v_dot4_i32_iu8 v12, v20, v14, v12 neg_lo:[1,1,0]
	v_bfe_u32 v25, v25, v8, 4
	v_perm_b32 v17, s5, 0xbfad9881, v42
	v_perm_b32 v19, s7, 0x26190d01, v42
	v_perm_b32 v14, v33, v41, v22
	v_and_or_b32 v20, v27, s10, 0x3020100
	v_lshlrev_b32_e32 v16, 4, v16
	v_dot4_i32_iu8 v12, v13, v18, v12 neg_lo:[1,1,0]
	s_delay_alu instid0(VALU_DEP_3) | instskip(NEXT) | instid1(VALU_DEP_3)
	v_perm_b32 v13, v19, v17, v20
	v_and_or_b32 v16, v16, 48, v25
	s_delay_alu instid0(VALU_DEP_3) | instskip(NEXT) | instid1(VALU_DEP_2)
	v_dot4_i32_iu8 v12, v14, v15, v12 neg_lo:[1,1,0]
	v_subrev_nc_u32_e32 v14, 32, v16
	s_wait_loadcnt 0x0
	s_delay_alu instid0(VALU_DEP_2) | instskip(SKIP_1) | instid1(VALU_DEP_2)
	v_dot4_i32_iu8 v12, v13, v24, v12 neg_lo:[1,1,0]
	v_cvt_f32_f16_e32 v13, v23
	v_mul_lo_u32 v12, v14, v12
	s_delay_alu instid0(VALU_DEP_2) | instskip(NEXT) | instid1(VALU_DEP_2)
	v_mul_f32_e32 v11, v13, v11
	v_cvt_f32_i32_e32 v12, v12
	s_delay_alu instid0(VALU_DEP_1)
	v_fmac_f32_e32 v5, v11, v12
	s_and_not1_b32 exec_lo, exec_lo, s3
	s_cbranch_execnz .LBB244_7
; %bb.8:
	s_or_b32 exec_lo, exec_lo, s3
.LBB244_9:
	s_delay_alu instid0(SALU_CYCLE_1) | instskip(NEXT) | instid1(SALU_CYCLE_1)
	s_or_b32 exec_lo, exec_lo, s18
	s_mov_b32 s3, exec_lo
	v_cmp_eq_u32_e32 vcc_lo, 0, v4
	v_cmpx_ne_u32_e32 0, v4
; %bb.10:
	v_lshlrev_b32_e32 v0, 7, v4
	s_delay_alu instid0(VALU_DEP_1)
	v_add3_u32 v0, v0, v3, 0xffffff80
	ds_store_b32 v0, v5
; %bb.11:
	s_wait_alu 0xfffe
	s_or_b32 exec_lo, exec_lo, s3
	s_wait_dscnt 0x0
	s_barrier_signal -1
	s_barrier_wait -1
	global_inv scope:SCOPE_SE
	s_and_saveexec_b32 s2, vcc_lo
	s_cbranch_execz .LBB244_14
; %bb.12:
	ds_load_2addr_b32 v[0:1], v3 offset1:32
	ds_load_2addr_b32 v[6:7], v3 offset0:64 offset1:96
	ds_load_2addr_b32 v[8:9], v3 offset0:128 offset1:160
	s_mov_b32 s3, 0
	s_wait_dscnt 0x2
	v_add_f32_e32 v0, v5, v0
	s_delay_alu instid0(VALU_DEP_1) | instskip(SKIP_4) | instid1(VALU_DEP_2)
	v_add_f32_e32 v0, v0, v1
	ds_load_b32 v1, v3 offset:768
	v_mbcnt_lo_u32_b32 v3, -1, 0
	s_wait_dscnt 0x2
	v_add_f32_e32 v0, v0, v6
	v_xor_b32_e32 v4, 16, v3
	s_delay_alu instid0(VALU_DEP_2) | instskip(NEXT) | instid1(VALU_DEP_2)
	v_add_f32_e32 v0, v0, v7
	v_cmp_gt_i32_e32 vcc_lo, 32, v4
	s_wait_dscnt 0x1
	s_delay_alu instid0(VALU_DEP_2) | instskip(SKIP_2) | instid1(VALU_DEP_2)
	v_add_f32_e32 v0, v0, v8
	s_wait_alu 0xfffd
	v_cndmask_b32_e32 v4, v3, v4, vcc_lo
	v_add_f32_e32 v0, v0, v9
	s_wait_dscnt 0x0
	s_delay_alu instid0(VALU_DEP_1)
	v_dual_add_f32 v0, v0, v1 :: v_dual_lshlrev_b32 v1, 2, v4
	v_xor_b32_e32 v4, 8, v3
	ds_bpermute_b32 v1, v1, v0
	v_cmp_gt_i32_e32 vcc_lo, 32, v4
	s_wait_alu 0xfffd
	v_cndmask_b32_e32 v4, v3, v4, vcc_lo
	s_delay_alu instid0(VALU_DEP_1) | instskip(SKIP_4) | instid1(VALU_DEP_1)
	v_lshlrev_b32_e32 v4, 2, v4
	s_wait_dscnt 0x0
	v_add_f32_e32 v0, v0, v1
	ds_bpermute_b32 v1, v4, v0
	v_xor_b32_e32 v4, 4, v3
	v_cmp_gt_i32_e32 vcc_lo, 32, v4
	s_wait_alu 0xfffd
	v_cndmask_b32_e32 v4, v3, v4, vcc_lo
	s_delay_alu instid0(VALU_DEP_1) | instskip(SKIP_4) | instid1(VALU_DEP_1)
	v_lshlrev_b32_e32 v4, 2, v4
	s_wait_dscnt 0x0
	v_add_f32_e32 v0, v0, v1
	ds_bpermute_b32 v1, v4, v0
	v_xor_b32_e32 v4, 2, v3
	;; [unrolled: 9-line block ×3, first 2 shown]
	v_cmp_gt_i32_e32 vcc_lo, 32, v4
	s_wait_alu 0xfffd
	v_cndmask_b32_e32 v3, v3, v4, vcc_lo
	v_cmp_eq_u32_e32 vcc_lo, 0, v2
	s_wait_dscnt 0x0
	s_delay_alu instid0(VALU_DEP_2)
	v_dual_add_f32 v0, v0, v1 :: v_dual_lshlrev_b32 v3, 2, v3
	ds_bpermute_b32 v1, v3, v0
	s_and_b32 exec_lo, exec_lo, vcc_lo
	s_cbranch_execz .LBB244_14
; %bb.13:
	s_load_b64 s[0:1], s[0:1], 0x38
	s_wait_kmcnt 0x0
	s_mul_i32 s2, s6, s15
	s_mul_i32 s4, s14, s16
	s_wait_alu 0xfffe
	s_add_co_i32 s2, s2, ttmp9
	v_mov_b32_e32 v2, 0
	s_wait_alu 0xfffe
	s_add_co_i32 s2, s2, s4
	s_wait_dscnt 0x0
	v_add_f32_e32 v0, v0, v1
	s_wait_alu 0xfffe
	s_lshl_b64 s[2:3], s[2:3], 2
	s_wait_alu 0xfffe
	s_add_nc_u64 s[0:1], s[0:1], s[2:3]
	global_store_b32 v2, v0, s[0:1]
.LBB244_14:
	s_endpgm
.LBB244_15:
                                        ; implicit-def: $sgpr19
	s_clause 0x1
	s_load_b128 s[4:7], s[0:1], 0x68
	s_load_b32 s20, s[0:1], 0x50
	s_branch .LBB244_2
	.section	.rodata,"a",@progbits
	.p2align	6, 0x0
	.amdhsa_kernel _ZL13mul_mat_vec_qIL9ggml_type23ELi1ELb0ELb0EEvPKvS2_PKi31ggml_cuda_mm_fusion_args_devicePfj15HIP_vector_typeIjLj3EEjjjS8_jjjS8_jjjj
		.amdhsa_group_segment_fixed_size 896
		.amdhsa_private_segment_fixed_size 0
		.amdhsa_kernarg_size 144
		.amdhsa_user_sgpr_count 2
		.amdhsa_user_sgpr_dispatch_ptr 0
		.amdhsa_user_sgpr_queue_ptr 0
		.amdhsa_user_sgpr_kernarg_segment_ptr 1
		.amdhsa_user_sgpr_dispatch_id 0
		.amdhsa_user_sgpr_private_segment_size 0
		.amdhsa_wavefront_size32 1
		.amdhsa_uses_dynamic_stack 0
		.amdhsa_enable_private_segment 0
		.amdhsa_system_sgpr_workgroup_id_x 1
		.amdhsa_system_sgpr_workgroup_id_y 1
		.amdhsa_system_sgpr_workgroup_id_z 1
		.amdhsa_system_sgpr_workgroup_info 0
		.amdhsa_system_vgpr_workitem_id 1
		.amdhsa_next_free_vgpr 44
		.amdhsa_next_free_sgpr 22
		.amdhsa_reserve_vcc 1
		.amdhsa_float_round_mode_32 0
		.amdhsa_float_round_mode_16_64 0
		.amdhsa_float_denorm_mode_32 3
		.amdhsa_float_denorm_mode_16_64 3
		.amdhsa_fp16_overflow 0
		.amdhsa_workgroup_processor_mode 1
		.amdhsa_memory_ordered 1
		.amdhsa_forward_progress 1
		.amdhsa_inst_pref_size 14
		.amdhsa_round_robin_scheduling 0
		.amdhsa_exception_fp_ieee_invalid_op 0
		.amdhsa_exception_fp_denorm_src 0
		.amdhsa_exception_fp_ieee_div_zero 0
		.amdhsa_exception_fp_ieee_overflow 0
		.amdhsa_exception_fp_ieee_underflow 0
		.amdhsa_exception_fp_ieee_inexact 0
		.amdhsa_exception_int_div_zero 0
	.end_amdhsa_kernel
	.section	.text._ZL13mul_mat_vec_qIL9ggml_type23ELi1ELb0ELb0EEvPKvS2_PKi31ggml_cuda_mm_fusion_args_devicePfj15HIP_vector_typeIjLj3EEjjjS8_jjjS8_jjjj,"axG",@progbits,_ZL13mul_mat_vec_qIL9ggml_type23ELi1ELb0ELb0EEvPKvS2_PKi31ggml_cuda_mm_fusion_args_devicePfj15HIP_vector_typeIjLj3EEjjjS8_jjjS8_jjjj,comdat
.Lfunc_end244:
	.size	_ZL13mul_mat_vec_qIL9ggml_type23ELi1ELb0ELb0EEvPKvS2_PKi31ggml_cuda_mm_fusion_args_devicePfj15HIP_vector_typeIjLj3EEjjjS8_jjjS8_jjjj, .Lfunc_end244-_ZL13mul_mat_vec_qIL9ggml_type23ELi1ELb0ELb0EEvPKvS2_PKi31ggml_cuda_mm_fusion_args_devicePfj15HIP_vector_typeIjLj3EEjjjS8_jjjS8_jjjj
                                        ; -- End function
	.set _ZL13mul_mat_vec_qIL9ggml_type23ELi1ELb0ELb0EEvPKvS2_PKi31ggml_cuda_mm_fusion_args_devicePfj15HIP_vector_typeIjLj3EEjjjS8_jjjS8_jjjj.num_vgpr, 44
	.set _ZL13mul_mat_vec_qIL9ggml_type23ELi1ELb0ELb0EEvPKvS2_PKi31ggml_cuda_mm_fusion_args_devicePfj15HIP_vector_typeIjLj3EEjjjS8_jjjS8_jjjj.num_agpr, 0
	.set _ZL13mul_mat_vec_qIL9ggml_type23ELi1ELb0ELb0EEvPKvS2_PKi31ggml_cuda_mm_fusion_args_devicePfj15HIP_vector_typeIjLj3EEjjjS8_jjjS8_jjjj.numbered_sgpr, 22
	.set _ZL13mul_mat_vec_qIL9ggml_type23ELi1ELb0ELb0EEvPKvS2_PKi31ggml_cuda_mm_fusion_args_devicePfj15HIP_vector_typeIjLj3EEjjjS8_jjjS8_jjjj.num_named_barrier, 0
	.set _ZL13mul_mat_vec_qIL9ggml_type23ELi1ELb0ELb0EEvPKvS2_PKi31ggml_cuda_mm_fusion_args_devicePfj15HIP_vector_typeIjLj3EEjjjS8_jjjS8_jjjj.private_seg_size, 0
	.set _ZL13mul_mat_vec_qIL9ggml_type23ELi1ELb0ELb0EEvPKvS2_PKi31ggml_cuda_mm_fusion_args_devicePfj15HIP_vector_typeIjLj3EEjjjS8_jjjS8_jjjj.uses_vcc, 1
	.set _ZL13mul_mat_vec_qIL9ggml_type23ELi1ELb0ELb0EEvPKvS2_PKi31ggml_cuda_mm_fusion_args_devicePfj15HIP_vector_typeIjLj3EEjjjS8_jjjS8_jjjj.uses_flat_scratch, 0
	.set _ZL13mul_mat_vec_qIL9ggml_type23ELi1ELb0ELb0EEvPKvS2_PKi31ggml_cuda_mm_fusion_args_devicePfj15HIP_vector_typeIjLj3EEjjjS8_jjjS8_jjjj.has_dyn_sized_stack, 0
	.set _ZL13mul_mat_vec_qIL9ggml_type23ELi1ELb0ELb0EEvPKvS2_PKi31ggml_cuda_mm_fusion_args_devicePfj15HIP_vector_typeIjLj3EEjjjS8_jjjS8_jjjj.has_recursion, 0
	.set _ZL13mul_mat_vec_qIL9ggml_type23ELi1ELb0ELb0EEvPKvS2_PKi31ggml_cuda_mm_fusion_args_devicePfj15HIP_vector_typeIjLj3EEjjjS8_jjjS8_jjjj.has_indirect_call, 0
	.section	.AMDGPU.csdata,"",@progbits
; Kernel info:
; codeLenInByte = 1764
; TotalNumSgprs: 24
; NumVgprs: 44
; ScratchSize: 0
; MemoryBound: 0
; FloatMode: 240
; IeeeMode: 1
; LDSByteSize: 896 bytes/workgroup (compile time only)
; SGPRBlocks: 0
; VGPRBlocks: 5
; NumSGPRsForWavesPerEU: 24
; NumVGPRsForWavesPerEU: 44
; Occupancy: 16
; WaveLimiterHint : 0
; COMPUTE_PGM_RSRC2:SCRATCH_EN: 0
; COMPUTE_PGM_RSRC2:USER_SGPR: 2
; COMPUTE_PGM_RSRC2:TRAP_HANDLER: 0
; COMPUTE_PGM_RSRC2:TGID_X_EN: 1
; COMPUTE_PGM_RSRC2:TGID_Y_EN: 1
; COMPUTE_PGM_RSRC2:TGID_Z_EN: 1
; COMPUTE_PGM_RSRC2:TIDIG_COMP_CNT: 1
	.section	.text._ZL13mul_mat_vec_qIL9ggml_type23ELi2ELb0ELb0EEvPKvS2_PKi31ggml_cuda_mm_fusion_args_devicePfj15HIP_vector_typeIjLj3EEjjjS8_jjjS8_jjjj,"axG",@progbits,_ZL13mul_mat_vec_qIL9ggml_type23ELi2ELb0ELb0EEvPKvS2_PKi31ggml_cuda_mm_fusion_args_devicePfj15HIP_vector_typeIjLj3EEjjjS8_jjjS8_jjjj,comdat
	.globl	_ZL13mul_mat_vec_qIL9ggml_type23ELi2ELb0ELb0EEvPKvS2_PKi31ggml_cuda_mm_fusion_args_devicePfj15HIP_vector_typeIjLj3EEjjjS8_jjjS8_jjjj ; -- Begin function _ZL13mul_mat_vec_qIL9ggml_type23ELi2ELb0ELb0EEvPKvS2_PKi31ggml_cuda_mm_fusion_args_devicePfj15HIP_vector_typeIjLj3EEjjjS8_jjjS8_jjjj
	.p2align	8
	.type	_ZL13mul_mat_vec_qIL9ggml_type23ELi2ELb0ELb0EEvPKvS2_PKi31ggml_cuda_mm_fusion_args_devicePfj15HIP_vector_typeIjLj3EEjjjS8_jjjS8_jjjj,@function
_ZL13mul_mat_vec_qIL9ggml_type23ELi2ELb0ELb0EEvPKvS2_PKi31ggml_cuda_mm_fusion_args_devicePfj15HIP_vector_typeIjLj3EEjjjS8_jjjS8_jjjj: ; @_ZL13mul_mat_vec_qIL9ggml_type23ELi2ELb0ELb0EEvPKvS2_PKi31ggml_cuda_mm_fusion_args_devicePfj15HIP_vector_typeIjLj3EEjjjS8_jjjS8_jjjj
; %bb.0:
	s_clause 0x5
	s_load_b96 s[16:18], s[0:1], 0x80
	s_load_b32 s2, s[0:1], 0x40
	s_load_b128 s[4:7], s[0:1], 0x50
	s_load_b32 s23, s[0:1], 0x60
	s_load_b128 s[8:11], s[0:1], 0x68
	s_load_b32 s24, s[0:1], 0x78
	v_bfe_u32 v6, v0, 10, 10
	v_dual_mov_b32 v5, 0 :: v_dual_and_b32 v4, 0x3ff, v0
	v_mov_b32_e32 v8, 0
	s_and_b32 s19, ttmp7, 0xffff
	s_lshr_b32 s20, ttmp7, 16
	s_delay_alu instid0(VALU_DEP_2) | instskip(SKIP_1) | instid1(VALU_DEP_1)
	v_lshl_or_b32 v0, v6, 5, v4
	s_mov_b32 s22, exec_lo
	v_lshrrev_b32_e32 v7, 3, v0
	s_wait_kmcnt 0x0
	s_lshr_b32 s21, s2, 8
	s_delay_alu instid0(VALU_DEP_1) | instid1(SALU_CYCLE_1)
	v_cmpx_gt_u32_e64 s21, v7
	s_cbranch_execz .LBB245_4
; %bb.1:
	v_lshl_add_u32 v0, v6, 5, v4
	s_mov_b32 s3, 0
	s_mul_i32 s26, s9, s19
	s_mov_b32 s27, s3
	s_load_b128 s[12:15], s[0:1], 0x0
	v_lshrrev_b32_e32 v0, 3, v0
	s_mul_u64 s[26:27], s[26:27], 36
	s_mul_i32 s2, s17, s20
	v_and_b32_e32 v5, 7, v4
	s_mul_hi_u32 s7, s7, s19
	v_mad_co_u64_u32 v[0:1], null, 0x120, v0, s[26:27]
	s_mul_hi_u32 s9, s11, s20
	s_add_co_i32 s7, s19, s7
	s_mul_u64 s[28:29], s[2:3], 36
	s_add_co_i32 s9, s20, s9
	s_lshr_b32 s7, s7, s23
	v_lshlrev_b32_e32 v8, 2, v4
	v_mad_co_u64_u32 v[0:1], null, s2, 36, v[0:1]
	s_lshr_b32 s11, s9, s24
	s_mul_i32 s7, s7, s8
	s_mul_i32 s4, s4, ttmp9
	v_lshl_add_u32 v12, v7, 3, s5
	s_wait_kmcnt 0x0
	s_add_nc_u64 s[8:9], s[14:15], s[28:29]
	s_mul_i32 s2, s11, s16
	v_mad_co_u64_u32 v[2:3], null, v5, 36, v[0:1]
	s_add_nc_u64 s[8:9], s[8:9], s[26:27]
	s_add_co_i32 s7, s7, s4
	v_mad_co_u64_u32 v[0:1], null, v5, 36, s[8:9]
	v_mov_b32_e32 v5, 0
	v_and_b32_e32 v13, 28, v8
	v_add_co_u32 v2, vcc_lo, s14, v2
	s_delay_alu instid0(VALU_DEP_1) | instskip(SKIP_1) | instid1(VALU_DEP_3)
	v_add_co_ci_u32_e64 v3, null, s15, v3, vcc_lo
	v_bfe_u32 v9, v8, 3, 2
	v_add_co_u32 v2, vcc_lo, v2, 16
	v_and_b32_e32 v10, 4, v8
	v_lshrrev_b32_e32 v11, 1, v13
	s_wait_alu 0xfffd
	v_add_co_ci_u32_e64 v3, null, 0, v3, vcc_lo
	v_dual_mov_b32 v8, 0 :: v_dual_lshlrev_b32 v13, 2, v13
	s_wait_alu 0xfffe
	s_add_co_i32 s4, s2, s7
	s_mov_b32 s5, 0xf6eaddcf
	s_mov_b32 s7, 0x71594535
	;; [unrolled: 1-line block ×3, first 2 shown]
.LBB245_2:                              ; =>This Inner Loop Header: Depth=1
	s_wait_alu 0xfffe
	v_add_nc_u32_e32 v22, s4, v7
	v_mad_co_u64_u32 v[34:35], null, v12, 36, v[0:1]
	s_clause 0x1
	global_load_b128 v[14:17], v[2:3], off offset:-16
	global_load_b128 v[18:21], v[2:3], off
	v_add_nc_u32_e32 v12, 32, v12
	v_mad_co_i64_i32 v[36:37], null, 0x88, v22, s[12:13]
	s_clause 0x1
	global_load_b128 v[22:25], v[34:35], off
	global_load_b128 v[26:29], v[34:35], off offset:16
	v_add_co_u32 v30, vcc_lo, v36, v13
	s_wait_alu 0xfffd
	v_add_co_ci_u32_e64 v31, null, 0, v37, vcc_lo
	v_add_co_u32 v38, vcc_lo, v36, v9
	s_wait_alu 0xfffd
	v_add_co_ci_u32_e64 v39, null, 0, v37, vcc_lo
	s_clause 0x2
	global_load_b128 v[30:33], v[30:31], off offset:8
	global_load_u8 v38, v[38:39], off offset:4
	global_load_b32 v36, v[36:37], off
	global_load_b32 v37, v[2:3], off offset:16
	global_load_b32 v34, v[34:35], off offset:32
	v_add_co_u32 v2, vcc_lo, 0x480, v2
	s_wait_alu 0xfffd
	v_add_co_ci_u32_e64 v3, null, 0, v3, vcc_lo
	s_wait_loadcnt 0x8
	v_cvt_f32_f16_e32 v14, v14
	s_wait_loadcnt 0x4
	v_ashrrev_i32_e32 v35, 4, v30
	v_and_b32_e32 v39, 0x7070707, v30
	v_lshrrev_b32_e32 v30, 1, v30
	v_ashrrev_i32_e32 v40, 4, v31
	v_and_b32_e32 v41, 0x7070707, v31
	v_and_b32_e32 v48, 0x7070707, v35
	v_perm_b32 v47, s5, 0xbfad9881, v39
	v_perm_b32 v39, s7, 0x26190d01, v39
	v_and_or_b32 v30, v30, s8, 0x3020100
	v_lshrrev_b32_e32 v35, 1, v35
	v_lshrrev_b32_e32 v31, 1, v31
	v_perm_b32 v55, s5, 0xbfad9881, v48
	v_perm_b32 v48, s7, 0x26190d01, v48
	;; [unrolled: 1-line block ×3, first 2 shown]
	v_and_or_b32 v35, v35, s8, 0x3020100
	v_perm_b32 v49, s5, 0xbfad9881, v41
	v_and_b32_e32 v50, 0x7070707, v40
	v_perm_b32 v41, s7, 0x26190d01, v41
	v_and_or_b32 v31, v31, s8, 0x3020100
	v_lshrrev_b32_e32 v40, 1, v40
	v_perm_b32 v35, v48, v55, v35
	v_dot4_i32_iu8 v15, v30, v15, 0 neg_lo:[1,1,0]
	v_dot4_i32_iu8 v23, v30, v23, 0 neg_lo:[1,1,0]
	v_ashrrev_i32_e32 v42, 4, v32
	v_and_b32_e32 v43, 0x7070707, v32
	v_lshrrev_b32_e32 v32, 1, v32
	v_perm_b32 v39, s5, 0xbfad9881, v50
	v_perm_b32 v47, s7, 0x26190d01, v50
	;; [unrolled: 1-line block ×3, first 2 shown]
	v_and_or_b32 v40, v40, s8, 0x3020100
	v_dot4_i32_iu8 v15, v35, v19, v15 neg_lo:[1,1,0]
	v_dot4_i32_iu8 v19, v35, v27, v23 neg_lo:[1,1,0]
	v_perm_b32 v51, s5, 0xbfad9881, v43
	v_and_b32_e32 v52, 0x7070707, v42
	v_perm_b32 v43, s7, 0x26190d01, v43
	v_and_or_b32 v32, v32, s8, 0x3020100
	v_lshrrev_b32_e32 v42, 1, v42
	v_perm_b32 v27, v47, v39, v40
	v_dot4_i32_iu8 v15, v31, v16, v15 neg_lo:[1,1,0]
	v_dot4_i32_iu8 v16, v31, v24, v19 neg_lo:[1,1,0]
	v_ashrrev_i32_e32 v44, 4, v33
	v_and_b32_e32 v45, 0x7070707, v33
	v_lshrrev_b32_e32 v33, 1, v33
	s_wait_loadcnt 0x2
	v_lshrrev_b32_e32 v46, 16, v36
	v_perm_b32 v41, s5, 0xbfad9881, v52
	v_perm_b32 v30, s7, 0x26190d01, v52
	;; [unrolled: 1-line block ×3, first 2 shown]
	v_and_or_b32 v23, v42, s8, 0x3020100
	v_dot4_i32_iu8 v15, v27, v20, v15 neg_lo:[1,1,0]
	v_dot4_i32_iu8 v16, v27, v28, v16 neg_lo:[1,1,0]
	v_perm_b32 v53, s5, 0xbfad9881, v45
	v_and_b32_e32 v54, 0x7070707, v44
	v_perm_b32 v45, s7, 0x26190d01, v45
	v_and_or_b32 v33, v33, s8, 0x3020100
	v_lshrrev_b32_e32 v44, 1, v44
	v_lshrrev_b32_e32 v46, v11, v46
	v_perm_b32 v23, v30, v41, v23
	v_dot4_i32_iu8 v15, v32, v17, v15 neg_lo:[1,1,0]
	v_dot4_i32_iu8 v16, v32, v25, v16 neg_lo:[1,1,0]
	v_bfe_u32 v38, v38, v10, 4
	v_perm_b32 v19, s5, 0xbfad9881, v54
	v_perm_b32 v24, s7, 0x26190d01, v54
	;; [unrolled: 1-line block ×3, first 2 shown]
	v_and_or_b32 v17, v44, s8, 0x3020100
	v_lshlrev_b32_e32 v25, 4, v46
	v_dot4_i32_iu8 v15, v23, v21, v15 neg_lo:[1,1,0]
	v_dot4_i32_iu8 v16, v23, v29, v16 neg_lo:[1,1,0]
	s_delay_alu instid0(VALU_DEP_4) | instskip(NEXT) | instid1(VALU_DEP_4)
	v_perm_b32 v17, v24, v19, v17
	v_and_or_b32 v19, v25, 48, v38
	s_delay_alu instid0(VALU_DEP_4) | instskip(NEXT) | instid1(VALU_DEP_4)
	v_dot4_i32_iu8 v15, v20, v18, v15 neg_lo:[1,1,0]
	v_dot4_i32_iu8 v16, v20, v26, v16 neg_lo:[1,1,0]
	s_delay_alu instid0(VALU_DEP_3) | instskip(SKIP_1) | instid1(VALU_DEP_3)
	v_subrev_nc_u32_e32 v18, 32, v19
	s_wait_loadcnt 0x1
	v_dot4_i32_iu8 v15, v17, v37, v15 neg_lo:[1,1,0]
	s_wait_loadcnt 0x0
	v_dot4_i32_iu8 v16, v17, v34, v16 neg_lo:[1,1,0]
	v_cvt_f32_f16_e32 v17, v22
	s_delay_alu instid0(VALU_DEP_3) | instskip(NEXT) | instid1(VALU_DEP_3)
	v_mul_lo_u32 v15, v18, v15
	v_mul_lo_u32 v16, v18, v16
	v_cvt_f32_f16_e32 v18, v36
	s_delay_alu instid0(VALU_DEP_1) | instskip(SKIP_3) | instid1(VALU_DEP_4)
	v_dual_mul_f32 v14, v18, v14 :: v_dual_add_nc_u32 v7, 4, v7
	v_mul_f32_e32 v17, v18, v17
	v_cvt_f32_i32_e32 v15, v15
	v_cvt_f32_i32_e32 v16, v16
	v_cmp_le_u32_e64 s2, s21, v7
	s_delay_alu instid0(VALU_DEP_2)
	v_dual_fmac_f32 v8, v14, v15 :: v_dual_fmac_f32 v5, v17, v16
	s_or_b32 s3, s2, s3
	s_wait_alu 0xfffe
	s_and_not1_b32 exec_lo, exec_lo, s3
	s_cbranch_execnz .LBB245_2
; %bb.3:
	s_or_b32 exec_lo, exec_lo, s3
.LBB245_4:
	s_delay_alu instid0(SALU_CYCLE_1)
	s_or_b32 exec_lo, exec_lo, s22
	s_mov_b32 s3, 0
	; wave barrier
	global_inv scope:SCOPE_SE
	s_mov_b32 s2, exec_lo
	v_cmpx_eq_u32_e32 0, v6
	s_cbranch_execz .LBB245_9
; %bb.5:
	v_mbcnt_lo_u32_b32 v6, -1, 0
	s_load_b64 s[0:1], s[0:1], 0x38
	s_mul_i32 s2, s10, s19
	s_mul_i32 s4, s18, s20
	s_wait_alu 0xfffe
	s_add_co_i32 s2, s2, ttmp9
	v_xor_b32_e32 v0, 16, v6
	v_xor_b32_e32 v1, 8, v6
	;; [unrolled: 1-line block ×3, first 2 shown]
	s_wait_alu 0xfffe
	s_add_co_i32 s2, s2, s4
	s_wait_alu 0xfffe
	s_lshl_b64 s[2:3], s[2:3], 2
	v_cmp_gt_i32_e32 vcc_lo, 32, v0
	s_wait_alu 0xfffd
	v_cndmask_b32_e32 v0, v6, v0, vcc_lo
	v_cmp_gt_i32_e32 vcc_lo, 32, v1
	s_wait_kmcnt 0x0
	s_wait_alu 0xfffe
	s_add_nc_u64 s[0:1], s[0:1], s[2:3]
	s_wait_alu 0xfffd
	v_cndmask_b32_e32 v1, v6, v1, vcc_lo
	s_delay_alu instid0(VALU_DEP_1)
	v_lshlrev_b32_e32 v1, 2, v1
	v_lshlrev_b32_e32 v0, 2, v0
	ds_bpermute_b32 v2, v0, v8
	s_wait_dscnt 0x0
	v_add_f32_e32 v3, v8, v2
	v_xor_b32_e32 v2, 4, v6
	ds_bpermute_b32 v7, v1, v3
	v_cmp_gt_i32_e32 vcc_lo, 32, v2
	s_wait_dscnt 0x0
	s_wait_alu 0xfffd
	v_dual_cndmask_b32 v2, v6, v2 :: v_dual_add_f32 v7, v3, v7
	s_delay_alu instid0(VALU_DEP_1)
	v_lshlrev_b32_e32 v2, 2, v2
	v_xor_b32_e32 v3, 2, v6
	ds_bpermute_b32 v8, v2, v7
	v_cmp_gt_i32_e32 vcc_lo, 32, v3
	s_wait_alu 0xfffd
	v_cndmask_b32_e32 v3, v6, v3, vcc_lo
	v_cmp_gt_i32_e32 vcc_lo, 32, v9
	s_wait_alu 0xfffd
	v_cndmask_b32_e32 v6, v6, v9, vcc_lo
	v_cmp_eq_u32_e32 vcc_lo, 0, v4
	s_delay_alu instid0(VALU_DEP_2)
	v_lshlrev_b32_e32 v6, 2, v6
	v_lshlrev_b32_e32 v3, 2, v3
	s_wait_dscnt 0x0
	v_add_f32_e32 v7, v7, v8
	ds_bpermute_b32 v8, v3, v7
	s_wait_dscnt 0x0
	v_add_f32_e32 v7, v7, v8
	ds_bpermute_b32 v8, v6, v7
	s_and_saveexec_b32 s2, vcc_lo
	s_cbranch_execz .LBB245_7
; %bb.6:
	s_wait_dscnt 0x0
	v_dual_add_f32 v4, v7, v8 :: v_dual_mov_b32 v7, 0
	global_store_b32 v7, v4, s[0:1]
.LBB245_7:
	s_wait_alu 0xfffe
	s_or_b32 exec_lo, exec_lo, s2
	ds_bpermute_b32 v0, v0, v5
	s_wait_dscnt 0x0
	v_add_f32_e32 v0, v5, v0
	ds_bpermute_b32 v1, v1, v0
	s_wait_dscnt 0x0
	v_add_f32_e32 v0, v0, v1
	;; [unrolled: 3-line block ×4, first 2 shown]
	ds_bpermute_b32 v1, v6, v0
	s_and_b32 exec_lo, exec_lo, vcc_lo
	s_cbranch_execz .LBB245_9
; %bb.8:
	s_mov_b32 s7, 0
	s_wait_dscnt 0x0
	v_dual_add_f32 v0, v0, v1 :: v_dual_mov_b32 v1, 0
	s_wait_alu 0xfffe
	s_lshl_b64 s[2:3], s[6:7], 2
	s_wait_alu 0xfffe
	s_add_nc_u64 s[0:1], s[0:1], s[2:3]
	global_store_b32 v1, v0, s[0:1]
.LBB245_9:
	s_endpgm
	.section	.rodata,"a",@progbits
	.p2align	6, 0x0
	.amdhsa_kernel _ZL13mul_mat_vec_qIL9ggml_type23ELi2ELb0ELb0EEvPKvS2_PKi31ggml_cuda_mm_fusion_args_devicePfj15HIP_vector_typeIjLj3EEjjjS8_jjjS8_jjjj
		.amdhsa_group_segment_fixed_size 0
		.amdhsa_private_segment_fixed_size 0
		.amdhsa_kernarg_size 144
		.amdhsa_user_sgpr_count 2
		.amdhsa_user_sgpr_dispatch_ptr 0
		.amdhsa_user_sgpr_queue_ptr 0
		.amdhsa_user_sgpr_kernarg_segment_ptr 1
		.amdhsa_user_sgpr_dispatch_id 0
		.amdhsa_user_sgpr_private_segment_size 0
		.amdhsa_wavefront_size32 1
		.amdhsa_uses_dynamic_stack 0
		.amdhsa_enable_private_segment 0
		.amdhsa_system_sgpr_workgroup_id_x 1
		.amdhsa_system_sgpr_workgroup_id_y 1
		.amdhsa_system_sgpr_workgroup_id_z 1
		.amdhsa_system_sgpr_workgroup_info 0
		.amdhsa_system_vgpr_workitem_id 1
		.amdhsa_next_free_vgpr 56
		.amdhsa_next_free_sgpr 30
		.amdhsa_reserve_vcc 1
		.amdhsa_float_round_mode_32 0
		.amdhsa_float_round_mode_16_64 0
		.amdhsa_float_denorm_mode_32 3
		.amdhsa_float_denorm_mode_16_64 3
		.amdhsa_fp16_overflow 0
		.amdhsa_workgroup_processor_mode 1
		.amdhsa_memory_ordered 1
		.amdhsa_forward_progress 1
		.amdhsa_inst_pref_size 15
		.amdhsa_round_robin_scheduling 0
		.amdhsa_exception_fp_ieee_invalid_op 0
		.amdhsa_exception_fp_denorm_src 0
		.amdhsa_exception_fp_ieee_div_zero 0
		.amdhsa_exception_fp_ieee_overflow 0
		.amdhsa_exception_fp_ieee_underflow 0
		.amdhsa_exception_fp_ieee_inexact 0
		.amdhsa_exception_int_div_zero 0
	.end_amdhsa_kernel
	.section	.text._ZL13mul_mat_vec_qIL9ggml_type23ELi2ELb0ELb0EEvPKvS2_PKi31ggml_cuda_mm_fusion_args_devicePfj15HIP_vector_typeIjLj3EEjjjS8_jjjS8_jjjj,"axG",@progbits,_ZL13mul_mat_vec_qIL9ggml_type23ELi2ELb0ELb0EEvPKvS2_PKi31ggml_cuda_mm_fusion_args_devicePfj15HIP_vector_typeIjLj3EEjjjS8_jjjS8_jjjj,comdat
.Lfunc_end245:
	.size	_ZL13mul_mat_vec_qIL9ggml_type23ELi2ELb0ELb0EEvPKvS2_PKi31ggml_cuda_mm_fusion_args_devicePfj15HIP_vector_typeIjLj3EEjjjS8_jjjS8_jjjj, .Lfunc_end245-_ZL13mul_mat_vec_qIL9ggml_type23ELi2ELb0ELb0EEvPKvS2_PKi31ggml_cuda_mm_fusion_args_devicePfj15HIP_vector_typeIjLj3EEjjjS8_jjjS8_jjjj
                                        ; -- End function
	.set _ZL13mul_mat_vec_qIL9ggml_type23ELi2ELb0ELb0EEvPKvS2_PKi31ggml_cuda_mm_fusion_args_devicePfj15HIP_vector_typeIjLj3EEjjjS8_jjjS8_jjjj.num_vgpr, 56
	.set _ZL13mul_mat_vec_qIL9ggml_type23ELi2ELb0ELb0EEvPKvS2_PKi31ggml_cuda_mm_fusion_args_devicePfj15HIP_vector_typeIjLj3EEjjjS8_jjjS8_jjjj.num_agpr, 0
	.set _ZL13mul_mat_vec_qIL9ggml_type23ELi2ELb0ELb0EEvPKvS2_PKi31ggml_cuda_mm_fusion_args_devicePfj15HIP_vector_typeIjLj3EEjjjS8_jjjS8_jjjj.numbered_sgpr, 30
	.set _ZL13mul_mat_vec_qIL9ggml_type23ELi2ELb0ELb0EEvPKvS2_PKi31ggml_cuda_mm_fusion_args_devicePfj15HIP_vector_typeIjLj3EEjjjS8_jjjS8_jjjj.num_named_barrier, 0
	.set _ZL13mul_mat_vec_qIL9ggml_type23ELi2ELb0ELb0EEvPKvS2_PKi31ggml_cuda_mm_fusion_args_devicePfj15HIP_vector_typeIjLj3EEjjjS8_jjjS8_jjjj.private_seg_size, 0
	.set _ZL13mul_mat_vec_qIL9ggml_type23ELi2ELb0ELb0EEvPKvS2_PKi31ggml_cuda_mm_fusion_args_devicePfj15HIP_vector_typeIjLj3EEjjjS8_jjjS8_jjjj.uses_vcc, 1
	.set _ZL13mul_mat_vec_qIL9ggml_type23ELi2ELb0ELb0EEvPKvS2_PKi31ggml_cuda_mm_fusion_args_devicePfj15HIP_vector_typeIjLj3EEjjjS8_jjjS8_jjjj.uses_flat_scratch, 0
	.set _ZL13mul_mat_vec_qIL9ggml_type23ELi2ELb0ELb0EEvPKvS2_PKi31ggml_cuda_mm_fusion_args_devicePfj15HIP_vector_typeIjLj3EEjjjS8_jjjS8_jjjj.has_dyn_sized_stack, 0
	.set _ZL13mul_mat_vec_qIL9ggml_type23ELi2ELb0ELb0EEvPKvS2_PKi31ggml_cuda_mm_fusion_args_devicePfj15HIP_vector_typeIjLj3EEjjjS8_jjjS8_jjjj.has_recursion, 0
	.set _ZL13mul_mat_vec_qIL9ggml_type23ELi2ELb0ELb0EEvPKvS2_PKi31ggml_cuda_mm_fusion_args_devicePfj15HIP_vector_typeIjLj3EEjjjS8_jjjS8_jjjj.has_indirect_call, 0
	.section	.AMDGPU.csdata,"",@progbits
; Kernel info:
; codeLenInByte = 1804
; TotalNumSgprs: 32
; NumVgprs: 56
; ScratchSize: 0
; MemoryBound: 0
; FloatMode: 240
; IeeeMode: 1
; LDSByteSize: 0 bytes/workgroup (compile time only)
; SGPRBlocks: 0
; VGPRBlocks: 6
; NumSGPRsForWavesPerEU: 32
; NumVGPRsForWavesPerEU: 56
; Occupancy: 16
; WaveLimiterHint : 0
; COMPUTE_PGM_RSRC2:SCRATCH_EN: 0
; COMPUTE_PGM_RSRC2:USER_SGPR: 2
; COMPUTE_PGM_RSRC2:TRAP_HANDLER: 0
; COMPUTE_PGM_RSRC2:TGID_X_EN: 1
; COMPUTE_PGM_RSRC2:TGID_Y_EN: 1
; COMPUTE_PGM_RSRC2:TGID_Z_EN: 1
; COMPUTE_PGM_RSRC2:TIDIG_COMP_CNT: 1
	.section	.text._ZL13mul_mat_vec_qIL9ggml_type23ELi3ELb0ELb0EEvPKvS2_PKi31ggml_cuda_mm_fusion_args_devicePfj15HIP_vector_typeIjLj3EEjjjS8_jjjS8_jjjj,"axG",@progbits,_ZL13mul_mat_vec_qIL9ggml_type23ELi3ELb0ELb0EEvPKvS2_PKi31ggml_cuda_mm_fusion_args_devicePfj15HIP_vector_typeIjLj3EEjjjS8_jjjS8_jjjj,comdat
	.globl	_ZL13mul_mat_vec_qIL9ggml_type23ELi3ELb0ELb0EEvPKvS2_PKi31ggml_cuda_mm_fusion_args_devicePfj15HIP_vector_typeIjLj3EEjjjS8_jjjS8_jjjj ; -- Begin function _ZL13mul_mat_vec_qIL9ggml_type23ELi3ELb0ELb0EEvPKvS2_PKi31ggml_cuda_mm_fusion_args_devicePfj15HIP_vector_typeIjLj3EEjjjS8_jjjS8_jjjj
	.p2align	8
	.type	_ZL13mul_mat_vec_qIL9ggml_type23ELi3ELb0ELb0EEvPKvS2_PKi31ggml_cuda_mm_fusion_args_devicePfj15HIP_vector_typeIjLj3EEjjjS8_jjjS8_jjjj,@function
_ZL13mul_mat_vec_qIL9ggml_type23ELi3ELb0ELb0EEvPKvS2_PKi31ggml_cuda_mm_fusion_args_devicePfj15HIP_vector_typeIjLj3EEjjjS8_jjjS8_jjjj: ; @_ZL13mul_mat_vec_qIL9ggml_type23ELi3ELb0ELb0EEvPKvS2_PKi31ggml_cuda_mm_fusion_args_devicePfj15HIP_vector_typeIjLj3EEjjjS8_jjjS8_jjjj
; %bb.0:
	s_clause 0x5
	s_load_b96 s[16:18], s[0:1], 0x80
	s_load_b32 s2, s[0:1], 0x40
	s_load_b128 s[4:7], s[0:1], 0x50
	s_load_b32 s23, s[0:1], 0x60
	s_load_b128 s[8:11], s[0:1], 0x68
	s_load_b32 s24, s[0:1], 0x78
	v_bfe_u32 v6, v0, 10, 10
	v_dual_mov_b32 v5, 0 :: v_dual_and_b32 v4, 0x3ff, v0
	v_mov_b32_e32 v7, 0
	v_mov_b32_e32 v9, 0
	s_and_b32 s19, ttmp7, 0xffff
	s_delay_alu instid0(VALU_DEP_3) | instskip(SKIP_2) | instid1(VALU_DEP_1)
	v_lshl_or_b32 v0, v6, 5, v4
	s_lshr_b32 s20, ttmp7, 16
	s_mov_b32 s21, exec_lo
	v_lshrrev_b32_e32 v8, 3, v0
	s_wait_kmcnt 0x0
	s_lshr_b32 s22, s2, 8
	s_delay_alu instid0(VALU_DEP_1) | instid1(SALU_CYCLE_1)
	v_cmpx_gt_u32_e64 s22, v8
	s_cbranch_execz .LBB246_4
; %bb.1:
	v_lshl_add_u32 v0, v6, 5, v4
	s_mov_b32 s3, 0
	s_mul_i32 s26, s9, s19
	s_mov_b32 s27, s3
	s_load_b128 s[12:15], s[0:1], 0x0
	v_lshrrev_b32_e32 v0, 3, v0
	s_mul_u64 s[26:27], s[26:27], 36
	s_mul_i32 s2, s17, s20
	v_and_b32_e32 v5, 7, v4
	s_mul_hi_u32 s7, s7, s19
	v_mad_co_u64_u32 v[0:1], null, 0x120, v0, s[26:27]
	s_mul_hi_u32 s11, s11, s20
	s_add_co_i32 s7, s19, s7
	v_lshlrev_b32_e32 v7, 2, v4
	s_add_co_i32 s9, s20, s11
	s_mul_u64 s[28:29], s[2:3], 36
	s_lshr_b32 s7, s7, s23
	v_mad_co_u64_u32 v[2:3], null, s2, 36, v[0:1]
	s_lshr_b32 s11, s9, s24
	s_mul_i32 s7, s7, s8
	v_and_b32_e32 v9, 28, v7
	v_lshlrev_b32_e32 v14, 3, v8
	s_wait_kmcnt 0x0
	s_add_nc_u64 s[8:9], s[14:15], s[28:29]
	s_mul_i32 s4, s4, ttmp9
	v_mad_co_u64_u32 v[2:3], null, v5, 36, v[2:3]
	s_add_nc_u64 s[8:9], s[8:9], s[26:27]
	v_bfe_u32 v10, v7, 3, 2
	v_mad_co_u64_u32 v[0:1], null, v5, 36, s[8:9]
	v_mov_b32_e32 v5, 0
	v_and_b32_e32 v11, 4, v7
	v_add_co_u32 v2, vcc_lo, s14, v2
	s_delay_alu instid0(VALU_DEP_1) | instskip(SKIP_1) | instid1(VALU_DEP_3)
	v_add_co_ci_u32_e64 v3, null, s15, v3, vcc_lo
	v_lshrrev_b32_e32 v12, 1, v9
	v_add_co_u32 v2, vcc_lo, v2, 16
	v_add_nc_u32_e32 v13, s5, v14
	v_lshl_add_u32 v14, s5, 1, v14
	s_wait_alu 0xfffd
	v_add_co_ci_u32_e64 v3, null, 0, v3, vcc_lo
	v_lshlrev_b32_e32 v15, 2, v9
	v_mov_b32_e32 v7, 0
	v_mov_b32_e32 v9, 0
	s_mul_i32 s11, s11, s16
	s_add_co_i32 s7, s7, s4
	s_mov_b32 s4, 0xf6eaddcf
	s_add_co_i32 s2, s11, s7
	s_mov_b32 s5, 0x71594535
	s_mov_b32 s7, 0x4040404
.LBB246_2:                              ; =>This Inner Loop Header: Depth=1
	s_wait_alu 0xfffe
	v_add_nc_u32_e32 v24, s2, v8
	v_mad_co_u64_u32 v[32:33], null, v13, 36, v[0:1]
	v_mad_co_u64_u32 v[36:37], null, v14, 36, v[0:1]
	s_delay_alu instid0(VALU_DEP_3)
	v_mad_co_i64_i32 v[44:45], null, 0x88, v24, s[12:13]
	s_clause 0x1
	global_load_b128 v[16:19], v[2:3], off offset:-16
	global_load_b128 v[20:23], v[2:3], off
	s_clause 0x5
	global_load_b128 v[24:27], v[32:33], off
	global_load_b128 v[28:31], v[32:33], off offset:16
	global_load_b32 v48, v[32:33], off offset:32
	global_load_b128 v[32:35], v[36:37], off
	global_load_b32 v49, v[36:37], off offset:32
	global_load_b128 v[36:39], v[36:37], off offset:16
	v_add_co_u32 v40, vcc_lo, v44, v15
	s_wait_alu 0xfffd
	v_add_co_ci_u32_e64 v41, null, 0, v45, vcc_lo
	v_add_co_u32 v46, vcc_lo, v44, v10
	s_wait_alu 0xfffd
	v_add_co_ci_u32_e64 v47, null, 0, v45, vcc_lo
	s_clause 0x2
	global_load_b128 v[40:43], v[40:41], off offset:8
	global_load_u8 v46, v[46:47], off offset:4
	global_load_b32 v44, v[44:45], off
	global_load_b32 v45, v[2:3], off offset:16
	v_add_co_u32 v2, vcc_lo, 0x480, v2
	s_wait_alu 0xfffd
	v_add_co_ci_u32_e64 v3, null, 0, v3, vcc_lo
	s_wait_loadcnt 0x9
	v_cvt_f32_f16_e32 v24, v24
	v_cvt_f32_f16_e32 v16, v16
	s_wait_loadcnt 0x6
	v_cvt_f32_f16_e32 v32, v32
	s_wait_loadcnt 0x3
	v_ashrrev_i32_e32 v47, 4, v40
	v_and_b32_e32 v50, 0x7070707, v40
	v_lshrrev_b32_e32 v40, 1, v40
	v_ashrrev_i32_e32 v51, 4, v41
	v_and_b32_e32 v52, 0x7070707, v41
	v_and_b32_e32 v59, 0x7070707, v47
	v_perm_b32 v58, s4, 0xbfad9881, v50
	v_perm_b32 v50, s5, 0x26190d01, v50
	v_and_or_b32 v40, v40, s7, 0x3020100
	v_lshrrev_b32_e32 v47, 1, v47
	v_lshrrev_b32_e32 v41, 1, v41
	v_perm_b32 v66, s4, 0xbfad9881, v59
	v_perm_b32 v59, s5, 0x26190d01, v59
	;; [unrolled: 1-line block ×3, first 2 shown]
	v_and_or_b32 v47, v47, s7, 0x3020100
	v_perm_b32 v60, s4, 0xbfad9881, v52
	v_and_b32_e32 v61, 0x7070707, v51
	v_perm_b32 v52, s5, 0x26190d01, v52
	v_and_or_b32 v41, v41, s7, 0x3020100
	v_lshrrev_b32_e32 v51, 1, v51
	v_perm_b32 v47, v59, v66, v47
	v_dot4_i32_iu8 v17, v40, v17, 0 neg_lo:[1,1,0]
	v_dot4_i32_iu8 v25, v40, v25, 0 neg_lo:[1,1,0]
	;; [unrolled: 1-line block ×3, first 2 shown]
	v_ashrrev_i32_e32 v53, 4, v42
	v_and_b32_e32 v54, 0x7070707, v42
	v_lshrrev_b32_e32 v42, 1, v42
	v_perm_b32 v50, s4, 0xbfad9881, v61
	v_perm_b32 v58, s5, 0x26190d01, v61
	;; [unrolled: 1-line block ×3, first 2 shown]
	v_and_or_b32 v51, v51, s7, 0x3020100
	v_dot4_i32_iu8 v17, v47, v21, v17 neg_lo:[1,1,0]
	v_dot4_i32_iu8 v21, v47, v29, v25 neg_lo:[1,1,0]
	;; [unrolled: 1-line block ×3, first 2 shown]
	v_perm_b32 v62, s4, 0xbfad9881, v54
	v_and_b32_e32 v63, 0x7070707, v53
	v_perm_b32 v54, s5, 0x26190d01, v54
	v_and_or_b32 v42, v42, s7, 0x3020100
	v_lshrrev_b32_e32 v53, 1, v53
	v_perm_b32 v50, v58, v50, v51
	v_dot4_i32_iu8 v17, v41, v18, v17 neg_lo:[1,1,0]
	v_dot4_i32_iu8 v18, v41, v26, v21 neg_lo:[1,1,0]
	;; [unrolled: 1-line block ×3, first 2 shown]
	v_ashrrev_i32_e32 v55, 4, v43
	v_and_b32_e32 v56, 0x7070707, v43
	v_lshrrev_b32_e32 v43, 1, v43
	s_wait_loadcnt 0x1
	v_lshrrev_b32_e32 v57, 16, v44
	v_perm_b32 v52, s4, 0xbfad9881, v63
	v_perm_b32 v60, s5, 0x26190d01, v63
	;; [unrolled: 1-line block ×3, first 2 shown]
	v_and_or_b32 v53, v53, s7, 0x3020100
	v_dot4_i32_iu8 v18, v50, v30, v18 neg_lo:[1,1,0]
	v_dot4_i32_iu8 v17, v50, v22, v17 neg_lo:[1,1,0]
	;; [unrolled: 1-line block ×3, first 2 shown]
	v_perm_b32 v64, s4, 0xbfad9881, v56
	v_and_b32_e32 v65, 0x7070707, v55
	v_perm_b32 v56, s5, 0x26190d01, v56
	v_and_or_b32 v43, v43, s7, 0x3020100
	v_lshrrev_b32_e32 v55, 1, v55
	v_lshrrev_b32_e32 v57, v12, v57
	v_perm_b32 v51, v60, v52, v53
	v_dot4_i32_iu8 v18, v42, v27, v18 neg_lo:[1,1,0]
	v_dot4_i32_iu8 v17, v42, v19, v17 neg_lo:[1,1,0]
	;; [unrolled: 1-line block ×3, first 2 shown]
	v_bfe_u32 v46, v46, v11, 4
	v_perm_b32 v54, s4, 0xbfad9881, v65
	v_perm_b32 v61, s5, 0x26190d01, v65
	;; [unrolled: 1-line block ×3, first 2 shown]
	v_and_or_b32 v55, v55, s7, 0x3020100
	v_lshlrev_b32_e32 v56, 4, v57
	v_dot4_i32_iu8 v18, v51, v31, v18 neg_lo:[1,1,0]
	v_dot4_i32_iu8 v17, v51, v23, v17 neg_lo:[1,1,0]
	;; [unrolled: 1-line block ×3, first 2 shown]
	v_perm_b32 v40, v61, v54, v55
	v_and_or_b32 v46, v56, 48, v46
	v_dot4_i32_iu8 v18, v43, v28, v18 neg_lo:[1,1,0]
	v_dot4_i32_iu8 v17, v43, v20, v17 neg_lo:[1,1,0]
	;; [unrolled: 1-line block ×3, first 2 shown]
	v_cvt_f32_f16_e32 v20, v44
	v_subrev_nc_u32_e32 v29, 32, v46
	v_dot4_i32_iu8 v18, v40, v48, v18 neg_lo:[1,1,0]
	s_wait_loadcnt 0x0
	v_dot4_i32_iu8 v17, v40, v45, v17 neg_lo:[1,1,0]
	v_dot4_i32_iu8 v19, v40, v49, v19 neg_lo:[1,1,0]
	v_dual_mul_f32 v21, v20, v24 :: v_dual_add_nc_u32 v14, 32, v14
	v_mul_lo_u32 v18, v29, v18
	s_delay_alu instid0(VALU_DEP_4) | instskip(NEXT) | instid1(VALU_DEP_4)
	v_mul_lo_u32 v17, v29, v17
	v_mul_lo_u32 v19, v29, v19
	v_dual_mul_f32 v16, v20, v16 :: v_dual_add_nc_u32 v13, 32, v13
	v_mul_f32_e32 v20, v20, v32
	v_cvt_f32_i32_e32 v18, v18
	v_add_nc_u32_e32 v8, 4, v8
	v_cvt_f32_i32_e32 v17, v17
	v_cvt_f32_i32_e32 v19, v19
	s_delay_alu instid0(VALU_DEP_4) | instskip(NEXT) | instid1(VALU_DEP_4)
	v_fmac_f32_e32 v7, v21, v18
	v_cmp_le_u32_e32 vcc_lo, s22, v8
	s_delay_alu instid0(VALU_DEP_4) | instskip(NEXT) | instid1(VALU_DEP_4)
	v_fmac_f32_e32 v9, v16, v17
	v_fmac_f32_e32 v5, v20, v19
	s_or_b32 s3, vcc_lo, s3
	s_wait_alu 0xfffe
	s_and_not1_b32 exec_lo, exec_lo, s3
	s_cbranch_execnz .LBB246_2
; %bb.3:
	s_or_b32 exec_lo, exec_lo, s3
.LBB246_4:
	s_delay_alu instid0(SALU_CYCLE_1)
	s_or_b32 exec_lo, exec_lo, s21
	s_mov_b32 s3, 0
	; wave barrier
	global_inv scope:SCOPE_SE
	s_mov_b32 s2, exec_lo
	v_cmpx_eq_u32_e32 0, v6
	s_cbranch_execz .LBB246_11
; %bb.5:
	v_mbcnt_lo_u32_b32 v6, -1, 0
	s_load_b64 s[0:1], s[0:1], 0x38
	s_mul_i32 s2, s10, s19
	s_mul_i32 s4, s18, s20
	s_wait_alu 0xfffe
	s_add_co_i32 s2, s2, ttmp9
	v_xor_b32_e32 v0, 16, v6
	v_xor_b32_e32 v1, 8, v6
	;; [unrolled: 1-line block ×3, first 2 shown]
	s_wait_alu 0xfffe
	s_add_co_i32 s2, s2, s4
	s_wait_alu 0xfffe
	s_lshl_b64 s[2:3], s[2:3], 2
	v_cmp_gt_i32_e32 vcc_lo, 32, v0
	s_wait_alu 0xfffd
	v_cndmask_b32_e32 v0, v6, v0, vcc_lo
	v_cmp_gt_i32_e32 vcc_lo, 32, v1
	s_wait_kmcnt 0x0
	s_wait_alu 0xfffe
	s_add_nc_u64 s[0:1], s[0:1], s[2:3]
	s_wait_alu 0xfffd
	v_cndmask_b32_e32 v1, v6, v1, vcc_lo
	s_delay_alu instid0(VALU_DEP_1)
	v_lshlrev_b32_e32 v1, 2, v1
	v_lshlrev_b32_e32 v0, 2, v0
	ds_bpermute_b32 v2, v0, v9
	s_wait_dscnt 0x0
	v_add_f32_e32 v3, v9, v2
	v_xor_b32_e32 v2, 4, v6
	ds_bpermute_b32 v8, v1, v3
	v_cmp_gt_i32_e32 vcc_lo, 32, v2
	s_wait_alu 0xfffd
	v_cndmask_b32_e32 v2, v6, v2, vcc_lo
	s_wait_dscnt 0x0
	v_add_f32_e32 v8, v3, v8
	v_xor_b32_e32 v3, 2, v6
	s_delay_alu instid0(VALU_DEP_1) | instskip(SKIP_3) | instid1(VALU_DEP_2)
	v_cmp_gt_i32_e32 vcc_lo, 32, v3
	s_wait_alu 0xfffd
	v_cndmask_b32_e32 v3, v6, v3, vcc_lo
	v_cmp_gt_i32_e32 vcc_lo, 32, v10
	v_lshlrev_b32_e32 v3, 2, v3
	v_lshlrev_b32_e32 v2, 2, v2
	s_wait_alu 0xfffd
	v_cndmask_b32_e32 v6, v6, v10, vcc_lo
	v_cmp_eq_u32_e32 vcc_lo, 0, v4
	ds_bpermute_b32 v9, v2, v8
	v_lshlrev_b32_e32 v6, 2, v6
	s_wait_dscnt 0x0
	v_add_f32_e32 v8, v8, v9
	ds_bpermute_b32 v9, v3, v8
	s_wait_dscnt 0x0
	v_add_f32_e32 v8, v8, v9
	ds_bpermute_b32 v9, v6, v8
	s_and_saveexec_b32 s2, vcc_lo
	s_cbranch_execz .LBB246_7
; %bb.6:
	s_wait_dscnt 0x0
	v_add_f32_e32 v4, v8, v9
	v_mov_b32_e32 v8, 0
	global_store_b32 v8, v4, s[0:1]
.LBB246_7:
	s_wait_alu 0xfffe
	s_or_b32 exec_lo, exec_lo, s2
	ds_bpermute_b32 v4, v0, v7
	s_wait_dscnt 0x0
	v_add_f32_e32 v4, v7, v4
	ds_bpermute_b32 v7, v1, v4
	s_wait_dscnt 0x0
	v_add_f32_e32 v4, v4, v7
	;; [unrolled: 3-line block ×4, first 2 shown]
	ds_bpermute_b32 v7, v6, v4
	s_and_saveexec_b32 s2, vcc_lo
	s_cbranch_execz .LBB246_9
; %bb.8:
	s_mov_b32 s7, 0
	s_wait_dscnt 0x0
	v_dual_add_f32 v4, v4, v7 :: v_dual_mov_b32 v7, 0
	s_wait_alu 0xfffe
	s_lshl_b64 s[4:5], s[6:7], 2
	s_wait_alu 0xfffe
	s_add_nc_u64 s[4:5], s[0:1], s[4:5]
	global_store_b32 v7, v4, s[4:5]
.LBB246_9:
	s_wait_alu 0xfffe
	s_or_b32 exec_lo, exec_lo, s2
	ds_bpermute_b32 v0, v0, v5
	s_wait_dscnt 0x0
	v_add_f32_e32 v0, v5, v0
	ds_bpermute_b32 v1, v1, v0
	s_wait_dscnt 0x0
	v_add_f32_e32 v0, v0, v1
	;; [unrolled: 3-line block ×4, first 2 shown]
	ds_bpermute_b32 v1, v6, v0
	s_and_b32 exec_lo, exec_lo, vcc_lo
	s_cbranch_execz .LBB246_11
; %bb.10:
	s_lshl_b32 s2, s6, 1
	s_mov_b32 s3, 0
	s_wait_dscnt 0x0
	v_dual_add_f32 v0, v0, v1 :: v_dual_mov_b32 v1, 0
	s_wait_alu 0xfffe
	s_lshl_b64 s[2:3], s[2:3], 2
	s_wait_alu 0xfffe
	s_add_nc_u64 s[0:1], s[0:1], s[2:3]
	global_store_b32 v1, v0, s[0:1]
.LBB246_11:
	s_endpgm
	.section	.rodata,"a",@progbits
	.p2align	6, 0x0
	.amdhsa_kernel _ZL13mul_mat_vec_qIL9ggml_type23ELi3ELb0ELb0EEvPKvS2_PKi31ggml_cuda_mm_fusion_args_devicePfj15HIP_vector_typeIjLj3EEjjjS8_jjjS8_jjjj
		.amdhsa_group_segment_fixed_size 0
		.amdhsa_private_segment_fixed_size 0
		.amdhsa_kernarg_size 144
		.amdhsa_user_sgpr_count 2
		.amdhsa_user_sgpr_dispatch_ptr 0
		.amdhsa_user_sgpr_queue_ptr 0
		.amdhsa_user_sgpr_kernarg_segment_ptr 1
		.amdhsa_user_sgpr_dispatch_id 0
		.amdhsa_user_sgpr_private_segment_size 0
		.amdhsa_wavefront_size32 1
		.amdhsa_uses_dynamic_stack 0
		.amdhsa_enable_private_segment 0
		.amdhsa_system_sgpr_workgroup_id_x 1
		.amdhsa_system_sgpr_workgroup_id_y 1
		.amdhsa_system_sgpr_workgroup_id_z 1
		.amdhsa_system_sgpr_workgroup_info 0
		.amdhsa_system_vgpr_workitem_id 1
		.amdhsa_next_free_vgpr 67
		.amdhsa_next_free_sgpr 30
		.amdhsa_reserve_vcc 1
		.amdhsa_float_round_mode_32 0
		.amdhsa_float_round_mode_16_64 0
		.amdhsa_float_denorm_mode_32 3
		.amdhsa_float_denorm_mode_16_64 3
		.amdhsa_fp16_overflow 0
		.amdhsa_workgroup_processor_mode 1
		.amdhsa_memory_ordered 1
		.amdhsa_forward_progress 1
		.amdhsa_inst_pref_size 17
		.amdhsa_round_robin_scheduling 0
		.amdhsa_exception_fp_ieee_invalid_op 0
		.amdhsa_exception_fp_denorm_src 0
		.amdhsa_exception_fp_ieee_div_zero 0
		.amdhsa_exception_fp_ieee_overflow 0
		.amdhsa_exception_fp_ieee_underflow 0
		.amdhsa_exception_fp_ieee_inexact 0
		.amdhsa_exception_int_div_zero 0
	.end_amdhsa_kernel
	.section	.text._ZL13mul_mat_vec_qIL9ggml_type23ELi3ELb0ELb0EEvPKvS2_PKi31ggml_cuda_mm_fusion_args_devicePfj15HIP_vector_typeIjLj3EEjjjS8_jjjS8_jjjj,"axG",@progbits,_ZL13mul_mat_vec_qIL9ggml_type23ELi3ELb0ELb0EEvPKvS2_PKi31ggml_cuda_mm_fusion_args_devicePfj15HIP_vector_typeIjLj3EEjjjS8_jjjS8_jjjj,comdat
.Lfunc_end246:
	.size	_ZL13mul_mat_vec_qIL9ggml_type23ELi3ELb0ELb0EEvPKvS2_PKi31ggml_cuda_mm_fusion_args_devicePfj15HIP_vector_typeIjLj3EEjjjS8_jjjS8_jjjj, .Lfunc_end246-_ZL13mul_mat_vec_qIL9ggml_type23ELi3ELb0ELb0EEvPKvS2_PKi31ggml_cuda_mm_fusion_args_devicePfj15HIP_vector_typeIjLj3EEjjjS8_jjjS8_jjjj
                                        ; -- End function
	.set _ZL13mul_mat_vec_qIL9ggml_type23ELi3ELb0ELb0EEvPKvS2_PKi31ggml_cuda_mm_fusion_args_devicePfj15HIP_vector_typeIjLj3EEjjjS8_jjjS8_jjjj.num_vgpr, 67
	.set _ZL13mul_mat_vec_qIL9ggml_type23ELi3ELb0ELb0EEvPKvS2_PKi31ggml_cuda_mm_fusion_args_devicePfj15HIP_vector_typeIjLj3EEjjjS8_jjjS8_jjjj.num_agpr, 0
	.set _ZL13mul_mat_vec_qIL9ggml_type23ELi3ELb0ELb0EEvPKvS2_PKi31ggml_cuda_mm_fusion_args_devicePfj15HIP_vector_typeIjLj3EEjjjS8_jjjS8_jjjj.numbered_sgpr, 30
	.set _ZL13mul_mat_vec_qIL9ggml_type23ELi3ELb0ELb0EEvPKvS2_PKi31ggml_cuda_mm_fusion_args_devicePfj15HIP_vector_typeIjLj3EEjjjS8_jjjS8_jjjj.num_named_barrier, 0
	.set _ZL13mul_mat_vec_qIL9ggml_type23ELi3ELb0ELb0EEvPKvS2_PKi31ggml_cuda_mm_fusion_args_devicePfj15HIP_vector_typeIjLj3EEjjjS8_jjjS8_jjjj.private_seg_size, 0
	.set _ZL13mul_mat_vec_qIL9ggml_type23ELi3ELb0ELb0EEvPKvS2_PKi31ggml_cuda_mm_fusion_args_devicePfj15HIP_vector_typeIjLj3EEjjjS8_jjjS8_jjjj.uses_vcc, 1
	.set _ZL13mul_mat_vec_qIL9ggml_type23ELi3ELb0ELb0EEvPKvS2_PKi31ggml_cuda_mm_fusion_args_devicePfj15HIP_vector_typeIjLj3EEjjjS8_jjjS8_jjjj.uses_flat_scratch, 0
	.set _ZL13mul_mat_vec_qIL9ggml_type23ELi3ELb0ELb0EEvPKvS2_PKi31ggml_cuda_mm_fusion_args_devicePfj15HIP_vector_typeIjLj3EEjjjS8_jjjS8_jjjj.has_dyn_sized_stack, 0
	.set _ZL13mul_mat_vec_qIL9ggml_type23ELi3ELb0ELb0EEvPKvS2_PKi31ggml_cuda_mm_fusion_args_devicePfj15HIP_vector_typeIjLj3EEjjjS8_jjjS8_jjjj.has_recursion, 0
	.set _ZL13mul_mat_vec_qIL9ggml_type23ELi3ELb0ELb0EEvPKvS2_PKi31ggml_cuda_mm_fusion_args_devicePfj15HIP_vector_typeIjLj3EEjjjS8_jjjS8_jjjj.has_indirect_call, 0
	.section	.AMDGPU.csdata,"",@progbits
; Kernel info:
; codeLenInByte = 2072
; TotalNumSgprs: 32
; NumVgprs: 67
; ScratchSize: 0
; MemoryBound: 0
; FloatMode: 240
; IeeeMode: 1
; LDSByteSize: 0 bytes/workgroup (compile time only)
; SGPRBlocks: 0
; VGPRBlocks: 8
; NumSGPRsForWavesPerEU: 32
; NumVGPRsForWavesPerEU: 67
; Occupancy: 16
; WaveLimiterHint : 0
; COMPUTE_PGM_RSRC2:SCRATCH_EN: 0
; COMPUTE_PGM_RSRC2:USER_SGPR: 2
; COMPUTE_PGM_RSRC2:TRAP_HANDLER: 0
; COMPUTE_PGM_RSRC2:TGID_X_EN: 1
; COMPUTE_PGM_RSRC2:TGID_Y_EN: 1
; COMPUTE_PGM_RSRC2:TGID_Z_EN: 1
; COMPUTE_PGM_RSRC2:TIDIG_COMP_CNT: 1
	.section	.text._ZL13mul_mat_vec_qIL9ggml_type23ELi4ELb0ELb0EEvPKvS2_PKi31ggml_cuda_mm_fusion_args_devicePfj15HIP_vector_typeIjLj3EEjjjS8_jjjS8_jjjj,"axG",@progbits,_ZL13mul_mat_vec_qIL9ggml_type23ELi4ELb0ELb0EEvPKvS2_PKi31ggml_cuda_mm_fusion_args_devicePfj15HIP_vector_typeIjLj3EEjjjS8_jjjS8_jjjj,comdat
	.globl	_ZL13mul_mat_vec_qIL9ggml_type23ELi4ELb0ELb0EEvPKvS2_PKi31ggml_cuda_mm_fusion_args_devicePfj15HIP_vector_typeIjLj3EEjjjS8_jjjS8_jjjj ; -- Begin function _ZL13mul_mat_vec_qIL9ggml_type23ELi4ELb0ELb0EEvPKvS2_PKi31ggml_cuda_mm_fusion_args_devicePfj15HIP_vector_typeIjLj3EEjjjS8_jjjS8_jjjj
	.p2align	8
	.type	_ZL13mul_mat_vec_qIL9ggml_type23ELi4ELb0ELb0EEvPKvS2_PKi31ggml_cuda_mm_fusion_args_devicePfj15HIP_vector_typeIjLj3EEjjjS8_jjjS8_jjjj,@function
_ZL13mul_mat_vec_qIL9ggml_type23ELi4ELb0ELb0EEvPKvS2_PKi31ggml_cuda_mm_fusion_args_devicePfj15HIP_vector_typeIjLj3EEjjjS8_jjjS8_jjjj: ; @_ZL13mul_mat_vec_qIL9ggml_type23ELi4ELb0ELb0EEvPKvS2_PKi31ggml_cuda_mm_fusion_args_devicePfj15HIP_vector_typeIjLj3EEjjjS8_jjjS8_jjjj
; %bb.0:
	s_clause 0x5
	s_load_b96 s[16:18], s[0:1], 0x80
	s_load_b32 s2, s[0:1], 0x40
	s_load_b128 s[4:7], s[0:1], 0x50
	s_load_b32 s23, s[0:1], 0x60
	s_load_b128 s[8:11], s[0:1], 0x68
	s_load_b32 s24, s[0:1], 0x78
	v_bfe_u32 v8, v0, 10, 10
	v_dual_mov_b32 v6, 0 :: v_dual_and_b32 v5, 0x3ff, v0
	v_mov_b32_e32 v7, 0
	v_mov_b32_e32 v9, 0
	;; [unrolled: 1-line block ×3, first 2 shown]
	s_delay_alu instid0(VALU_DEP_4) | instskip(SKIP_3) | instid1(VALU_DEP_1)
	v_lshl_or_b32 v0, v8, 5, v5
	s_and_b32 s19, ttmp7, 0xffff
	s_lshr_b32 s20, ttmp7, 16
	s_mov_b32 s21, exec_lo
	v_lshrrev_b32_e32 v10, 3, v0
	s_wait_kmcnt 0x0
	s_lshr_b32 s22, s2, 8
	s_delay_alu instid0(VALU_DEP_1) | instid1(SALU_CYCLE_1)
	v_cmpx_gt_u32_e64 s22, v10
	s_cbranch_execz .LBB247_4
; %bb.1:
	v_lshl_add_u32 v0, v8, 5, v5
	s_mov_b32 s3, 0
	s_mul_i32 s26, s9, s19
	s_mov_b32 s27, s3
	s_load_b128 s[12:15], s[0:1], 0x0
	v_lshrrev_b32_e32 v0, 3, v0
	s_mul_u64 s[26:27], s[26:27], 36
	s_mul_i32 s2, s17, s20
	v_and_b32_e32 v9, 7, v5
	s_mul_hi_u32 s7, s7, s19
	v_mad_co_u64_u32 v[0:1], null, 0x120, v0, s[26:27]
	v_lshlrev_b32_e32 v4, 3, v10
	s_mul_hi_u32 s11, s11, s20
	s_add_co_i32 s7, s19, s7
	v_dual_mov_b32 v6, 0 :: v_dual_lshlrev_b32 v7, 2, v5
	s_add_co_i32 s9, s20, s11
	s_delay_alu instid0(VALU_DEP_3)
	v_mad_co_u64_u32 v[2:3], null, s2, 36, v[0:1]
	s_mul_u64 s[28:29], s[2:3], 36
	s_lshr_b32 s7, s7, s23
	s_lshr_b32 s11, s9, s24
	s_mul_i32 s7, s7, s8
	s_wait_kmcnt 0x0
	s_add_nc_u64 s[8:9], s[14:15], s[28:29]
	v_and_b32_e32 v11, 28, v7
	v_mad_co_u64_u32 v[16:17], null, v9, 36, v[2:3]
	v_mad_co_u64_u32 v[2:3], null, s5, 3, v[4:5]
	s_add_nc_u64 s[8:9], s[8:9], s[26:27]
	v_bfe_u32 v12, v7, 3, 2
	v_and_b32_e32 v13, 4, v7
	v_mad_co_u64_u32 v[0:1], null, v9, 36, s[8:9]
	v_add_co_u32 v3, vcc_lo, s14, v16
	s_delay_alu instid0(VALU_DEP_1)
	v_add_co_ci_u32_e64 v7, null, s15, v17, vcc_lo
	s_mul_i32 s4, s4, ttmp9
	v_add_co_u32 v3, vcc_lo, v3, 16
	v_lshrrev_b32_e32 v14, 1, v11
	v_add_nc_u32_e32 v15, s5, v4
	v_lshl_add_u32 v16, s5, 1, v4
	s_wait_alu 0xfffd
	v_add_co_ci_u32_e64 v4, null, 0, v7, vcc_lo
	v_lshlrev_b32_e32 v17, 2, v11
	v_mov_b32_e32 v7, 0
	v_mov_b32_e32 v9, 0
	;; [unrolled: 1-line block ×3, first 2 shown]
	s_mul_i32 s11, s11, s16
	s_wait_alu 0xfffe
	s_add_co_i32 s7, s7, s4
	s_mov_b32 s4, 0xf6eaddcf
	s_add_co_i32 s2, s11, s7
	s_mov_b32 s5, 0x71594535
	s_mov_b32 s7, 0x4040404
.LBB247_2:                              ; =>This Inner Loop Header: Depth=1
	s_wait_alu 0xfffe
	v_add_nc_u32_e32 v26, s2, v10
	v_mad_co_u64_u32 v[34:35], null, v15, 36, v[0:1]
	v_mad_co_u64_u32 v[38:39], null, v16, 36, v[0:1]
	s_delay_alu instid0(VALU_DEP_3)
	v_mad_co_i64_i32 v[56:57], null, 0x88, v26, s[12:13]
	v_mad_co_u64_u32 v[54:55], null, v2, 36, v[0:1]
	s_clause 0x1
	global_load_b128 v[18:21], v[3:4], off offset:-16
	global_load_b128 v[22:25], v[3:4], off
	s_clause 0x7
	global_load_b128 v[26:29], v[34:35], off
	global_load_b128 v[30:33], v[34:35], off offset:16
	global_load_b32 v60, v[34:35], off offset:32
	global_load_b128 v[34:37], v[38:39], off
	global_load_b32 v61, v[38:39], off offset:32
	global_load_b128 v[38:41], v[38:39], off offset:16
	global_load_b128 v[42:45], v[54:55], off
	global_load_b128 v[46:49], v[54:55], off offset:16
	v_add_co_u32 v50, vcc_lo, v56, v17
	s_wait_alu 0xfffd
	v_add_co_ci_u32_e64 v51, null, 0, v57, vcc_lo
	v_add_co_u32 v58, vcc_lo, v56, v12
	s_wait_alu 0xfffd
	v_add_co_ci_u32_e64 v59, null, 0, v57, vcc_lo
	s_clause 0x2
	global_load_b128 v[50:53], v[50:51], off offset:8
	global_load_u8 v58, v[58:59], off offset:4
	global_load_b32 v56, v[56:57], off
	global_load_b32 v57, v[3:4], off offset:16
	global_load_b32 v54, v[54:55], off offset:32
	v_add_co_u32 v3, vcc_lo, 0x480, v3
	s_wait_alu 0xfffd
	v_add_co_ci_u32_e64 v4, null, 0, v4, vcc_lo
	s_wait_loadcnt 0xc
	v_cvt_f32_f16_e32 v26, v26
	s_wait_loadcnt 0x9
	v_cvt_f32_f16_e32 v34, v34
	v_cvt_f32_f16_e32 v18, v18
	s_wait_loadcnt 0x6
	v_cvt_f32_f16_e32 v42, v42
	s_wait_loadcnt 0x4
	v_ashrrev_i32_e32 v55, 4, v50
	v_and_b32_e32 v59, 0x7070707, v50
	v_lshrrev_b32_e32 v50, 1, v50
	v_ashrrev_i32_e32 v62, 4, v51
	v_and_b32_e32 v63, 0x7070707, v51
	v_and_b32_e32 v70, 0x7070707, v55
	v_perm_b32 v69, s4, 0xbfad9881, v59
	v_perm_b32 v59, s5, 0x26190d01, v59
	v_and_or_b32 v50, v50, s7, 0x3020100
	v_lshrrev_b32_e32 v55, 1, v55
	v_lshrrev_b32_e32 v51, 1, v51
	v_perm_b32 v77, s4, 0xbfad9881, v70
	v_perm_b32 v70, s5, 0x26190d01, v70
	;; [unrolled: 1-line block ×3, first 2 shown]
	v_and_or_b32 v55, v55, s7, 0x3020100
	v_perm_b32 v71, s4, 0xbfad9881, v63
	v_and_b32_e32 v72, 0x7070707, v62
	v_perm_b32 v63, s5, 0x26190d01, v63
	v_and_or_b32 v51, v51, s7, 0x3020100
	v_lshrrev_b32_e32 v62, 1, v62
	v_perm_b32 v55, v70, v77, v55
	v_dot4_i32_iu8 v19, v50, v19, 0 neg_lo:[1,1,0]
	v_dot4_i32_iu8 v27, v50, v27, 0 neg_lo:[1,1,0]
	;; [unrolled: 1-line block ×4, first 2 shown]
	v_ashrrev_i32_e32 v64, 4, v52
	v_and_b32_e32 v65, 0x7070707, v52
	v_lshrrev_b32_e32 v52, 1, v52
	v_perm_b32 v59, s4, 0xbfad9881, v72
	v_perm_b32 v69, s5, 0x26190d01, v72
	;; [unrolled: 1-line block ×3, first 2 shown]
	v_and_or_b32 v62, v62, s7, 0x3020100
	v_dot4_i32_iu8 v19, v55, v23, v19 neg_lo:[1,1,0]
	v_dot4_i32_iu8 v23, v55, v31, v27 neg_lo:[1,1,0]
	;; [unrolled: 1-line block ×4, first 2 shown]
	v_perm_b32 v73, s4, 0xbfad9881, v65
	v_and_b32_e32 v74, 0x7070707, v64
	v_perm_b32 v65, s5, 0x26190d01, v65
	v_and_or_b32 v52, v52, s7, 0x3020100
	v_lshrrev_b32_e32 v64, 1, v64
	v_perm_b32 v35, v69, v59, v62
	v_dot4_i32_iu8 v19, v51, v20, v19 neg_lo:[1,1,0]
	v_dot4_i32_iu8 v20, v51, v28, v23 neg_lo:[1,1,0]
	;; [unrolled: 1-line block ×4, first 2 shown]
	v_ashrrev_i32_e32 v66, 4, v53
	v_and_b32_e32 v67, 0x7070707, v53
	v_lshrrev_b32_e32 v53, 1, v53
	s_wait_loadcnt 0x2
	v_lshrrev_b32_e32 v68, 16, v56
	v_perm_b32 v63, s4, 0xbfad9881, v74
	v_perm_b32 v71, s5, 0x26190d01, v74
	;; [unrolled: 1-line block ×3, first 2 shown]
	v_and_or_b32 v64, v64, s7, 0x3020100
	v_dot4_i32_iu8 v20, v35, v32, v20 neg_lo:[1,1,0]
	v_dot4_i32_iu8 v19, v35, v24, v19 neg_lo:[1,1,0]
	;; [unrolled: 1-line block ×4, first 2 shown]
	v_perm_b32 v75, s4, 0xbfad9881, v67
	v_and_b32_e32 v76, 0x7070707, v66
	v_perm_b32 v67, s5, 0x26190d01, v67
	v_and_or_b32 v53, v53, s7, 0x3020100
	v_lshrrev_b32_e32 v66, 1, v66
	v_lshrrev_b32_e32 v68, v14, v68
	v_perm_b32 v27, v71, v63, v64
	v_dot4_i32_iu8 v20, v52, v29, v20 neg_lo:[1,1,0]
	v_dot4_i32_iu8 v19, v52, v21, v19 neg_lo:[1,1,0]
	;; [unrolled: 1-line block ×4, first 2 shown]
	v_bfe_u32 v58, v58, v13, 4
	v_perm_b32 v65, s4, 0xbfad9881, v76
	v_perm_b32 v72, s5, 0x26190d01, v76
	;; [unrolled: 1-line block ×3, first 2 shown]
	v_and_or_b32 v50, v66, s7, 0x3020100
	v_lshlrev_b32_e32 v28, 4, v68
	v_dot4_i32_iu8 v20, v27, v33, v20 neg_lo:[1,1,0]
	v_dot4_i32_iu8 v19, v27, v25, v19 neg_lo:[1,1,0]
	;; [unrolled: 1-line block ×4, first 2 shown]
	v_perm_b32 v24, v72, v65, v50
	v_and_or_b32 v25, v28, 48, v58
	v_dot4_i32_iu8 v20, v53, v30, v20 neg_lo:[1,1,0]
	v_dot4_i32_iu8 v19, v53, v22, v19 neg_lo:[1,1,0]
	;; [unrolled: 1-line block ×4, first 2 shown]
	v_subrev_nc_u32_e32 v23, 32, v25
	v_dot4_i32_iu8 v20, v24, v60, v20 neg_lo:[1,1,0]
	s_wait_loadcnt 0x1
	v_dot4_i32_iu8 v19, v24, v57, v19 neg_lo:[1,1,0]
	v_dot4_i32_iu8 v21, v24, v61, v21 neg_lo:[1,1,0]
	s_wait_loadcnt 0x0
	v_dot4_i32_iu8 v22, v24, v54, v22 neg_lo:[1,1,0]
	v_cvt_f32_f16_e32 v24, v56
	v_mul_lo_u32 v20, v23, v20
	v_mul_lo_u32 v19, v23, v19
	;; [unrolled: 1-line block ×4, first 2 shown]
	v_dual_mul_f32 v23, v24, v26 :: v_dual_add_nc_u32 v16, 32, v16
	v_dual_mul_f32 v18, v24, v18 :: v_dual_add_nc_u32 v15, 32, v15
	v_cvt_f32_i32_e32 v20, v20
	v_add_nc_u32_e32 v10, 4, v10
	v_mul_f32_e32 v25, v24, v34
	v_mul_f32_e32 v24, v24, v42
	v_cvt_f32_i32_e32 v19, v19
	v_cvt_f32_i32_e32 v21, v21
	;; [unrolled: 1-line block ×3, first 2 shown]
	v_fmac_f32_e32 v9, v23, v20
	v_cmp_le_u32_e32 vcc_lo, s22, v10
	s_delay_alu instid0(VALU_DEP_4) | instskip(NEXT) | instid1(VALU_DEP_4)
	v_dual_fmac_f32 v7, v25, v21 :: v_dual_add_nc_u32 v2, 32, v2
	v_dual_fmac_f32 v11, v18, v19 :: v_dual_fmac_f32 v6, v24, v22
	s_or_b32 s3, vcc_lo, s3
	s_wait_alu 0xfffe
	s_and_not1_b32 exec_lo, exec_lo, s3
	s_cbranch_execnz .LBB247_2
; %bb.3:
	s_or_b32 exec_lo, exec_lo, s3
.LBB247_4:
	s_delay_alu instid0(SALU_CYCLE_1)
	s_or_b32 exec_lo, exec_lo, s21
	s_mov_b32 s3, 0
	; wave barrier
	global_inv scope:SCOPE_SE
	s_mov_b32 s2, exec_lo
	v_cmpx_eq_u32_e32 0, v8
	s_cbranch_execz .LBB247_13
; %bb.5:
	v_mbcnt_lo_u32_b32 v4, -1, 0
	s_load_b64 s[0:1], s[0:1], 0x38
	s_mul_i32 s2, s10, s19
	s_mul_i32 s4, s18, s20
	s_wait_alu 0xfffe
	s_add_co_i32 s2, s2, ttmp9
	v_xor_b32_e32 v0, 16, v4
	v_xor_b32_e32 v1, 8, v4
	s_wait_alu 0xfffe
	s_add_co_i32 s2, s2, s4
	s_wait_alu 0xfffe
	s_lshl_b64 s[2:3], s[2:3], 2
	v_cmp_gt_i32_e32 vcc_lo, 32, v0
	s_wait_alu 0xfffd
	v_cndmask_b32_e32 v0, v4, v0, vcc_lo
	v_cmp_gt_i32_e32 vcc_lo, 32, v1
	s_wait_alu 0xfffd
	v_cndmask_b32_e32 v1, v4, v1, vcc_lo
	s_wait_kmcnt 0x0
	s_wait_alu 0xfffe
	s_add_nc_u64 s[0:1], s[0:1], s[2:3]
	s_delay_alu instid0(VALU_DEP_1)
	v_lshlrev_b32_e32 v1, 2, v1
	v_lshlrev_b32_e32 v0, 2, v0
	ds_bpermute_b32 v2, v0, v11
	s_wait_dscnt 0x0
	v_add_f32_e32 v3, v11, v2
	v_xor_b32_e32 v2, 4, v4
	v_xor_b32_e32 v11, 1, v4
	ds_bpermute_b32 v8, v1, v3
	v_cmp_gt_i32_e32 vcc_lo, 32, v2
	s_wait_alu 0xfffd
	v_cndmask_b32_e32 v2, v4, v2, vcc_lo
	s_wait_dscnt 0x0
	v_add_f32_e32 v8, v3, v8
	v_xor_b32_e32 v3, 2, v4
	s_delay_alu instid0(VALU_DEP_1) | instskip(SKIP_3) | instid1(VALU_DEP_2)
	v_cmp_gt_i32_e32 vcc_lo, 32, v3
	s_wait_alu 0xfffd
	v_cndmask_b32_e32 v3, v4, v3, vcc_lo
	v_cmp_gt_i32_e32 vcc_lo, 32, v11
	v_lshlrev_b32_e32 v3, 2, v3
	v_lshlrev_b32_e32 v2, 2, v2
	s_wait_alu 0xfffd
	v_cndmask_b32_e32 v4, v4, v11, vcc_lo
	v_cmp_eq_u32_e32 vcc_lo, 0, v5
	ds_bpermute_b32 v10, v2, v8
	v_lshlrev_b32_e32 v4, 2, v4
	s_wait_dscnt 0x0
	v_add_f32_e32 v8, v8, v10
	ds_bpermute_b32 v10, v3, v8
	s_wait_dscnt 0x0
	v_add_f32_e32 v8, v8, v10
	ds_bpermute_b32 v10, v4, v8
	s_and_saveexec_b32 s2, vcc_lo
	s_cbranch_execz .LBB247_7
; %bb.6:
	s_wait_dscnt 0x0
	v_dual_add_f32 v5, v8, v10 :: v_dual_mov_b32 v8, 0
	global_store_b32 v8, v5, s[0:1]
.LBB247_7:
	s_wait_alu 0xfffe
	s_or_b32 exec_lo, exec_lo, s2
	ds_bpermute_b32 v5, v0, v9
	s_wait_dscnt 0x0
	v_add_f32_e32 v5, v9, v5
	ds_bpermute_b32 v8, v1, v5
	s_wait_dscnt 0x0
	v_add_f32_e32 v5, v5, v8
	;; [unrolled: 3-line block ×4, first 2 shown]
	ds_bpermute_b32 v8, v4, v5
	s_and_saveexec_b32 s2, vcc_lo
	s_cbranch_execz .LBB247_9
; %bb.8:
	s_mov_b32 s7, 0
	s_wait_dscnt 0x0
	v_dual_add_f32 v5, v5, v8 :: v_dual_mov_b32 v8, 0
	s_wait_alu 0xfffe
	s_lshl_b64 s[4:5], s[6:7], 2
	s_wait_alu 0xfffe
	s_add_nc_u64 s[4:5], s[0:1], s[4:5]
	global_store_b32 v8, v5, s[4:5]
.LBB247_9:
	s_wait_alu 0xfffe
	s_or_b32 exec_lo, exec_lo, s2
	ds_bpermute_b32 v5, v0, v7
	s_wait_dscnt 0x0
	v_add_f32_e32 v5, v7, v5
	ds_bpermute_b32 v7, v1, v5
	s_wait_dscnt 0x0
	v_add_f32_e32 v5, v5, v7
	;; [unrolled: 3-line block ×4, first 2 shown]
	ds_bpermute_b32 v7, v4, v5
	s_and_saveexec_b32 s2, vcc_lo
	s_cbranch_execz .LBB247_11
; %bb.10:
	s_lshl_b32 s4, s6, 1
	s_mov_b32 s5, 0
	s_wait_dscnt 0x0
	v_add_f32_e32 v5, v5, v7
	v_mov_b32_e32 v7, 0
	s_wait_alu 0xfffe
	s_lshl_b64 s[4:5], s[4:5], 2
	s_wait_alu 0xfffe
	s_add_nc_u64 s[4:5], s[0:1], s[4:5]
	global_store_b32 v7, v5, s[4:5]
.LBB247_11:
	s_wait_alu 0xfffe
	s_or_b32 exec_lo, exec_lo, s2
	ds_bpermute_b32 v0, v0, v6
	s_wait_dscnt 0x0
	v_add_f32_e32 v0, v6, v0
	ds_bpermute_b32 v1, v1, v0
	s_wait_dscnt 0x0
	v_add_f32_e32 v0, v0, v1
	;; [unrolled: 3-line block ×4, first 2 shown]
	ds_bpermute_b32 v1, v4, v0
	s_and_b32 exec_lo, exec_lo, vcc_lo
	s_cbranch_execz .LBB247_13
; %bb.12:
	s_mul_i32 s2, s6, 3
	s_mov_b32 s3, 0
	s_wait_dscnt 0x0
	v_dual_add_f32 v0, v0, v1 :: v_dual_mov_b32 v1, 0
	s_wait_alu 0xfffe
	s_lshl_b64 s[2:3], s[2:3], 2
	s_wait_alu 0xfffe
	s_add_nc_u64 s[0:1], s[0:1], s[2:3]
	global_store_b32 v1, v0, s[0:1]
.LBB247_13:
	s_endpgm
	.section	.rodata,"a",@progbits
	.p2align	6, 0x0
	.amdhsa_kernel _ZL13mul_mat_vec_qIL9ggml_type23ELi4ELb0ELb0EEvPKvS2_PKi31ggml_cuda_mm_fusion_args_devicePfj15HIP_vector_typeIjLj3EEjjjS8_jjjS8_jjjj
		.amdhsa_group_segment_fixed_size 0
		.amdhsa_private_segment_fixed_size 0
		.amdhsa_kernarg_size 144
		.amdhsa_user_sgpr_count 2
		.amdhsa_user_sgpr_dispatch_ptr 0
		.amdhsa_user_sgpr_queue_ptr 0
		.amdhsa_user_sgpr_kernarg_segment_ptr 1
		.amdhsa_user_sgpr_dispatch_id 0
		.amdhsa_user_sgpr_private_segment_size 0
		.amdhsa_wavefront_size32 1
		.amdhsa_uses_dynamic_stack 0
		.amdhsa_enable_private_segment 0
		.amdhsa_system_sgpr_workgroup_id_x 1
		.amdhsa_system_sgpr_workgroup_id_y 1
		.amdhsa_system_sgpr_workgroup_id_z 1
		.amdhsa_system_sgpr_workgroup_info 0
		.amdhsa_system_vgpr_workitem_id 1
		.amdhsa_next_free_vgpr 78
		.amdhsa_next_free_sgpr 30
		.amdhsa_reserve_vcc 1
		.amdhsa_float_round_mode_32 0
		.amdhsa_float_round_mode_16_64 0
		.amdhsa_float_denorm_mode_32 3
		.amdhsa_float_denorm_mode_16_64 3
		.amdhsa_fp16_overflow 0
		.amdhsa_workgroup_processor_mode 1
		.amdhsa_memory_ordered 1
		.amdhsa_forward_progress 1
		.amdhsa_inst_pref_size 19
		.amdhsa_round_robin_scheduling 0
		.amdhsa_exception_fp_ieee_invalid_op 0
		.amdhsa_exception_fp_denorm_src 0
		.amdhsa_exception_fp_ieee_div_zero 0
		.amdhsa_exception_fp_ieee_overflow 0
		.amdhsa_exception_fp_ieee_underflow 0
		.amdhsa_exception_fp_ieee_inexact 0
		.amdhsa_exception_int_div_zero 0
	.end_amdhsa_kernel
	.section	.text._ZL13mul_mat_vec_qIL9ggml_type23ELi4ELb0ELb0EEvPKvS2_PKi31ggml_cuda_mm_fusion_args_devicePfj15HIP_vector_typeIjLj3EEjjjS8_jjjS8_jjjj,"axG",@progbits,_ZL13mul_mat_vec_qIL9ggml_type23ELi4ELb0ELb0EEvPKvS2_PKi31ggml_cuda_mm_fusion_args_devicePfj15HIP_vector_typeIjLj3EEjjjS8_jjjS8_jjjj,comdat
.Lfunc_end247:
	.size	_ZL13mul_mat_vec_qIL9ggml_type23ELi4ELb0ELb0EEvPKvS2_PKi31ggml_cuda_mm_fusion_args_devicePfj15HIP_vector_typeIjLj3EEjjjS8_jjjS8_jjjj, .Lfunc_end247-_ZL13mul_mat_vec_qIL9ggml_type23ELi4ELb0ELb0EEvPKvS2_PKi31ggml_cuda_mm_fusion_args_devicePfj15HIP_vector_typeIjLj3EEjjjS8_jjjS8_jjjj
                                        ; -- End function
	.set _ZL13mul_mat_vec_qIL9ggml_type23ELi4ELb0ELb0EEvPKvS2_PKi31ggml_cuda_mm_fusion_args_devicePfj15HIP_vector_typeIjLj3EEjjjS8_jjjS8_jjjj.num_vgpr, 78
	.set _ZL13mul_mat_vec_qIL9ggml_type23ELi4ELb0ELb0EEvPKvS2_PKi31ggml_cuda_mm_fusion_args_devicePfj15HIP_vector_typeIjLj3EEjjjS8_jjjS8_jjjj.num_agpr, 0
	.set _ZL13mul_mat_vec_qIL9ggml_type23ELi4ELb0ELb0EEvPKvS2_PKi31ggml_cuda_mm_fusion_args_devicePfj15HIP_vector_typeIjLj3EEjjjS8_jjjS8_jjjj.numbered_sgpr, 30
	.set _ZL13mul_mat_vec_qIL9ggml_type23ELi4ELb0ELb0EEvPKvS2_PKi31ggml_cuda_mm_fusion_args_devicePfj15HIP_vector_typeIjLj3EEjjjS8_jjjS8_jjjj.num_named_barrier, 0
	.set _ZL13mul_mat_vec_qIL9ggml_type23ELi4ELb0ELb0EEvPKvS2_PKi31ggml_cuda_mm_fusion_args_devicePfj15HIP_vector_typeIjLj3EEjjjS8_jjjS8_jjjj.private_seg_size, 0
	.set _ZL13mul_mat_vec_qIL9ggml_type23ELi4ELb0ELb0EEvPKvS2_PKi31ggml_cuda_mm_fusion_args_devicePfj15HIP_vector_typeIjLj3EEjjjS8_jjjS8_jjjj.uses_vcc, 1
	.set _ZL13mul_mat_vec_qIL9ggml_type23ELi4ELb0ELb0EEvPKvS2_PKi31ggml_cuda_mm_fusion_args_devicePfj15HIP_vector_typeIjLj3EEjjjS8_jjjS8_jjjj.uses_flat_scratch, 0
	.set _ZL13mul_mat_vec_qIL9ggml_type23ELi4ELb0ELb0EEvPKvS2_PKi31ggml_cuda_mm_fusion_args_devicePfj15HIP_vector_typeIjLj3EEjjjS8_jjjS8_jjjj.has_dyn_sized_stack, 0
	.set _ZL13mul_mat_vec_qIL9ggml_type23ELi4ELb0ELb0EEvPKvS2_PKi31ggml_cuda_mm_fusion_args_devicePfj15HIP_vector_typeIjLj3EEjjjS8_jjjS8_jjjj.has_recursion, 0
	.set _ZL13mul_mat_vec_qIL9ggml_type23ELi4ELb0ELb0EEvPKvS2_PKi31ggml_cuda_mm_fusion_args_devicePfj15HIP_vector_typeIjLj3EEjjjS8_jjjS8_jjjj.has_indirect_call, 0
	.section	.AMDGPU.csdata,"",@progbits
; Kernel info:
; codeLenInByte = 2368
; TotalNumSgprs: 32
; NumVgprs: 78
; ScratchSize: 0
; MemoryBound: 0
; FloatMode: 240
; IeeeMode: 1
; LDSByteSize: 0 bytes/workgroup (compile time only)
; SGPRBlocks: 0
; VGPRBlocks: 9
; NumSGPRsForWavesPerEU: 32
; NumVGPRsForWavesPerEU: 78
; Occupancy: 16
; WaveLimiterHint : 0
; COMPUTE_PGM_RSRC2:SCRATCH_EN: 0
; COMPUTE_PGM_RSRC2:USER_SGPR: 2
; COMPUTE_PGM_RSRC2:TRAP_HANDLER: 0
; COMPUTE_PGM_RSRC2:TGID_X_EN: 1
; COMPUTE_PGM_RSRC2:TGID_Y_EN: 1
; COMPUTE_PGM_RSRC2:TGID_Z_EN: 1
; COMPUTE_PGM_RSRC2:TIDIG_COMP_CNT: 1
	.section	.text._ZL13mul_mat_vec_qIL9ggml_type23ELi5ELb0ELb0EEvPKvS2_PKi31ggml_cuda_mm_fusion_args_devicePfj15HIP_vector_typeIjLj3EEjjjS8_jjjS8_jjjj,"axG",@progbits,_ZL13mul_mat_vec_qIL9ggml_type23ELi5ELb0ELb0EEvPKvS2_PKi31ggml_cuda_mm_fusion_args_devicePfj15HIP_vector_typeIjLj3EEjjjS8_jjjS8_jjjj,comdat
	.globl	_ZL13mul_mat_vec_qIL9ggml_type23ELi5ELb0ELb0EEvPKvS2_PKi31ggml_cuda_mm_fusion_args_devicePfj15HIP_vector_typeIjLj3EEjjjS8_jjjS8_jjjj ; -- Begin function _ZL13mul_mat_vec_qIL9ggml_type23ELi5ELb0ELb0EEvPKvS2_PKi31ggml_cuda_mm_fusion_args_devicePfj15HIP_vector_typeIjLj3EEjjjS8_jjjS8_jjjj
	.p2align	8
	.type	_ZL13mul_mat_vec_qIL9ggml_type23ELi5ELb0ELb0EEvPKvS2_PKi31ggml_cuda_mm_fusion_args_devicePfj15HIP_vector_typeIjLj3EEjjjS8_jjjS8_jjjj,@function
_ZL13mul_mat_vec_qIL9ggml_type23ELi5ELb0ELb0EEvPKvS2_PKi31ggml_cuda_mm_fusion_args_devicePfj15HIP_vector_typeIjLj3EEjjjS8_jjjS8_jjjj: ; @_ZL13mul_mat_vec_qIL9ggml_type23ELi5ELb0ELb0EEvPKvS2_PKi31ggml_cuda_mm_fusion_args_devicePfj15HIP_vector_typeIjLj3EEjjjS8_jjjS8_jjjj
; %bb.0:
	s_clause 0x5
	s_load_b96 s[16:18], s[0:1], 0x80
	s_load_b32 s2, s[0:1], 0x40
	s_load_b128 s[4:7], s[0:1], 0x50
	s_load_b32 s23, s[0:1], 0x60
	s_load_b128 s[8:11], s[0:1], 0x68
	s_load_b32 s24, s[0:1], 0x78
	v_bfe_u32 v9, v0, 10, 10
	v_dual_mov_b32 v5, 0 :: v_dual_and_b32 v6, 0x3ff, v0
	v_dual_mov_b32 v7, 0 :: v_dual_mov_b32 v8, 0
	v_mov_b32_e32 v10, 0
	s_delay_alu instid0(VALU_DEP_3)
	v_lshl_or_b32 v0, v9, 5, v6
	v_mov_b32_e32 v12, 0
	s_and_b32 s19, ttmp7, 0xffff
	s_lshr_b32 s20, ttmp7, 16
	s_mov_b32 s21, exec_lo
	v_lshrrev_b32_e32 v11, 3, v0
	s_wait_kmcnt 0x0
	s_lshr_b32 s22, s2, 8
	s_delay_alu instid0(VALU_DEP_1) | instid1(SALU_CYCLE_1)
	v_cmpx_gt_u32_e64 s22, v11
	s_cbranch_execz .LBB248_4
; %bb.1:
	v_lshl_add_u32 v0, v9, 5, v6
	s_load_b128 s[12:15], s[0:1], 0x0
	s_mov_b32 s3, 0
	s_mul_i32 s26, s9, s19
	s_mov_b32 s27, s3
	v_lshrrev_b32_e32 v0, 3, v0
	s_mul_u64 s[26:27], s[26:27], 36
	s_mul_hi_u32 s7, s7, s19
	s_mul_i32 s2, s17, s20
	s_mul_hi_u32 s11, s11, s20
	v_mad_co_u64_u32 v[0:1], null, 0x120, v0, s[26:27]
	s_add_co_i32 s7, s19, s7
	s_add_co_i32 s9, s20, s11
	s_mul_u64 s[28:29], s[2:3], 36
	s_lshr_b32 s7, s7, s23
	v_and_b32_e32 v7, 7, v6
	s_lshr_b32 s11, s9, s24
	v_mad_co_u64_u32 v[2:3], null, s2, 36, v[0:1]
	s_mul_i32 s7, s7, s8
	s_wait_kmcnt 0x0
	s_add_nc_u64 s[8:9], s[14:15], s[28:29]
	v_dual_mov_b32 v5, 0 :: v_dual_lshlrev_b32 v10, 2, v6
	s_add_nc_u64 s[8:9], s[8:9], s[26:27]
	v_lshlrev_b32_e32 v4, 3, v11
	v_mad_co_u64_u32 v[0:1], null, v7, 36, s[8:9]
	v_mad_co_u64_u32 v[7:8], null, v7, 36, v[2:3]
	s_delay_alu instid0(VALU_DEP_3)
	v_mad_co_u64_u32 v[2:3], null, s5, 3, v[4:5]
	v_and_b32_e32 v12, 28, v10
	s_mul_i32 s4, s4, ttmp9
	v_bfe_u32 v13, v10, 3, 2
	v_and_b32_e32 v14, 4, v10
	v_add_co_u32 v3, vcc_lo, s14, v7
	s_delay_alu instid0(VALU_DEP_1) | instskip(SKIP_1) | instid1(VALU_DEP_3)
	v_add_co_ci_u32_e64 v7, null, s15, v8, vcc_lo
	v_add_nc_u32_e32 v16, s5, v4
	v_add_co_u32 v3, vcc_lo, v3, 16
	v_lshl_add_u32 v17, s5, 2, v4
	v_lshl_add_u32 v18, s5, 1, v4
	s_wait_alu 0xfffd
	v_add_co_ci_u32_e64 v4, null, 0, v7, vcc_lo
	v_mov_b32_e32 v7, 0
	v_lshrrev_b32_e32 v15, 1, v12
	v_dual_mov_b32 v10, 0 :: v_dual_lshlrev_b32 v19, 2, v12
	v_mov_b32_e32 v8, 0
	v_mov_b32_e32 v12, 0
	s_mul_i32 s11, s11, s16
	s_wait_alu 0xfffe
	s_add_co_i32 s7, s7, s4
	s_mov_b32 s4, 0xf6eaddcf
	s_add_co_i32 s2, s11, s7
	s_mov_b32 s5, 0x71594535
	s_mov_b32 s7, 0x4040404
.LBB248_2:                              ; =>This Inner Loop Header: Depth=1
	s_wait_alu 0xfffe
	v_add_nc_u32_e32 v28, s2, v11
	v_mad_co_u64_u32 v[36:37], null, v16, 36, v[0:1]
	v_mad_co_u64_u32 v[40:41], null, v18, 36, v[0:1]
	s_delay_alu instid0(VALU_DEP_3)
	v_mad_co_i64_i32 v[64:65], null, 0x88, v28, s[12:13]
	v_mad_co_u64_u32 v[52:53], null, v2, 36, v[0:1]
	v_mad_co_u64_u32 v[56:57], null, v17, 36, v[0:1]
	s_clause 0x1
	global_load_b128 v[20:23], v[3:4], off offset:-16
	global_load_b128 v[24:27], v[3:4], off
	s_clause 0xb
	global_load_b128 v[28:31], v[36:37], off
	global_load_b128 v[32:35], v[36:37], off offset:16
	global_load_b32 v68, v[36:37], off offset:32
	global_load_b128 v[36:39], v[40:41], off
	global_load_b32 v69, v[40:41], off offset:32
	global_load_b128 v[40:43], v[40:41], off offset:16
	global_load_b128 v[44:47], v[52:53], off
	global_load_b128 v[48:51], v[52:53], off offset:16
	global_load_b32 v70, v[52:53], off offset:32
	global_load_b128 v[52:55], v[56:57], off
	global_load_b32 v71, v[56:57], off offset:32
	global_load_b128 v[56:59], v[56:57], off offset:16
	v_add_co_u32 v60, vcc_lo, v64, v19
	s_wait_alu 0xfffd
	v_add_co_ci_u32_e64 v61, null, 0, v65, vcc_lo
	v_add_co_u32 v66, vcc_lo, v64, v13
	s_wait_alu 0xfffd
	v_add_co_ci_u32_e64 v67, null, 0, v65, vcc_lo
	s_clause 0x2
	global_load_b128 v[60:63], v[60:61], off offset:8
	global_load_u8 v66, v[66:67], off offset:4
	global_load_b32 v64, v[64:65], off
	global_load_b32 v65, v[3:4], off offset:16
	v_add_co_u32 v3, vcc_lo, 0x480, v3
	s_wait_alu 0xfffd
	v_add_co_ci_u32_e64 v4, null, 0, v4, vcc_lo
	s_wait_loadcnt 0xf
	v_cvt_f32_f16_e32 v28, v28
	s_wait_loadcnt 0xc
	v_cvt_f32_f16_e32 v36, v36
	;; [unrolled: 2-line block ×3, first 2 shown]
	v_cvt_f32_f16_e32 v20, v20
	s_wait_loadcnt 0x6
	v_cvt_f32_f16_e32 v52, v52
	s_wait_loadcnt 0x3
	v_ashrrev_i32_e32 v67, 4, v60
	v_and_b32_e32 v72, 0x7070707, v60
	v_lshrrev_b32_e32 v60, 1, v60
	s_wait_loadcnt 0x1
	v_lshrrev_b32_e32 v79, 16, v64
	v_cvt_f32_f16_e32 v64, v64
	v_and_b32_e32 v81, 0x7070707, v67
	v_perm_b32 v80, s4, 0xbfad9881, v72
	v_perm_b32 v72, s5, 0x26190d01, v72
	v_and_or_b32 v60, v60, s7, 0x3020100
	v_lshrrev_b32_e32 v67, 1, v67
	v_ashrrev_i32_e32 v73, 4, v61
	v_and_b32_e32 v74, 0x7070707, v61
	v_lshrrev_b32_e32 v61, 1, v61
	v_perm_b32 v60, v72, v80, v60
	v_perm_b32 v72, s4, 0xbfad9881, v81
	;; [unrolled: 1-line block ×3, first 2 shown]
	v_and_or_b32 v67, v67, s7, 0x3020100
	v_dual_mul_f32 v28, v64, v28 :: v_dual_add_nc_u32 v17, 32, v17
	v_perm_b32 v82, s4, 0xbfad9881, v74
	v_and_b32_e32 v83, 0x7070707, v73
	v_perm_b32 v74, s5, 0x26190d01, v74
	v_and_or_b32 v61, v61, s7, 0x3020100
	v_lshrrev_b32_e32 v73, 1, v73
	v_perm_b32 v67, v80, v72, v67
	v_dot4_i32_iu8 v21, v60, v21, 0 neg_lo:[1,1,0]
	v_dot4_i32_iu8 v29, v60, v29, 0 neg_lo:[1,1,0]
	;; [unrolled: 1-line block ×5, first 2 shown]
	v_ashrrev_i32_e32 v75, 4, v62
	v_and_b32_e32 v76, 0x7070707, v62
	v_lshrrev_b32_e32 v62, 1, v62
	v_perm_b32 v81, s4, 0xbfad9881, v83
	v_perm_b32 v83, s5, 0x26190d01, v83
	;; [unrolled: 1-line block ×3, first 2 shown]
	v_and_or_b32 v73, v73, s7, 0x3020100
	v_dot4_i32_iu8 v21, v67, v25, v21 neg_lo:[1,1,0]
	v_dot4_i32_iu8 v25, v67, v33, v29 neg_lo:[1,1,0]
	;; [unrolled: 1-line block ×5, first 2 shown]
	v_dual_mul_f32 v20, v64, v20 :: v_dual_add_nc_u32 v11, 4, v11
	v_perm_b32 v84, s4, 0xbfad9881, v76
	v_and_b32_e32 v85, 0x7070707, v75
	v_perm_b32 v76, s5, 0x26190d01, v76
	v_and_or_b32 v62, v62, s7, 0x3020100
	v_lshrrev_b32_e32 v75, 1, v75
	v_perm_b32 v72, v83, v81, v73
	v_dot4_i32_iu8 v21, v61, v22, v21 neg_lo:[1,1,0]
	v_dot4_i32_iu8 v22, v61, v30, v25 neg_lo:[1,1,0]
	;; [unrolled: 1-line block ×5, first 2 shown]
	v_ashrrev_i32_e32 v77, 4, v63
	v_and_b32_e32 v78, 0x7070707, v63
	v_lshrrev_b32_e32 v63, 1, v63
	v_perm_b32 v74, s4, 0xbfad9881, v85
	v_perm_b32 v82, s5, 0x26190d01, v85
	;; [unrolled: 1-line block ×3, first 2 shown]
	v_and_or_b32 v75, v75, s7, 0x3020100
	v_dot4_i32_iu8 v21, v72, v26, v21 neg_lo:[1,1,0]
	v_dot4_i32_iu8 v25, v72, v42, v25 neg_lo:[1,1,0]
	v_dot4_i32_iu8 v26, v72, v50, v29 neg_lo:[1,1,0]
	v_dot4_i32_iu8 v29, v72, v58, v30 neg_lo:[1,1,0]
	v_perm_b32 v86, s4, 0xbfad9881, v78
	v_perm_b32 v78, s5, 0x26190d01, v78
	v_and_or_b32 v63, v63, s7, 0x3020100
	v_perm_b32 v73, v82, v74, v75
	v_dot4_i32_iu8 v21, v62, v23, v21 neg_lo:[1,1,0]
	v_dot4_i32_iu8 v23, v62, v39, v25 neg_lo:[1,1,0]
	;; [unrolled: 1-line block ×4, first 2 shown]
	v_perm_b32 v63, v78, v86, v63
	v_dot4_i32_iu8 v22, v72, v34, v22 neg_lo:[1,1,0]
	v_dot4_i32_iu8 v21, v73, v27, v21 neg_lo:[1,1,0]
	;; [unrolled: 1-line block ×4, first 2 shown]
	v_lshrrev_b32_e32 v79, v15, v79
	v_dot4_i32_iu8 v22, v62, v31, v22 neg_lo:[1,1,0]
	v_dot4_i32_iu8 v21, v63, v24, v21 neg_lo:[1,1,0]
	;; [unrolled: 1-line block ×4, first 2 shown]
	v_dual_mul_f32 v26, v64, v36 :: v_dual_and_b32 v87, 0x7070707, v77
	v_lshrrev_b32_e32 v77, 1, v77
	v_bfe_u32 v66, v66, v14, 4
	v_lshlrev_b32_e32 v78, 4, v79
	v_dot4_i32_iu8 v22, v73, v35, v22 neg_lo:[1,1,0]
	v_perm_b32 v76, s4, 0xbfad9881, v87
	v_perm_b32 v84, s5, 0x26190d01, v87
	v_and_or_b32 v77, v77, s7, 0x3020100
	v_dot4_i32_iu8 v23, v73, v43, v23 neg_lo:[1,1,0]
	v_and_or_b32 v66, v78, 48, v66
	v_dot4_i32_iu8 v22, v63, v32, v22 neg_lo:[1,1,0]
	v_dual_mul_f32 v29, v64, v52 :: v_dual_add_nc_u32 v2, 32, v2
	v_perm_b32 v74, v84, v76, v77
	v_dot4_i32_iu8 v23, v63, v40, v23 neg_lo:[1,1,0]
	v_subrev_nc_u32_e32 v60, 32, v66
	v_mul_f32_e32 v27, v64, v44
	v_cmp_le_u32_e32 vcc_lo, s22, v11
	s_wait_loadcnt 0x0
	v_dot4_i32_iu8 v21, v74, v65, v21 neg_lo:[1,1,0]
	v_dot4_i32_iu8 v22, v74, v68, v22 neg_lo:[1,1,0]
	;; [unrolled: 1-line block ×5, first 2 shown]
	v_mul_lo_u32 v21, v60, v21
	v_mul_lo_u32 v22, v60, v22
	;; [unrolled: 1-line block ×5, first 2 shown]
	s_or_b32 s3, vcc_lo, s3
	v_cvt_f32_i32_e32 v21, v21
	v_cvt_f32_i32_e32 v22, v22
	;; [unrolled: 1-line block ×5, first 2 shown]
	v_add_nc_u32_e32 v16, 32, v16
	v_add_nc_u32_e32 v18, 32, v18
	v_fmac_f32_e32 v12, v20, v21
	v_fmac_f32_e32 v10, v28, v22
	v_dual_fmac_f32 v8, v26, v23 :: v_dual_fmac_f32 v7, v27, v24
	v_fmac_f32_e32 v5, v29, v25
	s_wait_alu 0xfffe
	s_and_not1_b32 exec_lo, exec_lo, s3
	s_cbranch_execnz .LBB248_2
; %bb.3:
	s_or_b32 exec_lo, exec_lo, s3
.LBB248_4:
	s_delay_alu instid0(SALU_CYCLE_1)
	s_or_b32 exec_lo, exec_lo, s21
	s_mov_b32 s3, 0
	; wave barrier
	global_inv scope:SCOPE_SE
	s_mov_b32 s2, exec_lo
	v_cmpx_eq_u32_e32 0, v9
	s_cbranch_execz .LBB248_15
; %bb.5:
	v_mbcnt_lo_u32_b32 v4, -1, 0
	s_load_b64 s[0:1], s[0:1], 0x38
	s_mul_i32 s2, s10, s19
	s_mul_i32 s4, s18, s20
	s_wait_alu 0xfffe
	s_add_co_i32 s2, s2, ttmp9
	v_xor_b32_e32 v0, 16, v4
	v_xor_b32_e32 v1, 8, v4
	s_wait_alu 0xfffe
	s_add_co_i32 s2, s2, s4
	s_wait_alu 0xfffe
	s_lshl_b64 s[2:3], s[2:3], 2
	v_cmp_gt_i32_e32 vcc_lo, 32, v0
	s_wait_alu 0xfffd
	v_cndmask_b32_e32 v0, v4, v0, vcc_lo
	v_cmp_gt_i32_e32 vcc_lo, 32, v1
	s_wait_alu 0xfffd
	v_cndmask_b32_e32 v1, v4, v1, vcc_lo
	s_wait_kmcnt 0x0
	s_wait_alu 0xfffe
	s_add_nc_u64 s[0:1], s[0:1], s[2:3]
	s_delay_alu instid0(VALU_DEP_1)
	v_lshlrev_b32_e32 v1, 2, v1
	v_lshlrev_b32_e32 v0, 2, v0
	ds_bpermute_b32 v2, v0, v12
	s_wait_dscnt 0x0
	v_add_f32_e32 v3, v12, v2
	v_xor_b32_e32 v2, 4, v4
	v_xor_b32_e32 v12, 1, v4
	ds_bpermute_b32 v9, v1, v3
	v_cmp_gt_i32_e32 vcc_lo, 32, v2
	s_wait_dscnt 0x0
	s_wait_alu 0xfffd
	v_dual_cndmask_b32 v2, v4, v2 :: v_dual_add_f32 v9, v3, v9
	s_delay_alu instid0(VALU_DEP_1)
	v_lshlrev_b32_e32 v2, 2, v2
	v_xor_b32_e32 v3, 2, v4
	ds_bpermute_b32 v11, v2, v9
	v_cmp_gt_i32_e32 vcc_lo, 32, v3
	s_wait_alu 0xfffd
	v_cndmask_b32_e32 v3, v4, v3, vcc_lo
	v_cmp_gt_i32_e32 vcc_lo, 32, v12
	s_wait_alu 0xfffd
	v_cndmask_b32_e32 v4, v4, v12, vcc_lo
	v_cmp_eq_u32_e32 vcc_lo, 0, v6
	s_delay_alu instid0(VALU_DEP_2)
	v_lshlrev_b32_e32 v4, 2, v4
	v_lshlrev_b32_e32 v3, 2, v3
	s_wait_dscnt 0x0
	v_add_f32_e32 v9, v9, v11
	ds_bpermute_b32 v11, v3, v9
	s_wait_dscnt 0x0
	v_add_f32_e32 v9, v9, v11
	ds_bpermute_b32 v11, v4, v9
	s_and_saveexec_b32 s2, vcc_lo
	s_cbranch_execz .LBB248_7
; %bb.6:
	s_wait_dscnt 0x0
	v_dual_add_f32 v6, v9, v11 :: v_dual_mov_b32 v9, 0
	global_store_b32 v9, v6, s[0:1]
.LBB248_7:
	s_wait_alu 0xfffe
	s_or_b32 exec_lo, exec_lo, s2
	ds_bpermute_b32 v6, v0, v10
	s_wait_dscnt 0x0
	v_add_f32_e32 v6, v10, v6
	ds_bpermute_b32 v9, v1, v6
	s_wait_dscnt 0x0
	v_add_f32_e32 v6, v6, v9
	;; [unrolled: 3-line block ×4, first 2 shown]
	ds_bpermute_b32 v9, v4, v6
	s_and_saveexec_b32 s2, vcc_lo
	s_cbranch_execz .LBB248_9
; %bb.8:
	s_mov_b32 s7, 0
	s_wait_dscnt 0x0
	v_dual_add_f32 v6, v6, v9 :: v_dual_mov_b32 v9, 0
	s_wait_alu 0xfffe
	s_lshl_b64 s[4:5], s[6:7], 2
	s_wait_alu 0xfffe
	s_add_nc_u64 s[4:5], s[0:1], s[4:5]
	global_store_b32 v9, v6, s[4:5]
.LBB248_9:
	s_wait_alu 0xfffe
	s_or_b32 exec_lo, exec_lo, s2
	ds_bpermute_b32 v6, v0, v8
	s_wait_dscnt 0x0
	v_add_f32_e32 v6, v8, v6
	ds_bpermute_b32 v8, v1, v6
	s_wait_dscnt 0x0
	v_add_f32_e32 v6, v6, v8
	;; [unrolled: 3-line block ×4, first 2 shown]
	ds_bpermute_b32 v8, v4, v6
	s_and_saveexec_b32 s2, vcc_lo
	s_cbranch_execz .LBB248_11
; %bb.10:
	s_lshl_b32 s4, s6, 1
	s_mov_b32 s5, 0
	s_wait_dscnt 0x0
	v_add_f32_e32 v6, v6, v8
	v_mov_b32_e32 v8, 0
	s_wait_alu 0xfffe
	s_lshl_b64 s[4:5], s[4:5], 2
	s_wait_alu 0xfffe
	s_add_nc_u64 s[4:5], s[0:1], s[4:5]
	global_store_b32 v8, v6, s[4:5]
.LBB248_11:
	s_wait_alu 0xfffe
	s_or_b32 exec_lo, exec_lo, s2
	ds_bpermute_b32 v6, v0, v7
	s_wait_dscnt 0x0
	v_add_f32_e32 v6, v7, v6
	ds_bpermute_b32 v7, v1, v6
	s_wait_dscnt 0x0
	v_add_f32_e32 v6, v6, v7
	;; [unrolled: 3-line block ×4, first 2 shown]
	ds_bpermute_b32 v7, v4, v6
	s_and_saveexec_b32 s2, vcc_lo
	s_cbranch_execz .LBB248_13
; %bb.12:
	s_mul_i32 s4, s6, 3
	s_mov_b32 s5, 0
	s_wait_dscnt 0x0
	v_dual_add_f32 v6, v6, v7 :: v_dual_mov_b32 v7, 0
	s_wait_alu 0xfffe
	s_lshl_b64 s[4:5], s[4:5], 2
	s_wait_alu 0xfffe
	s_add_nc_u64 s[4:5], s[0:1], s[4:5]
	global_store_b32 v7, v6, s[4:5]
.LBB248_13:
	s_wait_alu 0xfffe
	s_or_b32 exec_lo, exec_lo, s2
	ds_bpermute_b32 v0, v0, v5
	s_wait_dscnt 0x0
	v_add_f32_e32 v0, v5, v0
	ds_bpermute_b32 v1, v1, v0
	s_wait_dscnt 0x0
	v_add_f32_e32 v0, v0, v1
	;; [unrolled: 3-line block ×4, first 2 shown]
	ds_bpermute_b32 v1, v4, v0
	s_and_b32 exec_lo, exec_lo, vcc_lo
	s_cbranch_execz .LBB248_15
; %bb.14:
	s_lshl_b32 s2, s6, 2
	s_mov_b32 s3, 0
	s_wait_dscnt 0x0
	v_dual_add_f32 v0, v0, v1 :: v_dual_mov_b32 v1, 0
	s_wait_alu 0xfffe
	s_lshl_b64 s[2:3], s[2:3], 2
	s_wait_alu 0xfffe
	s_add_nc_u64 s[0:1], s[0:1], s[2:3]
	global_store_b32 v1, v0, s[0:1]
.LBB248_15:
	s_endpgm
	.section	.rodata,"a",@progbits
	.p2align	6, 0x0
	.amdhsa_kernel _ZL13mul_mat_vec_qIL9ggml_type23ELi5ELb0ELb0EEvPKvS2_PKi31ggml_cuda_mm_fusion_args_devicePfj15HIP_vector_typeIjLj3EEjjjS8_jjjS8_jjjj
		.amdhsa_group_segment_fixed_size 0
		.amdhsa_private_segment_fixed_size 0
		.amdhsa_kernarg_size 144
		.amdhsa_user_sgpr_count 2
		.amdhsa_user_sgpr_dispatch_ptr 0
		.amdhsa_user_sgpr_queue_ptr 0
		.amdhsa_user_sgpr_kernarg_segment_ptr 1
		.amdhsa_user_sgpr_dispatch_id 0
		.amdhsa_user_sgpr_private_segment_size 0
		.amdhsa_wavefront_size32 1
		.amdhsa_uses_dynamic_stack 0
		.amdhsa_enable_private_segment 0
		.amdhsa_system_sgpr_workgroup_id_x 1
		.amdhsa_system_sgpr_workgroup_id_y 1
		.amdhsa_system_sgpr_workgroup_id_z 1
		.amdhsa_system_sgpr_workgroup_info 0
		.amdhsa_system_vgpr_workitem_id 1
		.amdhsa_next_free_vgpr 88
		.amdhsa_next_free_sgpr 30
		.amdhsa_reserve_vcc 1
		.amdhsa_float_round_mode_32 0
		.amdhsa_float_round_mode_16_64 0
		.amdhsa_float_denorm_mode_32 3
		.amdhsa_float_denorm_mode_16_64 3
		.amdhsa_fp16_overflow 0
		.amdhsa_workgroup_processor_mode 1
		.amdhsa_memory_ordered 1
		.amdhsa_forward_progress 1
		.amdhsa_inst_pref_size 21
		.amdhsa_round_robin_scheduling 0
		.amdhsa_exception_fp_ieee_invalid_op 0
		.amdhsa_exception_fp_denorm_src 0
		.amdhsa_exception_fp_ieee_div_zero 0
		.amdhsa_exception_fp_ieee_overflow 0
		.amdhsa_exception_fp_ieee_underflow 0
		.amdhsa_exception_fp_ieee_inexact 0
		.amdhsa_exception_int_div_zero 0
	.end_amdhsa_kernel
	.section	.text._ZL13mul_mat_vec_qIL9ggml_type23ELi5ELb0ELb0EEvPKvS2_PKi31ggml_cuda_mm_fusion_args_devicePfj15HIP_vector_typeIjLj3EEjjjS8_jjjS8_jjjj,"axG",@progbits,_ZL13mul_mat_vec_qIL9ggml_type23ELi5ELb0ELb0EEvPKvS2_PKi31ggml_cuda_mm_fusion_args_devicePfj15HIP_vector_typeIjLj3EEjjjS8_jjjS8_jjjj,comdat
.Lfunc_end248:
	.size	_ZL13mul_mat_vec_qIL9ggml_type23ELi5ELb0ELb0EEvPKvS2_PKi31ggml_cuda_mm_fusion_args_devicePfj15HIP_vector_typeIjLj3EEjjjS8_jjjS8_jjjj, .Lfunc_end248-_ZL13mul_mat_vec_qIL9ggml_type23ELi5ELb0ELb0EEvPKvS2_PKi31ggml_cuda_mm_fusion_args_devicePfj15HIP_vector_typeIjLj3EEjjjS8_jjjS8_jjjj
                                        ; -- End function
	.set _ZL13mul_mat_vec_qIL9ggml_type23ELi5ELb0ELb0EEvPKvS2_PKi31ggml_cuda_mm_fusion_args_devicePfj15HIP_vector_typeIjLj3EEjjjS8_jjjS8_jjjj.num_vgpr, 88
	.set _ZL13mul_mat_vec_qIL9ggml_type23ELi5ELb0ELb0EEvPKvS2_PKi31ggml_cuda_mm_fusion_args_devicePfj15HIP_vector_typeIjLj3EEjjjS8_jjjS8_jjjj.num_agpr, 0
	.set _ZL13mul_mat_vec_qIL9ggml_type23ELi5ELb0ELb0EEvPKvS2_PKi31ggml_cuda_mm_fusion_args_devicePfj15HIP_vector_typeIjLj3EEjjjS8_jjjS8_jjjj.numbered_sgpr, 30
	.set _ZL13mul_mat_vec_qIL9ggml_type23ELi5ELb0ELb0EEvPKvS2_PKi31ggml_cuda_mm_fusion_args_devicePfj15HIP_vector_typeIjLj3EEjjjS8_jjjS8_jjjj.num_named_barrier, 0
	.set _ZL13mul_mat_vec_qIL9ggml_type23ELi5ELb0ELb0EEvPKvS2_PKi31ggml_cuda_mm_fusion_args_devicePfj15HIP_vector_typeIjLj3EEjjjS8_jjjS8_jjjj.private_seg_size, 0
	.set _ZL13mul_mat_vec_qIL9ggml_type23ELi5ELb0ELb0EEvPKvS2_PKi31ggml_cuda_mm_fusion_args_devicePfj15HIP_vector_typeIjLj3EEjjjS8_jjjS8_jjjj.uses_vcc, 1
	.set _ZL13mul_mat_vec_qIL9ggml_type23ELi5ELb0ELb0EEvPKvS2_PKi31ggml_cuda_mm_fusion_args_devicePfj15HIP_vector_typeIjLj3EEjjjS8_jjjS8_jjjj.uses_flat_scratch, 0
	.set _ZL13mul_mat_vec_qIL9ggml_type23ELi5ELb0ELb0EEvPKvS2_PKi31ggml_cuda_mm_fusion_args_devicePfj15HIP_vector_typeIjLj3EEjjjS8_jjjS8_jjjj.has_dyn_sized_stack, 0
	.set _ZL13mul_mat_vec_qIL9ggml_type23ELi5ELb0ELb0EEvPKvS2_PKi31ggml_cuda_mm_fusion_args_devicePfj15HIP_vector_typeIjLj3EEjjjS8_jjjS8_jjjj.has_recursion, 0
	.set _ZL13mul_mat_vec_qIL9ggml_type23ELi5ELb0ELb0EEvPKvS2_PKi31ggml_cuda_mm_fusion_args_devicePfj15HIP_vector_typeIjLj3EEjjjS8_jjjS8_jjjj.has_indirect_call, 0
	.section	.AMDGPU.csdata,"",@progbits
; Kernel info:
; codeLenInByte = 2656
; TotalNumSgprs: 32
; NumVgprs: 88
; ScratchSize: 0
; MemoryBound: 0
; FloatMode: 240
; IeeeMode: 1
; LDSByteSize: 0 bytes/workgroup (compile time only)
; SGPRBlocks: 0
; VGPRBlocks: 10
; NumSGPRsForWavesPerEU: 32
; NumVGPRsForWavesPerEU: 88
; Occupancy: 16
; WaveLimiterHint : 0
; COMPUTE_PGM_RSRC2:SCRATCH_EN: 0
; COMPUTE_PGM_RSRC2:USER_SGPR: 2
; COMPUTE_PGM_RSRC2:TRAP_HANDLER: 0
; COMPUTE_PGM_RSRC2:TGID_X_EN: 1
; COMPUTE_PGM_RSRC2:TGID_Y_EN: 1
; COMPUTE_PGM_RSRC2:TGID_Z_EN: 1
; COMPUTE_PGM_RSRC2:TIDIG_COMP_CNT: 1
	.section	.text._ZL13mul_mat_vec_qIL9ggml_type23ELi6ELb0ELb0EEvPKvS2_PKi31ggml_cuda_mm_fusion_args_devicePfj15HIP_vector_typeIjLj3EEjjjS8_jjjS8_jjjj,"axG",@progbits,_ZL13mul_mat_vec_qIL9ggml_type23ELi6ELb0ELb0EEvPKvS2_PKi31ggml_cuda_mm_fusion_args_devicePfj15HIP_vector_typeIjLj3EEjjjS8_jjjS8_jjjj,comdat
	.globl	_ZL13mul_mat_vec_qIL9ggml_type23ELi6ELb0ELb0EEvPKvS2_PKi31ggml_cuda_mm_fusion_args_devicePfj15HIP_vector_typeIjLj3EEjjjS8_jjjS8_jjjj ; -- Begin function _ZL13mul_mat_vec_qIL9ggml_type23ELi6ELb0ELb0EEvPKvS2_PKi31ggml_cuda_mm_fusion_args_devicePfj15HIP_vector_typeIjLj3EEjjjS8_jjjS8_jjjj
	.p2align	8
	.type	_ZL13mul_mat_vec_qIL9ggml_type23ELi6ELb0ELb0EEvPKvS2_PKi31ggml_cuda_mm_fusion_args_devicePfj15HIP_vector_typeIjLj3EEjjjS8_jjjS8_jjjj,@function
_ZL13mul_mat_vec_qIL9ggml_type23ELi6ELb0ELb0EEvPKvS2_PKi31ggml_cuda_mm_fusion_args_devicePfj15HIP_vector_typeIjLj3EEjjjS8_jjjS8_jjjj: ; @_ZL13mul_mat_vec_qIL9ggml_type23ELi6ELb0ELb0EEvPKvS2_PKi31ggml_cuda_mm_fusion_args_devicePfj15HIP_vector_typeIjLj3EEjjjS8_jjjS8_jjjj
; %bb.0:
	s_clause 0x5
	s_load_b96 s[16:18], s[0:1], 0x80
	s_load_b32 s2, s[0:1], 0x40
	s_load_b128 s[4:7], s[0:1], 0x50
	s_load_b32 s23, s[0:1], 0x60
	s_load_b128 s[8:11], s[0:1], 0x68
	s_load_b32 s24, s[0:1], 0x78
	v_bfe_u32 v11, v0, 10, 10
	v_dual_mov_b32 v6, 0 :: v_dual_and_b32 v7, 0x3ff, v0
	v_dual_mov_b32 v8, 0 :: v_dual_mov_b32 v9, 0
	v_mov_b32_e32 v10, 0
	s_delay_alu instid0(VALU_DEP_3)
	v_lshl_or_b32 v0, v11, 5, v7
	v_mov_b32_e32 v12, 0
	v_mov_b32_e32 v14, 0
	s_and_b32 s19, ttmp7, 0xffff
	s_lshr_b32 s20, ttmp7, 16
	v_lshrrev_b32_e32 v13, 3, v0
	s_mov_b32 s21, exec_lo
	s_wait_kmcnt 0x0
	s_lshr_b32 s22, s2, 8
	s_delay_alu instid0(VALU_DEP_1) | instid1(SALU_CYCLE_1)
	v_cmpx_gt_u32_e64 s22, v13
	s_cbranch_execz .LBB249_4
; %bb.1:
	v_lshl_add_u32 v0, v11, 5, v7
	s_load_b128 s[12:15], s[0:1], 0x0
	s_mov_b32 s3, 0
	s_mul_i32 s26, s9, s19
	s_mov_b32 s27, s3
	v_lshrrev_b32_e32 v0, 3, v0
	s_mul_u64 s[26:27], s[26:27], 36
	s_mul_hi_u32 s7, s7, s19
	s_mul_i32 s2, s17, s20
	s_mul_hi_u32 s11, s11, s20
	v_mad_co_u64_u32 v[0:1], null, 0x120, v0, s[26:27]
	s_add_co_i32 s7, s19, s7
	s_add_co_i32 s9, s20, s11
	s_mul_u64 s[28:29], s[2:3], 36
	s_lshr_b32 s7, s7, s23
	v_and_b32_e32 v8, 7, v7
	s_lshr_b32 s11, s9, s24
	v_mad_co_u64_u32 v[2:3], null, s2, 36, v[0:1]
	s_mul_i32 s7, s7, s8
	s_wait_kmcnt 0x0
	s_add_nc_u64 s[8:9], s[14:15], s[28:29]
	v_dual_mov_b32 v6, 0 :: v_dual_lshlrev_b32 v5, 3, v13
	s_add_nc_u64 s[8:9], s[8:9], s[26:27]
	v_lshlrev_b32_e32 v4, 2, v7
	v_mad_co_u64_u32 v[0:1], null, v8, 36, s[8:9]
	v_mad_co_u64_u32 v[8:9], null, v8, 36, v[2:3]
	;; [unrolled: 1-line block ×3, first 2 shown]
	s_delay_alu instid0(VALU_DEP_4) | instskip(SKIP_4) | instid1(VALU_DEP_1)
	v_and_b32_e32 v10, 28, v4
	v_bfe_u32 v15, v4, 3, 2
	v_and_b32_e32 v16, 4, v4
	v_mad_co_u64_u32 v[3:4], null, s5, 3, v[5:6]
	v_add_co_u32 v4, vcc_lo, s14, v8
	v_add_co_ci_u32_e64 v8, null, s15, v9, vcc_lo
	s_mul_i32 s4, s4, ttmp9
	v_add_co_u32 v4, vcc_lo, v4, 16
	v_lshrrev_b32_e32 v17, 1, v10
	v_add_nc_u32_e32 v18, s5, v5
	v_lshl_add_u32 v19, s5, 2, v5
	v_lshl_add_u32 v20, s5, 1, v5
	s_wait_alu 0xfffd
	v_add_co_ci_u32_e64 v5, null, 0, v8, vcc_lo
	v_dual_mov_b32 v8, 0 :: v_dual_lshlrev_b32 v21, 2, v10
	v_dual_mov_b32 v9, 0 :: v_dual_mov_b32 v10, 0
	v_mov_b32_e32 v12, 0
	v_mov_b32_e32 v14, 0
	s_mul_i32 s11, s11, s16
	s_wait_alu 0xfffe
	s_add_co_i32 s7, s7, s4
	s_mov_b32 s2, 0xf6eaddcf
	s_add_co_i32 s4, s11, s7
	s_mov_b32 s5, 0x71594535
	s_mov_b32 s7, 0x4040404
.LBB249_2:                              ; =>This Inner Loop Header: Depth=1
	s_wait_alu 0xfffe
	v_add_nc_u32_e32 v30, s4, v13
	v_mad_co_u64_u32 v[38:39], null, v18, 36, v[0:1]
	v_mad_co_u64_u32 v[70:71], null, v20, 36, v[0:1]
	s_delay_alu instid0(VALU_DEP_3)
	v_mad_co_i64_i32 v[76:77], null, 0x88, v30, s[12:13]
	v_mad_co_u64_u32 v[54:55], null, v3, 36, v[0:1]
	s_clause 0x1
	global_load_b128 v[22:25], v[4:5], off offset:-16
	global_load_b128 v[26:29], v[4:5], off
	v_mad_co_u64_u32 v[72:73], null, v19, 36, v[0:1]
	v_mad_co_u64_u32 v[74:75], null, v2, 36, v[0:1]
	v_add_co_u32 v66, vcc_lo, v76, v21
	s_wait_alu 0xfffd
	v_add_co_ci_u32_e64 v67, null, 0, v77, vcc_lo
	v_add_co_u32 v78, vcc_lo, v76, v15
	s_wait_alu 0xfffd
	v_add_co_ci_u32_e64 v79, null, 0, v77, vcc_lo
	s_clause 0xa
	global_load_b128 v[30:33], v[38:39], off
	global_load_b128 v[34:37], v[38:39], off offset:16
	global_load_b32 v80, v[38:39], off offset:32
	global_load_b128 v[38:41], v[70:71], off
	global_load_b128 v[42:45], v[70:71], off offset:16
	global_load_b128 v[46:49], v[54:55], off
	global_load_b128 v[50:53], v[54:55], off offset:16
	global_load_b32 v81, v[54:55], off offset:32
	global_load_b128 v[54:57], v[72:73], off
	global_load_b128 v[58:61], v[72:73], off offset:16
	global_load_b128 v[62:65], v[74:75], off
	s_clause 0x2
	global_load_b128 v[66:69], v[66:67], off offset:8
	global_load_u8 v78, v[78:79], off offset:4
	global_load_b32 v76, v[76:77], off
	v_add_nc_u32_e32 v18, 32, v18
	v_add_nc_u32_e32 v2, 32, v2
	;; [unrolled: 1-line block ×3, first 2 shown]
	s_wait_loadcnt 0xf
	v_cvt_f32_f16_e32 v22, v22
	s_wait_loadcnt 0xd
	v_cvt_f32_f16_e32 v30, v30
	s_wait_loadcnt 0xa
	v_cvt_f32_f16_e32 v38, v38
	s_wait_loadcnt 0x8
	v_cvt_f32_f16_e32 v46, v46
	s_wait_loadcnt 0x5
	v_cvt_f32_f16_e32 v54, v54
	s_wait_loadcnt 0x2
	v_ashrrev_i32_e32 v77, 4, v66
	v_and_b32_e32 v79, 0x7070707, v66
	v_lshrrev_b32_e32 v82, 1, v66
	v_ashrrev_i32_e32 v83, 4, v67
	v_and_b32_e32 v84, 0x7070707, v67
	v_lshrrev_b32_e32 v85, 1, v67
	;; [unrolled: 3-line block ×4, first 2 shown]
	s_clause 0x2
	global_load_b128 v[66:69], v[74:75], off offset:16
	global_load_b32 v70, v[70:71], off offset:32
	global_load_b32 v71, v[72:73], off offset:32
	;; [unrolled: 1-line block ×4, first 2 shown]
	v_perm_b32 v74, s2, 0xbfad9881, v79
	v_perm_b32 v75, s5, 0x26190d01, v79
	v_and_or_b32 v79, v82, s7, 0x3020100
	v_and_or_b32 v82, v85, s7, 0x3020100
	;; [unrolled: 1-line block ×3, first 2 shown]
	s_wait_loadcnt 0x6
	v_bfe_u32 v78, v78, v16, 4
	v_add_co_u32 v4, vcc_lo, 0x480, v4
	v_perm_b32 v74, v75, v74, v79
	v_perm_b32 v75, s2, 0xbfad9881, v84
	;; [unrolled: 1-line block ×3, first 2 shown]
	v_and_or_b32 v84, v88, s7, 0x3020100
	s_wait_alu 0xfffd
	v_add_co_ci_u32_e64 v5, null, 0, v5, vcc_lo
	v_dot4_i32_iu8 v23, v74, v23, 0 neg_lo:[1,1,0]
	v_perm_b32 v75, v79, v75, v82
	v_perm_b32 v79, s2, 0xbfad9881, v87
	;; [unrolled: 1-line block ×3, first 2 shown]
	s_delay_alu instid0(VALU_DEP_1) | instskip(SKIP_2) | instid1(VALU_DEP_1)
	v_perm_b32 v79, v82, v79, v84
	v_perm_b32 v82, s2, 0xbfad9881, v90
	;; [unrolled: 1-line block ×4, first 2 shown]
	v_and_b32_e32 v84, 0x7070707, v77
	v_lshrrev_b32_e32 v77, 1, v77
	s_delay_alu instid0(VALU_DEP_2) | instskip(SKIP_1) | instid1(VALU_DEP_3)
	v_perm_b32 v85, s2, 0xbfad9881, v84
	v_perm_b32 v84, s5, 0x26190d01, v84
	v_and_or_b32 v77, v77, s7, 0x3020100
	s_delay_alu instid0(VALU_DEP_1) | instskip(SKIP_2) | instid1(VALU_DEP_3)
	v_perm_b32 v77, v84, v85, v77
	v_and_b32_e32 v84, 0x7070707, v83
	v_lshrrev_b32_e32 v83, 1, v83
	v_dot4_i32_iu8 v23, v77, v27, v23 neg_lo:[1,1,0]
	s_delay_alu instid0(VALU_DEP_3) | instskip(SKIP_1) | instid1(VALU_DEP_4)
	v_perm_b32 v85, s2, 0xbfad9881, v84
	v_perm_b32 v84, s5, 0x26190d01, v84
	v_and_or_b32 v83, v83, s7, 0x3020100
	v_dot4_i32_iu8 v27, v74, v47, 0 neg_lo:[1,1,0]
	v_dot4_i32_iu8 v23, v75, v24, v23 neg_lo:[1,1,0]
	;; [unrolled: 1-line block ×4, first 2 shown]
	v_perm_b32 v83, v84, v85, v83
	v_and_b32_e32 v84, 0x7070707, v86
	v_lshrrev_b32_e32 v85, 1, v86
	v_dot4_i32_iu8 v24, v77, v35, v24 neg_lo:[1,1,0]
	v_dot4_i32_iu8 v27, v77, v51, v27 neg_lo:[1,1,0]
	;; [unrolled: 1-line block ×3, first 2 shown]
	v_perm_b32 v86, s2, 0xbfad9881, v84
	v_perm_b32 v84, s5, 0x26190d01, v84
	v_and_or_b32 v85, v85, s7, 0x3020100
	v_dot4_i32_iu8 v28, v74, v55, 0 neg_lo:[1,1,0]
	v_dot4_i32_iu8 v23, v79, v25, v23 neg_lo:[1,1,0]
	;; [unrolled: 1-line block ×3, first 2 shown]
	s_wait_loadcnt 0x5
	v_cvt_f32_f16_e32 v39, v76
	v_add_nc_u32_e32 v13, 4, v13
	v_perm_b32 v84, v84, v86, v85
	v_lshrrev_b32_e32 v86, 1, v89
	v_dot4_i32_iu8 v25, v77, v43, v25 neg_lo:[1,1,0]
	v_dot4_i32_iu8 v28, v77, v59, v28 neg_lo:[1,1,0]
	v_dual_mul_f32 v30, v39, v30 :: v_dual_and_b32 v85, 0x7070707, v89
	s_delay_alu instid0(VALU_DEP_4)
	v_and_or_b32 v86, v86, s7, 0x3020100
	v_dot4_i32_iu8 v24, v75, v32, v24 neg_lo:[1,1,0]
	v_dot4_i32_iu8 v25, v75, v40, v25 neg_lo:[1,1,0]
	;; [unrolled: 1-line block ×3, first 2 shown]
	v_perm_b32 v87, s2, 0xbfad9881, v85
	v_perm_b32 v85, s5, 0x26190d01, v85
	v_dot4_i32_iu8 v28, v75, v56, v28 neg_lo:[1,1,0]
	v_dot4_i32_iu8 v24, v83, v36, v24 neg_lo:[1,1,0]
	;; [unrolled: 1-line block ×4, first 2 shown]
	v_perm_b32 v85, v85, v87, v86
	v_lshrrev_b32_e32 v86, 16, v76
	v_dot4_i32_iu8 v28, v83, v60, v28 neg_lo:[1,1,0]
	v_dot4_i32_iu8 v24, v79, v33, v24 neg_lo:[1,1,0]
	;; [unrolled: 1-line block ×4, first 2 shown]
	v_lshrrev_b32_e32 v86, v17, v86
	v_dot4_i32_iu8 v28, v79, v57, v28 neg_lo:[1,1,0]
	v_dot4_i32_iu8 v23, v84, v29, v23 neg_lo:[1,1,0]
	;; [unrolled: 1-line block ×4, first 2 shown]
	v_lshlrev_b32_e32 v86, 4, v86
	v_dot4_i32_iu8 v27, v84, v53, v27 neg_lo:[1,1,0]
	v_dot4_i32_iu8 v28, v84, v61, v28 neg_lo:[1,1,0]
	;; [unrolled: 1-line block ×4, first 2 shown]
	v_and_or_b32 v78, v86, 48, v78
	v_dot4_i32_iu8 v25, v82, v42, v25 neg_lo:[1,1,0]
	v_dot4_i32_iu8 v26, v82, v50, v27 neg_lo:[1,1,0]
	;; [unrolled: 1-line block ×4, first 2 shown]
	v_subrev_nc_u32_e32 v47, 32, v78
	v_cvt_f32_f16_e32 v35, v62
	v_dot4_i32_iu8 v26, v85, v81, v26 neg_lo:[1,1,0]
	v_dual_mul_f32 v38, v39, v38 :: v_dual_add_nc_u32 v19, 32, v19
	s_delay_alu instid0(VALU_DEP_4) | instskip(SKIP_1) | instid1(VALU_DEP_4)
	v_mul_lo_u32 v24, v47, v24
	v_add_nc_u32_e32 v3, 32, v3
	v_mul_lo_u32 v26, v47, v26
	v_mul_f32_e32 v22, v39, v22
	v_mul_f32_e32 v43, v39, v46
	;; [unrolled: 1-line block ×3, first 2 shown]
	v_cmp_le_u32_e32 vcc_lo, s22, v13
	v_cvt_f32_i32_e32 v24, v24
	v_cvt_f32_i32_e32 v26, v26
	s_or_b32 s3, vcc_lo, s3
	s_delay_alu instid0(VALU_DEP_1)
	v_dual_fmac_f32 v12, v30, v24 :: v_dual_fmac_f32 v9, v43, v26
	s_wait_loadcnt 0x4
	v_dot4_i32_iu8 v31, v77, v67, v31 neg_lo:[1,1,0]
	s_wait_loadcnt 0x3
	v_dot4_i32_iu8 v25, v85, v70, v25 neg_lo:[1,1,0]
	;; [unrolled: 2-line block ×4, first 2 shown]
	v_dot4_i32_iu8 v31, v75, v64, v31 neg_lo:[1,1,0]
	v_mul_lo_u32 v25, v47, v25
	v_mul_lo_u32 v27, v47, v27
	s_delay_alu instid0(VALU_DEP_4) | instskip(NEXT) | instid1(VALU_DEP_4)
	v_mul_lo_u32 v23, v47, v23
	v_dot4_i32_iu8 v31, v83, v68, v31 neg_lo:[1,1,0]
	s_delay_alu instid0(VALU_DEP_4) | instskip(NEXT) | instid1(VALU_DEP_2)
	v_cvt_f32_i32_e32 v25, v25
	v_dot4_i32_iu8 v31, v79, v65, v31 neg_lo:[1,1,0]
	s_delay_alu instid0(VALU_DEP_4) | instskip(SKIP_1) | instid1(VALU_DEP_4)
	v_cvt_f32_i32_e32 v23, v23
	v_cvt_f32_i32_e32 v27, v27
	v_fmac_f32_e32 v10, v38, v25
	s_delay_alu instid0(VALU_DEP_4) | instskip(NEXT) | instid1(VALU_DEP_4)
	v_dot4_i32_iu8 v29, v84, v69, v31 neg_lo:[1,1,0]
	v_fmac_f32_e32 v14, v22, v23
	s_delay_alu instid0(VALU_DEP_4) | instskip(NEXT) | instid1(VALU_DEP_3)
	v_fmac_f32_e32 v8, v46, v27
	v_dot4_i32_iu8 v28, v82, v66, v29 neg_lo:[1,1,0]
	v_mul_f32_e32 v29, v39, v35
	s_wait_loadcnt 0x0
	s_delay_alu instid0(VALU_DEP_2) | instskip(NEXT) | instid1(VALU_DEP_1)
	v_dot4_i32_iu8 v28, v85, v73, v28 neg_lo:[1,1,0]
	v_mul_lo_u32 v28, v47, v28
	s_delay_alu instid0(VALU_DEP_1) | instskip(NEXT) | instid1(VALU_DEP_1)
	v_cvt_f32_i32_e32 v28, v28
	v_fmac_f32_e32 v6, v29, v28
	s_wait_alu 0xfffe
	s_and_not1_b32 exec_lo, exec_lo, s3
	s_cbranch_execnz .LBB249_2
; %bb.3:
	s_or_b32 exec_lo, exec_lo, s3
.LBB249_4:
	s_delay_alu instid0(SALU_CYCLE_1)
	s_or_b32 exec_lo, exec_lo, s21
	s_mov_b32 s3, 0
	; wave barrier
	global_inv scope:SCOPE_SE
	s_mov_b32 s2, exec_lo
	v_cmpx_eq_u32_e32 0, v11
	s_cbranch_execz .LBB249_17
; %bb.5:
	v_mbcnt_lo_u32_b32 v4, -1, 0
	s_load_b64 s[0:1], s[0:1], 0x38
	s_mul_i32 s2, s10, s19
	s_mul_i32 s4, s18, s20
	s_wait_alu 0xfffe
	s_add_co_i32 s2, s2, ttmp9
	v_xor_b32_e32 v0, 16, v4
	v_xor_b32_e32 v1, 8, v4
	;; [unrolled: 1-line block ×3, first 2 shown]
	s_wait_alu 0xfffe
	s_add_co_i32 s2, s2, s4
	s_wait_alu 0xfffe
	s_lshl_b64 s[2:3], s[2:3], 2
	v_cmp_gt_i32_e32 vcc_lo, 32, v0
	s_wait_alu 0xfffd
	v_cndmask_b32_e32 v0, v4, v0, vcc_lo
	v_cmp_gt_i32_e32 vcc_lo, 32, v1
	s_wait_kmcnt 0x0
	s_wait_alu 0xfffe
	s_add_nc_u64 s[0:1], s[0:1], s[2:3]
	s_wait_alu 0xfffd
	v_cndmask_b32_e32 v1, v4, v1, vcc_lo
	s_delay_alu instid0(VALU_DEP_1)
	v_lshlrev_b32_e32 v1, 2, v1
	v_lshlrev_b32_e32 v0, 2, v0
	ds_bpermute_b32 v2, v0, v14
	s_wait_dscnt 0x0
	v_add_f32_e32 v3, v14, v2
	v_xor_b32_e32 v2, 4, v4
	ds_bpermute_b32 v5, v1, v3
	v_cmp_gt_i32_e32 vcc_lo, 32, v2
	s_wait_dscnt 0x0
	s_wait_alu 0xfffd
	v_dual_cndmask_b32 v2, v4, v2 :: v_dual_add_f32 v5, v3, v5
	s_delay_alu instid0(VALU_DEP_1)
	v_lshlrev_b32_e32 v2, 2, v2
	v_xor_b32_e32 v3, 2, v4
	ds_bpermute_b32 v11, v2, v5
	v_cmp_gt_i32_e32 vcc_lo, 32, v3
	s_wait_alu 0xfffd
	v_cndmask_b32_e32 v3, v4, v3, vcc_lo
	v_cmp_gt_i32_e32 vcc_lo, 32, v13
	s_wait_alu 0xfffd
	v_cndmask_b32_e32 v4, v4, v13, vcc_lo
	v_cmp_eq_u32_e32 vcc_lo, 0, v7
	s_delay_alu instid0(VALU_DEP_2)
	v_lshlrev_b32_e32 v4, 2, v4
	v_lshlrev_b32_e32 v3, 2, v3
	s_wait_dscnt 0x0
	v_add_f32_e32 v5, v5, v11
	ds_bpermute_b32 v11, v3, v5
	s_wait_dscnt 0x0
	v_add_f32_e32 v5, v5, v11
	ds_bpermute_b32 v11, v4, v5
	s_and_saveexec_b32 s2, vcc_lo
	s_cbranch_execz .LBB249_7
; %bb.6:
	s_wait_dscnt 0x0
	v_add_f32_e32 v5, v5, v11
	v_mov_b32_e32 v7, 0
	global_store_b32 v7, v5, s[0:1]
.LBB249_7:
	s_wait_alu 0xfffe
	s_or_b32 exec_lo, exec_lo, s2
	ds_bpermute_b32 v5, v0, v12
	s_wait_dscnt 0x0
	v_add_f32_e32 v5, v12, v5
	ds_bpermute_b32 v7, v1, v5
	s_wait_dscnt 0x0
	v_add_f32_e32 v5, v5, v7
	;; [unrolled: 3-line block ×4, first 2 shown]
	ds_bpermute_b32 v7, v4, v5
	s_and_saveexec_b32 s2, vcc_lo
	s_cbranch_execz .LBB249_9
; %bb.8:
	s_mov_b32 s7, 0
	s_wait_dscnt 0x0
	v_add_f32_e32 v5, v5, v7
	v_mov_b32_e32 v7, 0
	s_wait_alu 0xfffe
	s_lshl_b64 s[4:5], s[6:7], 2
	s_wait_alu 0xfffe
	s_add_nc_u64 s[4:5], s[0:1], s[4:5]
	global_store_b32 v7, v5, s[4:5]
.LBB249_9:
	s_wait_alu 0xfffe
	s_or_b32 exec_lo, exec_lo, s2
	ds_bpermute_b32 v5, v0, v10
	s_wait_dscnt 0x0
	v_add_f32_e32 v5, v10, v5
	ds_bpermute_b32 v7, v1, v5
	s_wait_dscnt 0x0
	v_add_f32_e32 v5, v5, v7
	;; [unrolled: 3-line block ×4, first 2 shown]
	ds_bpermute_b32 v7, v4, v5
	s_and_saveexec_b32 s2, vcc_lo
	s_cbranch_execz .LBB249_11
; %bb.10:
	s_lshl_b32 s4, s6, 1
	s_mov_b32 s5, 0
	s_wait_dscnt 0x0
	v_add_f32_e32 v5, v5, v7
	v_mov_b32_e32 v7, 0
	s_wait_alu 0xfffe
	s_lshl_b64 s[4:5], s[4:5], 2
	s_wait_alu 0xfffe
	s_add_nc_u64 s[4:5], s[0:1], s[4:5]
	global_store_b32 v7, v5, s[4:5]
.LBB249_11:
	s_wait_alu 0xfffe
	s_or_b32 exec_lo, exec_lo, s2
	ds_bpermute_b32 v5, v0, v9
	s_wait_dscnt 0x0
	v_add_f32_e32 v5, v9, v5
	ds_bpermute_b32 v7, v1, v5
	s_wait_dscnt 0x0
	v_add_f32_e32 v5, v5, v7
	;; [unrolled: 3-line block ×4, first 2 shown]
	ds_bpermute_b32 v7, v4, v5
	s_and_saveexec_b32 s2, vcc_lo
	s_cbranch_execz .LBB249_13
; %bb.12:
	s_mul_i32 s4, s6, 3
	s_mov_b32 s5, 0
	s_wait_dscnt 0x0
	v_add_f32_e32 v5, v5, v7
	v_mov_b32_e32 v7, 0
	s_wait_alu 0xfffe
	s_lshl_b64 s[4:5], s[4:5], 2
	s_wait_alu 0xfffe
	s_add_nc_u64 s[4:5], s[0:1], s[4:5]
	global_store_b32 v7, v5, s[4:5]
.LBB249_13:
	s_wait_alu 0xfffe
	s_or_b32 exec_lo, exec_lo, s2
	ds_bpermute_b32 v5, v0, v8
	s_wait_dscnt 0x0
	v_add_f32_e32 v5, v8, v5
	ds_bpermute_b32 v7, v1, v5
	s_wait_dscnt 0x0
	v_add_f32_e32 v5, v5, v7
	;; [unrolled: 3-line block ×4, first 2 shown]
	ds_bpermute_b32 v7, v4, v5
	s_and_saveexec_b32 s2, vcc_lo
	s_cbranch_execz .LBB249_15
; %bb.14:
	s_lshl_b32 s4, s6, 2
	s_mov_b32 s5, 0
	s_wait_dscnt 0x0
	v_add_f32_e32 v5, v5, v7
	v_mov_b32_e32 v7, 0
	s_wait_alu 0xfffe
	s_lshl_b64 s[4:5], s[4:5], 2
	s_wait_alu 0xfffe
	s_add_nc_u64 s[4:5], s[0:1], s[4:5]
	global_store_b32 v7, v5, s[4:5]
.LBB249_15:
	s_wait_alu 0xfffe
	s_or_b32 exec_lo, exec_lo, s2
	ds_bpermute_b32 v0, v0, v6
	s_wait_dscnt 0x0
	v_add_f32_e32 v0, v6, v0
	ds_bpermute_b32 v1, v1, v0
	s_wait_dscnt 0x0
	v_add_f32_e32 v0, v0, v1
	;; [unrolled: 3-line block ×4, first 2 shown]
	ds_bpermute_b32 v1, v4, v0
	s_and_b32 exec_lo, exec_lo, vcc_lo
	s_cbranch_execz .LBB249_17
; %bb.16:
	s_mul_i32 s2, s6, 5
	s_mov_b32 s3, 0
	s_wait_dscnt 0x0
	v_dual_add_f32 v0, v0, v1 :: v_dual_mov_b32 v1, 0
	s_wait_alu 0xfffe
	s_lshl_b64 s[2:3], s[2:3], 2
	s_wait_alu 0xfffe
	s_add_nc_u64 s[0:1], s[0:1], s[2:3]
	global_store_b32 v1, v0, s[0:1]
.LBB249_17:
	s_endpgm
	.section	.rodata,"a",@progbits
	.p2align	6, 0x0
	.amdhsa_kernel _ZL13mul_mat_vec_qIL9ggml_type23ELi6ELb0ELb0EEvPKvS2_PKi31ggml_cuda_mm_fusion_args_devicePfj15HIP_vector_typeIjLj3EEjjjS8_jjjS8_jjjj
		.amdhsa_group_segment_fixed_size 0
		.amdhsa_private_segment_fixed_size 0
		.amdhsa_kernarg_size 144
		.amdhsa_user_sgpr_count 2
		.amdhsa_user_sgpr_dispatch_ptr 0
		.amdhsa_user_sgpr_queue_ptr 0
		.amdhsa_user_sgpr_kernarg_segment_ptr 1
		.amdhsa_user_sgpr_dispatch_id 0
		.amdhsa_user_sgpr_private_segment_size 0
		.amdhsa_wavefront_size32 1
		.amdhsa_uses_dynamic_stack 0
		.amdhsa_enable_private_segment 0
		.amdhsa_system_sgpr_workgroup_id_x 1
		.amdhsa_system_sgpr_workgroup_id_y 1
		.amdhsa_system_sgpr_workgroup_id_z 1
		.amdhsa_system_sgpr_workgroup_info 0
		.amdhsa_system_vgpr_workitem_id 1
		.amdhsa_next_free_vgpr 92
		.amdhsa_next_free_sgpr 30
		.amdhsa_reserve_vcc 1
		.amdhsa_float_round_mode_32 0
		.amdhsa_float_round_mode_16_64 0
		.amdhsa_float_denorm_mode_32 3
		.amdhsa_float_denorm_mode_16_64 3
		.amdhsa_fp16_overflow 0
		.amdhsa_workgroup_processor_mode 1
		.amdhsa_memory_ordered 1
		.amdhsa_forward_progress 1
		.amdhsa_inst_pref_size 24
		.amdhsa_round_robin_scheduling 0
		.amdhsa_exception_fp_ieee_invalid_op 0
		.amdhsa_exception_fp_denorm_src 0
		.amdhsa_exception_fp_ieee_div_zero 0
		.amdhsa_exception_fp_ieee_overflow 0
		.amdhsa_exception_fp_ieee_underflow 0
		.amdhsa_exception_fp_ieee_inexact 0
		.amdhsa_exception_int_div_zero 0
	.end_amdhsa_kernel
	.section	.text._ZL13mul_mat_vec_qIL9ggml_type23ELi6ELb0ELb0EEvPKvS2_PKi31ggml_cuda_mm_fusion_args_devicePfj15HIP_vector_typeIjLj3EEjjjS8_jjjS8_jjjj,"axG",@progbits,_ZL13mul_mat_vec_qIL9ggml_type23ELi6ELb0ELb0EEvPKvS2_PKi31ggml_cuda_mm_fusion_args_devicePfj15HIP_vector_typeIjLj3EEjjjS8_jjjS8_jjjj,comdat
.Lfunc_end249:
	.size	_ZL13mul_mat_vec_qIL9ggml_type23ELi6ELb0ELb0EEvPKvS2_PKi31ggml_cuda_mm_fusion_args_devicePfj15HIP_vector_typeIjLj3EEjjjS8_jjjS8_jjjj, .Lfunc_end249-_ZL13mul_mat_vec_qIL9ggml_type23ELi6ELb0ELb0EEvPKvS2_PKi31ggml_cuda_mm_fusion_args_devicePfj15HIP_vector_typeIjLj3EEjjjS8_jjjS8_jjjj
                                        ; -- End function
	.set _ZL13mul_mat_vec_qIL9ggml_type23ELi6ELb0ELb0EEvPKvS2_PKi31ggml_cuda_mm_fusion_args_devicePfj15HIP_vector_typeIjLj3EEjjjS8_jjjS8_jjjj.num_vgpr, 92
	.set _ZL13mul_mat_vec_qIL9ggml_type23ELi6ELb0ELb0EEvPKvS2_PKi31ggml_cuda_mm_fusion_args_devicePfj15HIP_vector_typeIjLj3EEjjjS8_jjjS8_jjjj.num_agpr, 0
	.set _ZL13mul_mat_vec_qIL9ggml_type23ELi6ELb0ELb0EEvPKvS2_PKi31ggml_cuda_mm_fusion_args_devicePfj15HIP_vector_typeIjLj3EEjjjS8_jjjS8_jjjj.numbered_sgpr, 30
	.set _ZL13mul_mat_vec_qIL9ggml_type23ELi6ELb0ELb0EEvPKvS2_PKi31ggml_cuda_mm_fusion_args_devicePfj15HIP_vector_typeIjLj3EEjjjS8_jjjS8_jjjj.num_named_barrier, 0
	.set _ZL13mul_mat_vec_qIL9ggml_type23ELi6ELb0ELb0EEvPKvS2_PKi31ggml_cuda_mm_fusion_args_devicePfj15HIP_vector_typeIjLj3EEjjjS8_jjjS8_jjjj.private_seg_size, 0
	.set _ZL13mul_mat_vec_qIL9ggml_type23ELi6ELb0ELb0EEvPKvS2_PKi31ggml_cuda_mm_fusion_args_devicePfj15HIP_vector_typeIjLj3EEjjjS8_jjjS8_jjjj.uses_vcc, 1
	.set _ZL13mul_mat_vec_qIL9ggml_type23ELi6ELb0ELb0EEvPKvS2_PKi31ggml_cuda_mm_fusion_args_devicePfj15HIP_vector_typeIjLj3EEjjjS8_jjjS8_jjjj.uses_flat_scratch, 0
	.set _ZL13mul_mat_vec_qIL9ggml_type23ELi6ELb0ELb0EEvPKvS2_PKi31ggml_cuda_mm_fusion_args_devicePfj15HIP_vector_typeIjLj3EEjjjS8_jjjS8_jjjj.has_dyn_sized_stack, 0
	.set _ZL13mul_mat_vec_qIL9ggml_type23ELi6ELb0ELb0EEvPKvS2_PKi31ggml_cuda_mm_fusion_args_devicePfj15HIP_vector_typeIjLj3EEjjjS8_jjjS8_jjjj.has_recursion, 0
	.set _ZL13mul_mat_vec_qIL9ggml_type23ELi6ELb0ELb0EEvPKvS2_PKi31ggml_cuda_mm_fusion_args_devicePfj15HIP_vector_typeIjLj3EEjjjS8_jjjS8_jjjj.has_indirect_call, 0
	.section	.AMDGPU.csdata,"",@progbits
; Kernel info:
; codeLenInByte = 3024
; TotalNumSgprs: 32
; NumVgprs: 92
; ScratchSize: 0
; MemoryBound: 0
; FloatMode: 240
; IeeeMode: 1
; LDSByteSize: 0 bytes/workgroup (compile time only)
; SGPRBlocks: 0
; VGPRBlocks: 11
; NumSGPRsForWavesPerEU: 32
; NumVGPRsForWavesPerEU: 92
; Occupancy: 16
; WaveLimiterHint : 0
; COMPUTE_PGM_RSRC2:SCRATCH_EN: 0
; COMPUTE_PGM_RSRC2:USER_SGPR: 2
; COMPUTE_PGM_RSRC2:TRAP_HANDLER: 0
; COMPUTE_PGM_RSRC2:TGID_X_EN: 1
; COMPUTE_PGM_RSRC2:TGID_Y_EN: 1
; COMPUTE_PGM_RSRC2:TGID_Z_EN: 1
; COMPUTE_PGM_RSRC2:TIDIG_COMP_CNT: 1
	.section	.text._ZL13mul_mat_vec_qIL9ggml_type23ELi7ELb0ELb0EEvPKvS2_PKi31ggml_cuda_mm_fusion_args_devicePfj15HIP_vector_typeIjLj3EEjjjS8_jjjS8_jjjj,"axG",@progbits,_ZL13mul_mat_vec_qIL9ggml_type23ELi7ELb0ELb0EEvPKvS2_PKi31ggml_cuda_mm_fusion_args_devicePfj15HIP_vector_typeIjLj3EEjjjS8_jjjS8_jjjj,comdat
	.globl	_ZL13mul_mat_vec_qIL9ggml_type23ELi7ELb0ELb0EEvPKvS2_PKi31ggml_cuda_mm_fusion_args_devicePfj15HIP_vector_typeIjLj3EEjjjS8_jjjS8_jjjj ; -- Begin function _ZL13mul_mat_vec_qIL9ggml_type23ELi7ELb0ELb0EEvPKvS2_PKi31ggml_cuda_mm_fusion_args_devicePfj15HIP_vector_typeIjLj3EEjjjS8_jjjS8_jjjj
	.p2align	8
	.type	_ZL13mul_mat_vec_qIL9ggml_type23ELi7ELb0ELb0EEvPKvS2_PKi31ggml_cuda_mm_fusion_args_devicePfj15HIP_vector_typeIjLj3EEjjjS8_jjjS8_jjjj,@function
_ZL13mul_mat_vec_qIL9ggml_type23ELi7ELb0ELb0EEvPKvS2_PKi31ggml_cuda_mm_fusion_args_devicePfj15HIP_vector_typeIjLj3EEjjjS8_jjjS8_jjjj: ; @_ZL13mul_mat_vec_qIL9ggml_type23ELi7ELb0ELb0EEvPKvS2_PKi31ggml_cuda_mm_fusion_args_devicePfj15HIP_vector_typeIjLj3EEjjjS8_jjjS8_jjjj
; %bb.0:
	s_clause 0x5
	s_load_b96 s[16:18], s[0:1], 0x80
	s_load_b32 s2, s[0:1], 0x40
	s_load_b128 s[4:7], s[0:1], 0x50
	s_load_b32 s23, s[0:1], 0x60
	s_load_b128 s[8:11], s[0:1], 0x68
	s_load_b32 s24, s[0:1], 0x78
	v_bfe_u32 v12, v0, 10, 10
	v_dual_mov_b32 v8, 0 :: v_dual_and_b32 v9, 0x3ff, v0
	v_dual_mov_b32 v7, 0 :: v_dual_mov_b32 v10, 0
	v_dual_mov_b32 v11, 0 :: v_dual_mov_b32 v14, 0
	s_delay_alu instid0(VALU_DEP_3) | instskip(SKIP_3) | instid1(VALU_DEP_2)
	v_lshl_or_b32 v0, v12, 5, v9
	v_dual_mov_b32 v13, 0 :: v_dual_mov_b32 v16, 0
	s_and_b32 s19, ttmp7, 0xffff
	s_lshr_b32 s20, ttmp7, 16
	v_lshrrev_b32_e32 v15, 3, v0
	s_mov_b32 s21, exec_lo
	s_wait_kmcnt 0x0
	s_lshr_b32 s22, s2, 8
	s_delay_alu instid0(VALU_DEP_1) | instid1(SALU_CYCLE_1)
	v_cmpx_gt_u32_e64 s22, v15
	s_cbranch_execz .LBB250_4
; %bb.1:
	v_lshl_add_u32 v0, v12, 5, v9
	s_mul_hi_u32 s11, s11, s20
	s_mov_b32 s3, 0
	s_mul_i32 s26, s9, s19
	s_add_co_i32 s9, s20, s11
	v_lshrrev_b32_e32 v0, 3, v0
	s_mov_b32 s27, s3
	s_lshr_b32 s9, s9, s24
	s_mul_u64 s[24:25], s[26:27], 36
	s_load_b128 s[12:15], s[0:1], 0x0
	v_mad_co_u64_u32 v[2:3], null, 0x120, v0, s[24:25]
	s_mul_i32 s2, s17, s20
	v_dual_mov_b32 v7, 0 :: v_dual_lshlrev_b32 v4, 2, v9
	v_and_b32_e32 v5, 7, v9
	s_mul_hi_u32 s7, s7, s19
	v_dual_mov_b32 v13, 0 :: v_dual_lshlrev_b32 v6, 3, v15
	v_mad_co_u64_u32 v[2:3], null, s2, 36, v[2:3]
	v_and_b32_e32 v8, 28, v4
	s_add_co_i32 s7, s19, s7
	s_mul_u64 s[28:29], s[2:3], 36
	s_lshr_b32 s7, s7, s23
	s_mul_i32 s11, s9, s16
	v_lshrrev_b32_e32 v19, 1, v8
	v_dual_mov_b32 v8, 0 :: v_dual_lshlrev_b32 v23, 2, v8
	v_mad_co_u64_u32 v[10:11], null, v5, 36, v[2:3]
	s_mul_i32 s7, s7, s8
	s_wait_kmcnt 0x0
	s_add_nc_u64 s[8:9], s[14:15], s[28:29]
	v_mad_co_u64_u32 v[2:3], null, s5, 6, v[6:7]
	s_add_nc_u64 s[8:9], s[8:9], s[24:25]
	v_bfe_u32 v17, v4, 3, 2
	v_and_b32_e32 v18, 4, v4
	v_mad_co_u64_u32 v[3:4], null, s5, 5, v[6:7]
	v_mad_co_u64_u32 v[0:1], null, v5, 36, s[8:9]
	;; [unrolled: 1-line block ×3, first 2 shown]
	v_add_co_u32 v5, vcc_lo, s14, v10
	s_delay_alu instid0(VALU_DEP_1)
	v_add_co_ci_u32_e64 v10, null, s15, v11, vcc_lo
	s_mul_i32 s4, s4, ttmp9
	v_add_co_u32 v5, vcc_lo, v5, 16
	v_add_nc_u32_e32 v20, s5, v6
	v_lshl_add_u32 v21, s5, 2, v6
	v_lshl_add_u32 v22, s5, 1, v6
	s_wait_alu 0xfffd
	v_add_co_ci_u32_e64 v6, null, 0, v10, vcc_lo
	v_dual_mov_b32 v10, 0 :: v_dual_mov_b32 v11, 0
	v_mov_b32_e32 v14, 0
	v_mov_b32_e32 v16, 0
	s_wait_alu 0xfffe
	s_add_co_i32 s7, s7, s4
	s_mov_b32 s2, 0xf6eaddcf
	s_add_co_i32 s4, s11, s7
	s_mov_b32 s5, 0x71594535
	s_mov_b32 s7, 0x4040404
.LBB250_2:                              ; =>This Inner Loop Header: Depth=1
	s_wait_alu 0xfffe
	v_add_nc_u32_e32 v32, s4, v15
	v_mad_co_u64_u32 v[40:41], null, v20, 36, v[0:1]
	v_mad_co_u64_u32 v[44:45], null, v22, 36, v[0:1]
	s_delay_alu instid0(VALU_DEP_3)
	v_mad_co_i64_i32 v[78:79], null, 0x88, v32, s[12:13]
	v_mad_co_u64_u32 v[56:57], null, v4, 36, v[0:1]
	s_clause 0x1
	global_load_b128 v[24:27], v[5:6], off offset:-16
	global_load_b128 v[28:31], v[5:6], off
	v_mad_co_u64_u32 v[72:73], null, v21, 36, v[0:1]
	v_mad_co_u64_u32 v[74:75], null, v3, 36, v[0:1]
	v_add_co_u32 v68, vcc_lo, v78, v23
	s_wait_alu 0xfffd
	v_add_co_ci_u32_e64 v69, null, 0, v79, vcc_lo
	v_add_co_u32 v80, vcc_lo, v78, v17
	s_wait_alu 0xfffd
	v_add_co_ci_u32_e64 v81, null, 0, v79, vcc_lo
	v_mad_co_u64_u32 v[76:77], null, v2, 36, v[0:1]
	s_clause 0xc
	global_load_b128 v[32:35], v[40:41], off
	global_load_b128 v[36:39], v[40:41], off offset:16
	global_load_b32 v82, v[40:41], off offset:32
	global_load_b128 v[40:43], v[44:45], off
	global_load_b32 v83, v[44:45], off offset:32
	global_load_b128 v[44:47], v[44:45], off offset:16
	global_load_b128 v[48:51], v[56:57], off
	global_load_b128 v[52:55], v[56:57], off offset:16
	global_load_b32 v84, v[56:57], off offset:32
	global_load_b128 v[56:59], v[72:73], off
	global_load_b32 v85, v[72:73], off offset:32
	global_load_b128 v[60:63], v[74:75], off
	global_load_b128 v[64:67], v[76:77], off
	s_clause 0x2
	global_load_b128 v[68:71], v[68:69], off offset:8
	global_load_u8 v80, v[80:81], off offset:4
	global_load_b32 v78, v[78:79], off
	v_add_nc_u32_e32 v2, 32, v2
	v_add_nc_u32_e32 v3, 32, v3
	v_add_nc_u32_e32 v22, 32, v22
	s_wait_loadcnt 0xc
	v_cvt_f32_f16_e32 v40, v40
	s_wait_loadcnt 0x2
	v_ashrrev_i32_e32 v79, 4, v68
	v_and_b32_e32 v81, 0x7070707, v68
	v_lshrrev_b32_e32 v68, 1, v68
	v_and_b32_e32 v86, 0x7070707, v69
	v_lshrrev_b32_e32 v87, 1, v69
	v_and_b32_e32 v88, 0x7070707, v70
	v_perm_b32 v89, s2, 0xbfad9881, v81
	v_perm_b32 v81, s5, 0x26190d01, v81
	v_and_or_b32 v68, v68, s7, 0x3020100
	v_and_or_b32 v87, v87, s7, 0x3020100
	v_ashrrev_i32_e32 v69, 4, v69
	s_delay_alu instid0(VALU_DEP_3) | instskip(SKIP_3) | instid1(VALU_DEP_4)
	v_perm_b32 v68, v81, v89, v68
	v_lshrrev_b32_e32 v81, 1, v70
	v_perm_b32 v89, s2, 0xbfad9881, v86
	v_perm_b32 v86, s5, 0x26190d01, v86
	v_dot4_i32_iu8 v41, v68, v41, 0 neg_lo:[1,1,0]
	s_delay_alu instid0(VALU_DEP_4) | instskip(NEXT) | instid1(VALU_DEP_3)
	v_and_or_b32 v81, v81, s7, 0x3020100
	v_perm_b32 v86, v86, v89, v87
	v_perm_b32 v87, s2, 0xbfad9881, v88
	v_perm_b32 v88, s5, 0x26190d01, v88
	s_delay_alu instid0(VALU_DEP_1) | instskip(SKIP_2) | instid1(VALU_DEP_2)
	v_perm_b32 v81, v88, v87, v81
	v_and_b32_e32 v87, 0x7070707, v79
	v_lshrrev_b32_e32 v79, 1, v79
	v_perm_b32 v88, s2, 0xbfad9881, v87
	v_perm_b32 v87, s5, 0x26190d01, v87
	s_delay_alu instid0(VALU_DEP_3) | instskip(NEXT) | instid1(VALU_DEP_1)
	v_and_or_b32 v79, v79, s7, 0x3020100
	v_perm_b32 v79, v87, v88, v79
	v_and_b32_e32 v87, 0x7070707, v69
	v_lshrrev_b32_e32 v69, 1, v69
	s_delay_alu instid0(VALU_DEP_3) | instskip(NEXT) | instid1(VALU_DEP_3)
	v_dot4_i32_iu8 v41, v79, v45, v41 neg_lo:[1,1,0]
	v_perm_b32 v88, s2, 0xbfad9881, v87
	v_perm_b32 v87, s5, 0x26190d01, v87
	s_delay_alu instid0(VALU_DEP_4) | instskip(NEXT) | instid1(VALU_DEP_4)
	v_and_or_b32 v69, v69, s7, 0x3020100
	v_dot4_i32_iu8 v41, v86, v42, v41 neg_lo:[1,1,0]
	v_dot4_i32_iu8 v42, v68, v49, 0 neg_lo:[1,1,0]
	s_delay_alu instid0(VALU_DEP_3) | instskip(SKIP_2) | instid1(VALU_DEP_4)
	v_perm_b32 v69, v87, v88, v69
	v_cvt_f32_f16_e32 v87, v24
	v_dot4_i32_iu8 v24, v68, v25, 0 neg_lo:[1,1,0]
	v_dot4_i32_iu8 v42, v79, v53, v42 neg_lo:[1,1,0]
	v_cvt_f32_f16_e32 v53, v60
	v_dot4_i32_iu8 v41, v69, v46, v41 neg_lo:[1,1,0]
	s_wait_loadcnt 0x1
	v_bfe_u32 v60, v80, v18, 4
	v_dot4_i32_iu8 v24, v79, v29, v24 neg_lo:[1,1,0]
	v_dot4_i32_iu8 v42, v86, v50, v42 neg_lo:[1,1,0]
	v_ashrrev_i32_e32 v50, 4, v71
	v_dot4_i32_iu8 v45, v81, v43, v41 neg_lo:[1,1,0]
	v_cvt_f32_f16_e32 v41, v48
	v_dot4_i32_iu8 v24, v86, v26, v24 neg_lo:[1,1,0]
	v_dot4_i32_iu8 v42, v69, v54, v42 neg_lo:[1,1,0]
	v_and_b32_e32 v49, 0x7070707, v71
	v_ashrrev_i32_e32 v43, 4, v70
	v_cvt_f32_f16_e32 v54, v64
	v_dot4_i32_iu8 v24, v69, v30, v24 neg_lo:[1,1,0]
	v_cvt_f32_f16_e32 v30, v32
	v_dot4_i32_iu8 v32, v68, v33, 0 neg_lo:[1,1,0]
	v_dot4_i32_iu8 v48, v81, v51, v42 neg_lo:[1,1,0]
	v_lshrrev_b32_e32 v51, 1, v71
	v_dot4_i32_iu8 v29, v81, v27, v24 neg_lo:[1,1,0]
	global_load_b128 v[24:27], v[72:73], off offset:16
	v_dot4_i32_iu8 v32, v79, v37, v32 neg_lo:[1,1,0]
	v_cvt_f32_f16_e32 v42, v56
	v_perm_b32 v56, s2, 0xbfad9881, v49
	v_perm_b32 v49, s5, 0x26190d01, v49
	v_and_or_b32 v51, v51, s7, 0x3020100
	v_dot4_i32_iu8 v32, v86, v34, v32 neg_lo:[1,1,0]
	s_delay_alu instid0(VALU_DEP_2) | instskip(NEXT) | instid1(VALU_DEP_2)
	v_perm_b32 v49, v49, v56, v51
	v_dot4_i32_iu8 v32, v69, v38, v32 neg_lo:[1,1,0]
	v_and_b32_e32 v51, 0x7070707, v43
	v_lshrrev_b32_e32 v43, 1, v43
	s_delay_alu instid0(VALU_DEP_3)
	v_dot4_i32_iu8 v37, v81, v35, v32 neg_lo:[1,1,0]
	s_clause 0x1
	global_load_b128 v[32:35], v[74:75], off offset:16
	global_load_b32 v38, v[74:75], off offset:32
	v_perm_b32 v56, s2, 0xbfad9881, v51
	v_perm_b32 v51, s5, 0x26190d01, v51
	v_and_or_b32 v43, v43, s7, 0x3020100
	global_load_b32 v46, v[76:77], off offset:32
	v_perm_b32 v51, v51, v56, v43
	s_wait_loadcnt 0x4
	v_cvt_f32_f16_e32 v56, v78
	v_lshrrev_b32_e32 v43, 16, v78
	s_delay_alu instid0(VALU_DEP_3) | instskip(NEXT) | instid1(VALU_DEP_3)
	v_dot4_i32_iu8 v29, v51, v31, v29 neg_lo:[1,1,0]
	v_dual_mul_f32 v71, v56, v40 :: v_dual_and_b32 v64, 0x7070707, v50
	v_lshrrev_b32_e32 v50, 1, v50
	s_delay_alu instid0(VALU_DEP_4)
	v_lshrrev_b32_e32 v43, v19, v43
	v_mul_f32_e32 v72, v56, v41
	v_mul_f32_e32 v73, v56, v42
	v_perm_b32 v40, s2, 0xbfad9881, v64
	v_perm_b32 v41, s5, 0x26190d01, v64
	v_and_or_b32 v42, v50, s7, 0x3020100
	v_lshlrev_b32_e32 v43, 4, v43
	v_mul_f32_e32 v70, v56, v87
	v_mul_f32_e32 v30, v56, v30
	;; [unrolled: 1-line block ×3, first 2 shown]
	v_perm_b32 v50, v41, v40, v42
	v_dot4_i32_iu8 v40, v68, v57, 0 neg_lo:[1,1,0]
	v_dot4_i32_iu8 v41, v68, v61, 0 neg_lo:[1,1,0]
	v_mul_f32_e32 v54, v56, v54
	v_and_or_b32 v56, v43, 48, v60
	v_dot4_i32_iu8 v57, v68, v65, 0 neg_lo:[1,1,0]
	v_dot4_i32_iu8 v31, v51, v39, v37 neg_lo:[1,1,0]
	;; [unrolled: 1-line block ×4, first 2 shown]
	v_subrev_nc_u32_e32 v56, 32, v56
	s_delay_alu instid0(VALU_DEP_4) | instskip(SKIP_2) | instid1(VALU_DEP_1)
	v_dot4_i32_iu8 v29, v49, v36, v31 neg_lo:[1,1,0]
	s_wait_loadcnt 0x3
	v_dot4_i32_iu8 v25, v79, v25, v40 neg_lo:[1,1,0]
	v_dot4_i32_iu8 v25, v86, v58, v25 neg_lo:[1,1,0]
	s_delay_alu instid0(VALU_DEP_1) | instskip(NEXT) | instid1(VALU_DEP_1)
	v_dot4_i32_iu8 v25, v69, v26, v25 neg_lo:[1,1,0]
	v_dot4_i32_iu8 v25, v81, v59, v25 neg_lo:[1,1,0]
	s_wait_loadcnt 0x2
	v_dot4_i32_iu8 v33, v79, v33, v41 neg_lo:[1,1,0]
	global_load_b128 v[40:43], v[76:77], off offset:16
	v_dot4_i32_iu8 v25, v51, v27, v25 neg_lo:[1,1,0]
	v_dot4_i32_iu8 v33, v86, v62, v33 neg_lo:[1,1,0]
	s_delay_alu instid0(VALU_DEP_2) | instskip(NEXT) | instid1(VALU_DEP_2)
	v_dot4_i32_iu8 v24, v49, v24, v25 neg_lo:[1,1,0]
	v_dot4_i32_iu8 v26, v69, v34, v33 neg_lo:[1,1,0]
	;; [unrolled: 1-line block ×3, first 2 shown]
	s_delay_alu instid0(VALU_DEP_3) | instskip(NEXT) | instid1(VALU_DEP_3)
	v_dot4_i32_iu8 v24, v50, v85, v24 neg_lo:[1,1,0]
	v_dot4_i32_iu8 v26, v81, v63, v26 neg_lo:[1,1,0]
	s_delay_alu instid0(VALU_DEP_3) | instskip(NEXT) | instid1(VALU_DEP_3)
	v_dot4_i32_iu8 v31, v49, v44, v34 neg_lo:[1,1,0]
	v_mul_lo_u32 v24, v56, v24
	s_delay_alu instid0(VALU_DEP_3) | instskip(NEXT) | instid1(VALU_DEP_1)
	v_dot4_i32_iu8 v26, v51, v35, v26 neg_lo:[1,1,0]
	v_dot4_i32_iu8 v25, v49, v32, v26 neg_lo:[1,1,0]
	s_delay_alu instid0(VALU_DEP_3) | instskip(SKIP_1) | instid1(VALU_DEP_2)
	v_cvt_f32_i32_e32 v24, v24
	s_wait_loadcnt 0x2
	v_dot4_i32_iu8 v25, v50, v38, v25 neg_lo:[1,1,0]
	s_delay_alu instid0(VALU_DEP_2) | instskip(NEXT) | instid1(VALU_DEP_2)
	v_fmac_f32_e32 v10, v73, v24
	v_mul_lo_u32 v25, v56, v25
	s_delay_alu instid0(VALU_DEP_1) | instskip(NEXT) | instid1(VALU_DEP_1)
	v_cvt_f32_i32_e32 v25, v25
	v_dual_fmac_f32 v8, v53, v25 :: v_dual_add_nc_u32 v15, 4, v15
	s_wait_loadcnt 0x0
	v_dot4_i32_iu8 v41, v79, v41, v57 neg_lo:[1,1,0]
	global_load_b32 v57, v[5:6], off offset:16
	v_add_co_u32 v5, vcc_lo, 0x480, v5
	s_wait_alu 0xfffd
	v_add_co_ci_u32_e64 v6, null, 0, v6, vcc_lo
	v_dot4_i32_iu8 v41, v86, v66, v41 neg_lo:[1,1,0]
	v_cmp_le_u32_e32 vcc_lo, s22, v15
	s_delay_alu instid0(VALU_DEP_2) | instskip(SKIP_1) | instid1(VALU_DEP_1)
	v_dot4_i32_iu8 v33, v69, v42, v41 neg_lo:[1,1,0]
	s_or_b32 s3, vcc_lo, s3
	v_dot4_i32_iu8 v33, v81, v67, v33 neg_lo:[1,1,0]
	s_delay_alu instid0(VALU_DEP_1) | instskip(SKIP_1) | instid1(VALU_DEP_2)
	v_dot4_i32_iu8 v27, v51, v43, v33 neg_lo:[1,1,0]
	v_dot4_i32_iu8 v33, v49, v52, v37 neg_lo:[1,1,0]
	;; [unrolled: 1-line block ×3, first 2 shown]
	s_delay_alu instid0(VALU_DEP_1) | instskip(NEXT) | instid1(VALU_DEP_1)
	v_dot4_i32_iu8 v26, v50, v46, v26 neg_lo:[1,1,0]
	v_mul_lo_u32 v26, v56, v26
	s_delay_alu instid0(VALU_DEP_1) | instskip(NEXT) | instid1(VALU_DEP_1)
	v_cvt_f32_i32_e32 v26, v26
	v_dual_fmac_f32 v7, v54, v26 :: v_dual_add_nc_u32 v4, 32, v4
	s_wait_loadcnt 0x0
	v_dot4_i32_iu8 v27, v50, v57, v28 neg_lo:[1,1,0]
	v_dot4_i32_iu8 v28, v50, v82, v29 neg_lo:[1,1,0]
	;; [unrolled: 1-line block ×4, first 2 shown]
	s_delay_alu instid0(VALU_DEP_4) | instskip(NEXT) | instid1(VALU_DEP_4)
	v_mul_lo_u32 v27, v56, v27
	v_mul_lo_u32 v28, v56, v28
	s_delay_alu instid0(VALU_DEP_4) | instskip(NEXT) | instid1(VALU_DEP_4)
	v_mul_lo_u32 v29, v56, v29
	v_mul_lo_u32 v31, v56, v31
	s_delay_alu instid0(VALU_DEP_4) | instskip(NEXT) | instid1(VALU_DEP_4)
	v_cvt_f32_i32_e32 v27, v27
	v_cvt_f32_i32_e32 v28, v28
	s_delay_alu instid0(VALU_DEP_4) | instskip(NEXT) | instid1(VALU_DEP_4)
	v_cvt_f32_i32_e32 v29, v29
	v_cvt_f32_i32_e32 v31, v31
	v_add_nc_u32_e32 v20, 32, v20
	v_dual_fmac_f32 v16, v70, v27 :: v_dual_add_nc_u32 v21, 32, v21
	s_delay_alu instid0(VALU_DEP_4) | instskip(NEXT) | instid1(VALU_DEP_4)
	v_dual_fmac_f32 v14, v30, v28 :: v_dual_fmac_f32 v13, v71, v29
	v_fmac_f32_e32 v11, v72, v31
	s_wait_alu 0xfffe
	s_and_not1_b32 exec_lo, exec_lo, s3
	s_cbranch_execnz .LBB250_2
; %bb.3:
	s_or_b32 exec_lo, exec_lo, s3
.LBB250_4:
	s_delay_alu instid0(SALU_CYCLE_1)
	s_or_b32 exec_lo, exec_lo, s21
	s_mov_b32 s3, 0
	; wave barrier
	global_inv scope:SCOPE_SE
	s_mov_b32 s2, exec_lo
	v_cmpx_eq_u32_e32 0, v12
	s_cbranch_execz .LBB250_19
; %bb.5:
	v_mbcnt_lo_u32_b32 v4, -1, 0
	s_load_b64 s[0:1], s[0:1], 0x38
	s_mul_i32 s2, s10, s19
	s_mul_i32 s4, s18, s20
	s_wait_alu 0xfffe
	s_add_co_i32 s2, s2, ttmp9
	v_xor_b32_e32 v0, 16, v4
	v_xor_b32_e32 v1, 8, v4
	;; [unrolled: 1-line block ×3, first 2 shown]
	s_wait_alu 0xfffe
	s_add_co_i32 s2, s2, s4
	s_wait_alu 0xfffe
	s_lshl_b64 s[2:3], s[2:3], 2
	v_cmp_gt_i32_e32 vcc_lo, 32, v0
	s_wait_alu 0xfffd
	v_cndmask_b32_e32 v0, v4, v0, vcc_lo
	v_cmp_gt_i32_e32 vcc_lo, 32, v1
	s_wait_kmcnt 0x0
	s_wait_alu 0xfffe
	s_add_nc_u64 s[0:1], s[0:1], s[2:3]
	s_wait_alu 0xfffd
	v_cndmask_b32_e32 v1, v4, v1, vcc_lo
	s_delay_alu instid0(VALU_DEP_1)
	v_lshlrev_b32_e32 v1, 2, v1
	v_lshlrev_b32_e32 v0, 2, v0
	ds_bpermute_b32 v2, v0, v16
	s_wait_dscnt 0x0
	v_add_f32_e32 v3, v16, v2
	v_xor_b32_e32 v2, 4, v4
	ds_bpermute_b32 v5, v1, v3
	v_cmp_gt_i32_e32 vcc_lo, 32, v2
	s_wait_dscnt 0x0
	s_wait_alu 0xfffd
	v_dual_cndmask_b32 v2, v4, v2 :: v_dual_add_f32 v5, v3, v5
	s_delay_alu instid0(VALU_DEP_1)
	v_lshlrev_b32_e32 v2, 2, v2
	v_xor_b32_e32 v3, 2, v4
	ds_bpermute_b32 v6, v2, v5
	v_cmp_gt_i32_e32 vcc_lo, 32, v3
	s_wait_alu 0xfffd
	v_cndmask_b32_e32 v3, v4, v3, vcc_lo
	v_cmp_gt_i32_e32 vcc_lo, 32, v12
	s_wait_alu 0xfffd
	v_cndmask_b32_e32 v4, v4, v12, vcc_lo
	v_cmp_eq_u32_e32 vcc_lo, 0, v9
	s_delay_alu instid0(VALU_DEP_2)
	v_lshlrev_b32_e32 v4, 2, v4
	v_lshlrev_b32_e32 v3, 2, v3
	s_wait_dscnt 0x0
	v_add_f32_e32 v5, v5, v6
	ds_bpermute_b32 v6, v3, v5
	s_wait_dscnt 0x0
	v_add_f32_e32 v5, v5, v6
	ds_bpermute_b32 v6, v4, v5
	s_and_saveexec_b32 s2, vcc_lo
	s_cbranch_execz .LBB250_7
; %bb.6:
	s_wait_dscnt 0x0
	v_dual_add_f32 v5, v5, v6 :: v_dual_mov_b32 v6, 0
	global_store_b32 v6, v5, s[0:1]
.LBB250_7:
	s_wait_alu 0xfffe
	s_or_b32 exec_lo, exec_lo, s2
	ds_bpermute_b32 v5, v0, v14
	s_wait_dscnt 0x0
	v_add_f32_e32 v5, v14, v5
	ds_bpermute_b32 v6, v1, v5
	s_wait_dscnt 0x0
	v_add_f32_e32 v5, v5, v6
	;; [unrolled: 3-line block ×4, first 2 shown]
	ds_bpermute_b32 v6, v4, v5
	s_and_saveexec_b32 s2, vcc_lo
	s_cbranch_execz .LBB250_9
; %bb.8:
	s_mov_b32 s7, 0
	s_wait_dscnt 0x0
	v_dual_add_f32 v5, v5, v6 :: v_dual_mov_b32 v6, 0
	s_wait_alu 0xfffe
	s_lshl_b64 s[4:5], s[6:7], 2
	s_wait_alu 0xfffe
	s_add_nc_u64 s[4:5], s[0:1], s[4:5]
	global_store_b32 v6, v5, s[4:5]
.LBB250_9:
	s_wait_alu 0xfffe
	s_or_b32 exec_lo, exec_lo, s2
	ds_bpermute_b32 v5, v0, v13
	s_wait_dscnt 0x0
	v_add_f32_e32 v5, v13, v5
	ds_bpermute_b32 v6, v1, v5
	s_wait_dscnt 0x0
	v_add_f32_e32 v5, v5, v6
	;; [unrolled: 3-line block ×4, first 2 shown]
	ds_bpermute_b32 v6, v4, v5
	s_and_saveexec_b32 s2, vcc_lo
	s_cbranch_execz .LBB250_11
; %bb.10:
	s_lshl_b32 s4, s6, 1
	s_mov_b32 s5, 0
	s_wait_dscnt 0x0
	v_dual_add_f32 v5, v5, v6 :: v_dual_mov_b32 v6, 0
	s_wait_alu 0xfffe
	s_lshl_b64 s[4:5], s[4:5], 2
	s_wait_alu 0xfffe
	s_add_nc_u64 s[4:5], s[0:1], s[4:5]
	global_store_b32 v6, v5, s[4:5]
.LBB250_11:
	s_wait_alu 0xfffe
	s_or_b32 exec_lo, exec_lo, s2
	ds_bpermute_b32 v5, v0, v11
	s_wait_dscnt 0x0
	v_add_f32_e32 v5, v11, v5
	ds_bpermute_b32 v6, v1, v5
	s_wait_dscnt 0x0
	v_add_f32_e32 v5, v5, v6
	;; [unrolled: 3-line block ×4, first 2 shown]
	ds_bpermute_b32 v6, v4, v5
	s_and_saveexec_b32 s2, vcc_lo
	s_cbranch_execz .LBB250_13
; %bb.12:
	s_mul_i32 s4, s6, 3
	s_mov_b32 s5, 0
	s_wait_dscnt 0x0
	v_dual_add_f32 v5, v5, v6 :: v_dual_mov_b32 v6, 0
	s_wait_alu 0xfffe
	s_lshl_b64 s[4:5], s[4:5], 2
	s_wait_alu 0xfffe
	s_add_nc_u64 s[4:5], s[0:1], s[4:5]
	global_store_b32 v6, v5, s[4:5]
.LBB250_13:
	s_wait_alu 0xfffe
	s_or_b32 exec_lo, exec_lo, s2
	ds_bpermute_b32 v5, v0, v10
	s_wait_dscnt 0x0
	v_add_f32_e32 v5, v10, v5
	ds_bpermute_b32 v6, v1, v5
	s_wait_dscnt 0x0
	v_add_f32_e32 v5, v5, v6
	;; [unrolled: 3-line block ×4, first 2 shown]
	ds_bpermute_b32 v6, v4, v5
	s_and_saveexec_b32 s2, vcc_lo
	s_cbranch_execz .LBB250_15
; %bb.14:
	s_lshl_b32 s4, s6, 2
	s_mov_b32 s5, 0
	s_wait_dscnt 0x0
	v_dual_add_f32 v5, v5, v6 :: v_dual_mov_b32 v6, 0
	s_wait_alu 0xfffe
	s_lshl_b64 s[4:5], s[4:5], 2
	s_wait_alu 0xfffe
	s_add_nc_u64 s[4:5], s[0:1], s[4:5]
	global_store_b32 v6, v5, s[4:5]
.LBB250_15:
	s_wait_alu 0xfffe
	s_or_b32 exec_lo, exec_lo, s2
	ds_bpermute_b32 v5, v0, v8
	s_wait_dscnt 0x0
	v_add_f32_e32 v5, v8, v5
	ds_bpermute_b32 v6, v1, v5
	s_wait_dscnt 0x0
	v_add_f32_e32 v5, v5, v6
	;; [unrolled: 3-line block ×4, first 2 shown]
	ds_bpermute_b32 v6, v4, v5
	s_and_saveexec_b32 s2, vcc_lo
	s_cbranch_execz .LBB250_17
; %bb.16:
	s_mul_i32 s4, s6, 5
	s_mov_b32 s5, 0
	s_wait_dscnt 0x0
	v_dual_add_f32 v5, v5, v6 :: v_dual_mov_b32 v6, 0
	s_wait_alu 0xfffe
	s_lshl_b64 s[4:5], s[4:5], 2
	s_wait_alu 0xfffe
	s_add_nc_u64 s[4:5], s[0:1], s[4:5]
	global_store_b32 v6, v5, s[4:5]
.LBB250_17:
	s_wait_alu 0xfffe
	s_or_b32 exec_lo, exec_lo, s2
	ds_bpermute_b32 v0, v0, v7
	s_wait_dscnt 0x0
	v_add_f32_e32 v0, v7, v0
	ds_bpermute_b32 v1, v1, v0
	s_wait_dscnt 0x0
	v_add_f32_e32 v0, v0, v1
	;; [unrolled: 3-line block ×4, first 2 shown]
	ds_bpermute_b32 v1, v4, v0
	s_and_b32 exec_lo, exec_lo, vcc_lo
	s_cbranch_execz .LBB250_19
; %bb.18:
	s_mul_i32 s2, s6, 6
	s_mov_b32 s3, 0
	s_wait_dscnt 0x0
	v_dual_add_f32 v0, v0, v1 :: v_dual_mov_b32 v1, 0
	s_wait_alu 0xfffe
	s_lshl_b64 s[2:3], s[2:3], 2
	s_wait_alu 0xfffe
	s_add_nc_u64 s[0:1], s[0:1], s[2:3]
	global_store_b32 v1, v0, s[0:1]
.LBB250_19:
	s_endpgm
	.section	.rodata,"a",@progbits
	.p2align	6, 0x0
	.amdhsa_kernel _ZL13mul_mat_vec_qIL9ggml_type23ELi7ELb0ELb0EEvPKvS2_PKi31ggml_cuda_mm_fusion_args_devicePfj15HIP_vector_typeIjLj3EEjjjS8_jjjS8_jjjj
		.amdhsa_group_segment_fixed_size 0
		.amdhsa_private_segment_fixed_size 0
		.amdhsa_kernarg_size 144
		.amdhsa_user_sgpr_count 2
		.amdhsa_user_sgpr_dispatch_ptr 0
		.amdhsa_user_sgpr_queue_ptr 0
		.amdhsa_user_sgpr_kernarg_segment_ptr 1
		.amdhsa_user_sgpr_dispatch_id 0
		.amdhsa_user_sgpr_private_segment_size 0
		.amdhsa_wavefront_size32 1
		.amdhsa_uses_dynamic_stack 0
		.amdhsa_enable_private_segment 0
		.amdhsa_system_sgpr_workgroup_id_x 1
		.amdhsa_system_sgpr_workgroup_id_y 1
		.amdhsa_system_sgpr_workgroup_id_z 1
		.amdhsa_system_sgpr_workgroup_info 0
		.amdhsa_system_vgpr_workitem_id 1
		.amdhsa_next_free_vgpr 90
		.amdhsa_next_free_sgpr 30
		.amdhsa_reserve_vcc 1
		.amdhsa_float_round_mode_32 0
		.amdhsa_float_round_mode_16_64 0
		.amdhsa_float_denorm_mode_32 3
		.amdhsa_float_denorm_mode_16_64 3
		.amdhsa_fp16_overflow 0
		.amdhsa_workgroup_processor_mode 1
		.amdhsa_memory_ordered 1
		.amdhsa_forward_progress 1
		.amdhsa_inst_pref_size 27
		.amdhsa_round_robin_scheduling 0
		.amdhsa_exception_fp_ieee_invalid_op 0
		.amdhsa_exception_fp_denorm_src 0
		.amdhsa_exception_fp_ieee_div_zero 0
		.amdhsa_exception_fp_ieee_overflow 0
		.amdhsa_exception_fp_ieee_underflow 0
		.amdhsa_exception_fp_ieee_inexact 0
		.amdhsa_exception_int_div_zero 0
	.end_amdhsa_kernel
	.section	.text._ZL13mul_mat_vec_qIL9ggml_type23ELi7ELb0ELb0EEvPKvS2_PKi31ggml_cuda_mm_fusion_args_devicePfj15HIP_vector_typeIjLj3EEjjjS8_jjjS8_jjjj,"axG",@progbits,_ZL13mul_mat_vec_qIL9ggml_type23ELi7ELb0ELb0EEvPKvS2_PKi31ggml_cuda_mm_fusion_args_devicePfj15HIP_vector_typeIjLj3EEjjjS8_jjjS8_jjjj,comdat
.Lfunc_end250:
	.size	_ZL13mul_mat_vec_qIL9ggml_type23ELi7ELb0ELb0EEvPKvS2_PKi31ggml_cuda_mm_fusion_args_devicePfj15HIP_vector_typeIjLj3EEjjjS8_jjjS8_jjjj, .Lfunc_end250-_ZL13mul_mat_vec_qIL9ggml_type23ELi7ELb0ELb0EEvPKvS2_PKi31ggml_cuda_mm_fusion_args_devicePfj15HIP_vector_typeIjLj3EEjjjS8_jjjS8_jjjj
                                        ; -- End function
	.set _ZL13mul_mat_vec_qIL9ggml_type23ELi7ELb0ELb0EEvPKvS2_PKi31ggml_cuda_mm_fusion_args_devicePfj15HIP_vector_typeIjLj3EEjjjS8_jjjS8_jjjj.num_vgpr, 90
	.set _ZL13mul_mat_vec_qIL9ggml_type23ELi7ELb0ELb0EEvPKvS2_PKi31ggml_cuda_mm_fusion_args_devicePfj15HIP_vector_typeIjLj3EEjjjS8_jjjS8_jjjj.num_agpr, 0
	.set _ZL13mul_mat_vec_qIL9ggml_type23ELi7ELb0ELb0EEvPKvS2_PKi31ggml_cuda_mm_fusion_args_devicePfj15HIP_vector_typeIjLj3EEjjjS8_jjjS8_jjjj.numbered_sgpr, 30
	.set _ZL13mul_mat_vec_qIL9ggml_type23ELi7ELb0ELb0EEvPKvS2_PKi31ggml_cuda_mm_fusion_args_devicePfj15HIP_vector_typeIjLj3EEjjjS8_jjjS8_jjjj.num_named_barrier, 0
	.set _ZL13mul_mat_vec_qIL9ggml_type23ELi7ELb0ELb0EEvPKvS2_PKi31ggml_cuda_mm_fusion_args_devicePfj15HIP_vector_typeIjLj3EEjjjS8_jjjS8_jjjj.private_seg_size, 0
	.set _ZL13mul_mat_vec_qIL9ggml_type23ELi7ELb0ELb0EEvPKvS2_PKi31ggml_cuda_mm_fusion_args_devicePfj15HIP_vector_typeIjLj3EEjjjS8_jjjS8_jjjj.uses_vcc, 1
	.set _ZL13mul_mat_vec_qIL9ggml_type23ELi7ELb0ELb0EEvPKvS2_PKi31ggml_cuda_mm_fusion_args_devicePfj15HIP_vector_typeIjLj3EEjjjS8_jjjS8_jjjj.uses_flat_scratch, 0
	.set _ZL13mul_mat_vec_qIL9ggml_type23ELi7ELb0ELb0EEvPKvS2_PKi31ggml_cuda_mm_fusion_args_devicePfj15HIP_vector_typeIjLj3EEjjjS8_jjjS8_jjjj.has_dyn_sized_stack, 0
	.set _ZL13mul_mat_vec_qIL9ggml_type23ELi7ELb0ELb0EEvPKvS2_PKi31ggml_cuda_mm_fusion_args_devicePfj15HIP_vector_typeIjLj3EEjjjS8_jjjS8_jjjj.has_recursion, 0
	.set _ZL13mul_mat_vec_qIL9ggml_type23ELi7ELb0ELb0EEvPKvS2_PKi31ggml_cuda_mm_fusion_args_devicePfj15HIP_vector_typeIjLj3EEjjjS8_jjjS8_jjjj.has_indirect_call, 0
	.section	.AMDGPU.csdata,"",@progbits
; Kernel info:
; codeLenInByte = 3356
; TotalNumSgprs: 32
; NumVgprs: 90
; ScratchSize: 0
; MemoryBound: 0
; FloatMode: 240
; IeeeMode: 1
; LDSByteSize: 0 bytes/workgroup (compile time only)
; SGPRBlocks: 0
; VGPRBlocks: 11
; NumSGPRsForWavesPerEU: 32
; NumVGPRsForWavesPerEU: 90
; Occupancy: 16
; WaveLimiterHint : 0
; COMPUTE_PGM_RSRC2:SCRATCH_EN: 0
; COMPUTE_PGM_RSRC2:USER_SGPR: 2
; COMPUTE_PGM_RSRC2:TRAP_HANDLER: 0
; COMPUTE_PGM_RSRC2:TGID_X_EN: 1
; COMPUTE_PGM_RSRC2:TGID_Y_EN: 1
; COMPUTE_PGM_RSRC2:TGID_Z_EN: 1
; COMPUTE_PGM_RSRC2:TIDIG_COMP_CNT: 1
	.section	.text._ZL13mul_mat_vec_qIL9ggml_type23ELi8ELb0ELb0EEvPKvS2_PKi31ggml_cuda_mm_fusion_args_devicePfj15HIP_vector_typeIjLj3EEjjjS8_jjjS8_jjjj,"axG",@progbits,_ZL13mul_mat_vec_qIL9ggml_type23ELi8ELb0ELb0EEvPKvS2_PKi31ggml_cuda_mm_fusion_args_devicePfj15HIP_vector_typeIjLj3EEjjjS8_jjjS8_jjjj,comdat
	.globl	_ZL13mul_mat_vec_qIL9ggml_type23ELi8ELb0ELb0EEvPKvS2_PKi31ggml_cuda_mm_fusion_args_devicePfj15HIP_vector_typeIjLj3EEjjjS8_jjjS8_jjjj ; -- Begin function _ZL13mul_mat_vec_qIL9ggml_type23ELi8ELb0ELb0EEvPKvS2_PKi31ggml_cuda_mm_fusion_args_devicePfj15HIP_vector_typeIjLj3EEjjjS8_jjjS8_jjjj
	.p2align	8
	.type	_ZL13mul_mat_vec_qIL9ggml_type23ELi8ELb0ELb0EEvPKvS2_PKi31ggml_cuda_mm_fusion_args_devicePfj15HIP_vector_typeIjLj3EEjjjS8_jjjS8_jjjj,@function
_ZL13mul_mat_vec_qIL9ggml_type23ELi8ELb0ELb0EEvPKvS2_PKi31ggml_cuda_mm_fusion_args_devicePfj15HIP_vector_typeIjLj3EEjjjS8_jjjS8_jjjj: ; @_ZL13mul_mat_vec_qIL9ggml_type23ELi8ELb0ELb0EEvPKvS2_PKi31ggml_cuda_mm_fusion_args_devicePfj15HIP_vector_typeIjLj3EEjjjS8_jjjS8_jjjj
; %bb.0:
	s_clause 0x5
	s_load_b96 s[16:18], s[0:1], 0x80
	s_load_b32 s2, s[0:1], 0x40
	s_load_b128 s[4:7], s[0:1], 0x50
	s_load_b32 s23, s[0:1], 0x60
	s_load_b128 s[8:11], s[0:1], 0x68
	s_load_b32 s24, s[0:1], 0x78
	v_bfe_u32 v11, v0, 10, 10
	v_dual_mov_b32 v4, 0 :: v_dual_and_b32 v7, 0x3ff, v0
	v_dual_mov_b32 v5, 0 :: v_dual_mov_b32 v6, 0
	v_dual_mov_b32 v8, 0 :: v_dual_mov_b32 v9, 0
	s_delay_alu instid0(VALU_DEP_3)
	v_lshl_or_b32 v0, v11, 5, v7
	v_mov_b32_e32 v10, 0
	v_mov_b32_e32 v12, 0
	;; [unrolled: 1-line block ×3, first 2 shown]
	s_and_b32 s19, ttmp7, 0xffff
	v_lshrrev_b32_e32 v13, 3, v0
	s_lshr_b32 s20, ttmp7, 16
	s_mov_b32 s21, exec_lo
	s_wait_kmcnt 0x0
	s_lshr_b32 s22, s2, 8
	s_delay_alu instid0(SALU_CYCLE_1)
	v_cmpx_gt_u32_e64 s22, v13
	s_cbranch_execz .LBB251_4
; %bb.1:
	v_lshl_add_u32 v0, v11, 5, v7
	s_mov_b32 s3, 0
	s_mul_i32 s26, s9, s19
	s_mov_b32 s27, s3
	s_load_b128 s[12:15], s[0:1], 0x0
	v_lshrrev_b32_e32 v0, 3, v0
	s_mul_u64 s[26:27], s[26:27], 36
	s_mul_i32 s2, s17, s20
	v_dual_mov_b32 v9, 0 :: v_dual_and_b32 v8, 7, v7
	s_delay_alu instid0(VALU_DEP_2)
	v_mad_co_u64_u32 v[0:1], null, 0x120, v0, s[26:27]
	s_mul_hi_u32 s7, s7, s19
	s_mul_hi_u32 s11, s11, s20
	s_add_co_i32 s7, s19, s7
	v_dual_mov_b32 v4, 0 :: v_dual_lshlrev_b32 v5, 2, v7
	s_add_co_i32 s9, s20, s11
	v_mad_co_u64_u32 v[2:3], null, s2, 36, v[0:1]
	s_mul_u64 s[28:29], s[2:3], 36
	s_lshr_b32 s7, s7, s23
	s_lshr_b32 s11, s9, s24
	s_mul_i32 s7, s7, s8
	s_wait_kmcnt 0x0
	s_add_nc_u64 s[8:9], s[14:15], s[28:29]
	v_and_b32_e32 v6, 28, v5
	v_mad_co_u64_u32 v[2:3], null, v8, 36, v[2:3]
	s_add_nc_u64 s[8:9], s[8:9], s[26:27]
	s_mul_i32 s4, s4, ttmp9
	v_mad_co_u64_u32 v[0:1], null, v8, 36, s[8:9]
	v_bfe_u32 v15, v5, 3, 2
	v_and_b32_e32 v16, 4, v5
	v_add_co_u32 v2, vcc_lo, s14, v2
	s_delay_alu instid0(VALU_DEP_1) | instskip(SKIP_1) | instid1(VALU_DEP_3)
	v_add_co_ci_u32_e64 v3, null, s15, v3, vcc_lo
	v_lshlrev_b32_e32 v18, 3, v13
	v_add_co_u32 v2, vcc_lo, v2, 16
	s_wait_alu 0xfffd
	s_delay_alu instid0(VALU_DEP_3)
	v_add_co_ci_u32_e64 v3, null, 0, v3, vcc_lo
	v_mov_b32_e32 v5, 0
	v_lshrrev_b32_e32 v17, 1, v6
	v_dual_mov_b32 v6, 0 :: v_dual_lshlrev_b32 v19, 2, v6
	v_mov_b32_e32 v8, 0
	v_mov_b32_e32 v10, 0
	;; [unrolled: 1-line block ×4, first 2 shown]
	s_mul_i32 s11, s11, s16
	s_add_co_i32 s7, s7, s4
	s_mul_i32 s4, s5, 7
	s_add_co_i32 s2, s11, s7
	s_mul_i32 s7, s5, 6
	s_mul_i32 s8, s5, 5
	s_lshl_b32 s9, s5, 2
	s_mul_i32 s11, s5, 3
	s_lshl_b32 s14, s5, 1
	s_mov_b32 s15, 0xf6eaddcf
	s_mov_b32 s16, 0x71594535
	;; [unrolled: 1-line block ×3, first 2 shown]
.LBB251_2:                              ; =>This Inner Loop Header: Depth=1
	s_wait_alu 0xfffe
	v_add_nc_u32_e32 v28, s2, v13
	v_add_nc_u32_e32 v29, s5, v18
	;; [unrolled: 1-line block ×5, first 2 shown]
	v_mad_co_i64_i32 v[72:73], null, 0x88, v28, s[12:13]
	v_mad_co_u64_u32 v[36:37], null, v29, 36, v[0:1]
	v_add_nc_u32_e32 v33, s8, v18
	v_add_nc_u32_e32 v34, s7, v18
	;; [unrolled: 1-line block ×3, first 2 shown]
	v_mad_co_u64_u32 v[74:75], null, v30, 36, v[0:1]
	v_add_co_u32 v68, vcc_lo, v72, v19
	v_mad_co_u64_u32 v[76:77], null, v31, 36, v[0:1]
	s_wait_alu 0xfffd
	v_add_co_ci_u32_e64 v69, null, 0, v73, vcc_lo
	v_add_co_u32 v86, vcc_lo, v72, v15
	v_mad_co_u64_u32 v[78:79], null, v32, 36, v[0:1]
	s_clause 0x1
	global_load_b128 v[20:23], v[2:3], off offset:-16
	global_load_b128 v[24:27], v[2:3], off
	v_mad_co_u64_u32 v[80:81], null, v33, 36, v[0:1]
	v_mad_co_u64_u32 v[82:83], null, v34, 36, v[0:1]
	;; [unrolled: 1-line block ×3, first 2 shown]
	s_wait_alu 0xfffd
	v_add_co_ci_u32_e64 v87, null, 0, v73, vcc_lo
	s_clause 0xa
	global_load_b128 v[28:31], v[36:37], off
	global_load_b128 v[32:35], v[36:37], off offset:16
	global_load_b32 v88, v[36:37], off offset:32
	global_load_b128 v[36:39], v[74:75], off
	global_load_b128 v[40:43], v[74:75], off offset:16
	global_load_b128 v[44:47], v[76:77], off
	global_load_b128 v[48:51], v[76:77], off offset:16
	;; [unrolled: 2-line block ×3, first 2 shown]
	global_load_b128 v[60:63], v[80:81], off
	global_load_b128 v[64:67], v[82:83], off
	s_clause 0x2
	global_load_b128 v[68:71], v[68:69], off offset:8
	global_load_u8 v86, v[86:87], off offset:4
	global_load_b32 v72, v[72:73], off
	v_add_nc_u32_e32 v18, 32, v18
	s_wait_loadcnt 0x8
	v_cvt_f32_f16_e32 v44, v44
	s_wait_loadcnt 0x2
	v_ashrrev_i32_e32 v73, 4, v68
	v_and_b32_e32 v87, 0x7070707, v68
	v_lshrrev_b32_e32 v68, 1, v68
	v_and_b32_e32 v89, 0x7070707, v69
	v_lshrrev_b32_e32 v90, 1, v69
	v_and_b32_e32 v91, 0x7070707, v70
	v_perm_b32 v92, s15, 0xbfad9881, v87
	v_perm_b32 v87, s16, 0x26190d01, v87
	v_and_or_b32 v68, v68, s17, 0x3020100
	v_and_or_b32 v90, v90, s17, 0x3020100
	v_ashrrev_i32_e32 v69, 4, v69
	s_delay_alu instid0(VALU_DEP_3) | instskip(SKIP_3) | instid1(VALU_DEP_4)
	v_perm_b32 v68, v87, v92, v68
	v_lshrrev_b32_e32 v87, 1, v70
	v_perm_b32 v92, s15, 0xbfad9881, v89
	v_perm_b32 v89, s16, 0x26190d01, v89
	v_dot4_i32_iu8 v37, v68, v37, 0 neg_lo:[1,1,0]
	s_delay_alu instid0(VALU_DEP_4) | instskip(NEXT) | instid1(VALU_DEP_3)
	v_and_or_b32 v87, v87, s17, 0x3020100
	v_perm_b32 v89, v89, v92, v90
	v_perm_b32 v90, s15, 0xbfad9881, v91
	;; [unrolled: 1-line block ×3, first 2 shown]
	s_delay_alu instid0(VALU_DEP_1) | instskip(SKIP_2) | instid1(VALU_DEP_2)
	v_perm_b32 v87, v91, v90, v87
	v_and_b32_e32 v90, 0x7070707, v73
	v_lshrrev_b32_e32 v73, 1, v73
	v_perm_b32 v91, s15, 0xbfad9881, v90
	v_perm_b32 v90, s16, 0x26190d01, v90
	s_delay_alu instid0(VALU_DEP_3) | instskip(NEXT) | instid1(VALU_DEP_1)
	v_and_or_b32 v73, v73, s17, 0x3020100
	v_perm_b32 v73, v90, v91, v73
	v_and_b32_e32 v90, 0x7070707, v69
	v_lshrrev_b32_e32 v69, 1, v69
	s_delay_alu instid0(VALU_DEP_3) | instskip(NEXT) | instid1(VALU_DEP_3)
	v_dot4_i32_iu8 v37, v73, v41, v37 neg_lo:[1,1,0]
	v_perm_b32 v91, s15, 0xbfad9881, v90
	v_perm_b32 v90, s16, 0x26190d01, v90
	s_delay_alu instid0(VALU_DEP_4) | instskip(NEXT) | instid1(VALU_DEP_4)
	v_and_or_b32 v69, v69, s17, 0x3020100
	v_dot4_i32_iu8 v37, v89, v38, v37 neg_lo:[1,1,0]
	s_delay_alu instid0(VALU_DEP_2) | instskip(SKIP_2) | instid1(VALU_DEP_3)
	v_perm_b32 v69, v90, v91, v69
	v_cvt_f32_f16_e32 v90, v20
	v_dot4_i32_iu8 v20, v68, v21, 0 neg_lo:[1,1,0]
	v_dot4_i32_iu8 v37, v69, v42, v37 neg_lo:[1,1,0]
	v_cvt_f32_f16_e32 v42, v36
	s_delay_alu instid0(VALU_DEP_3)
	v_dot4_i32_iu8 v20, v73, v25, v20 neg_lo:[1,1,0]
	v_dot4_i32_iu8 v36, v68, v45, 0 neg_lo:[1,1,0]
	v_cvt_f32_f16_e32 v45, v52
	v_dot4_i32_iu8 v41, v87, v39, v37 neg_lo:[1,1,0]
	v_and_b32_e32 v52, 0x7070707, v71
	v_dot4_i32_iu8 v20, v89, v22, v20 neg_lo:[1,1,0]
	v_dot4_i32_iu8 v36, v73, v49, v36 neg_lo:[1,1,0]
	s_delay_alu instid0(VALU_DEP_2) | instskip(NEXT) | instid1(VALU_DEP_2)
	v_dot4_i32_iu8 v20, v69, v26, v20 neg_lo:[1,1,0]
	v_dot4_i32_iu8 v36, v89, v46, v36 neg_lo:[1,1,0]
	;; [unrolled: 1-line block ×3, first 2 shown]
	v_ashrrev_i32_e32 v53, 4, v71
	s_delay_alu instid0(VALU_DEP_4)
	v_dot4_i32_iu8 v25, v87, v23, v20 neg_lo:[1,1,0]
	s_clause 0x2
	global_load_b128 v[20:23], v[84:85], off
	global_load_b32 v26, v[74:75], off offset:32
	global_load_b32 v74, v[76:77], off offset:32
	v_cvt_f32_f16_e32 v75, v28
	v_dot4_i32_iu8 v28, v68, v29, 0 neg_lo:[1,1,0]
	v_dot4_i32_iu8 v36, v69, v50, v36 neg_lo:[1,1,0]
	;; [unrolled: 1-line block ×3, first 2 shown]
	v_perm_b32 v57, s15, 0xbfad9881, v52
	v_perm_b32 v52, s16, 0x26190d01, v52
	v_dot4_i32_iu8 v28, v73, v33, v28 neg_lo:[1,1,0]
	v_dot4_i32_iu8 v49, v87, v47, v36 neg_lo:[1,1,0]
	;; [unrolled: 1-line block ×3, first 2 shown]
	v_lshrrev_b32_e32 v54, 1, v71
	v_ashrrev_i32_e32 v47, 4, v70
	v_dot4_i32_iu8 v28, v89, v30, v28 neg_lo:[1,1,0]
	s_delay_alu instid0(VALU_DEP_4) | instskip(NEXT) | instid1(VALU_DEP_4)
	v_dot4_i32_iu8 v46, v69, v58, v46 neg_lo:[1,1,0]
	v_and_or_b32 v54, v54, s17, 0x3020100
	s_wait_loadcnt 0x4
	v_bfe_u32 v58, v86, v16, 4
	v_dot4_i32_iu8 v28, v69, v34, v28 neg_lo:[1,1,0]
	v_dot4_i32_iu8 v50, v87, v55, v46 neg_lo:[1,1,0]
	v_perm_b32 v52, v52, v57, v54
	v_and_b32_e32 v54, 0x7070707, v47
	s_delay_alu instid0(VALU_DEP_4)
	v_dot4_i32_iu8 v33, v87, v31, v28 neg_lo:[1,1,0]
	s_clause 0x4
	global_load_b128 v[28:31], v[80:81], off offset:16
	global_load_b32 v34, v[78:79], off offset:32
	global_load_b32 v76, v[80:81], off offset:32
	;; [unrolled: 1-line block ×3, first 2 shown]
	global_load_b128 v[36:39], v[84:85], off offset:16
	v_lshrrev_b32_e32 v47, 1, v47
	v_perm_b32 v57, s15, 0xbfad9881, v54
	v_perm_b32 v54, s16, 0x26190d01, v54
	v_cvt_f32_f16_e32 v46, v60
	v_and_b32_e32 v60, 0x7070707, v53
	v_and_or_b32 v47, v47, s17, 0x3020100
	v_lshrrev_b32_e32 v53, 1, v53
	v_cvt_f32_f16_e32 v55, v64
	global_load_b32 v78, v[84:85], off offset:32
	v_perm_b32 v54, v54, v57, v47
	s_wait_loadcnt 0x9
	v_lshrrev_b32_e32 v47, 16, v72
	v_cvt_f32_f16_e32 v57, v72
	s_delay_alu instid0(VALU_DEP_2) | instskip(NEXT) | instid1(VALU_DEP_2)
	v_lshrrev_b32_e32 v47, v17, v47
	v_mul_f32_e32 v70, v57, v75
	v_mul_f32_e32 v71, v57, v44
	v_mul_f32_e32 v72, v57, v45
	v_mul_f32_e32 v75, v57, v46
	v_perm_b32 v44, s15, 0xbfad9881, v60
	v_perm_b32 v45, s16, 0x26190d01, v60
	v_and_or_b32 v46, v53, s17, 0x3020100
	v_dual_mul_f32 v64, v57, v90 :: v_dual_lshlrev_b32 v47, 4, v47
	v_mul_f32_e32 v42, v57, v42
	v_mul_f32_e32 v55, v57, v55
	s_delay_alu instid0(VALU_DEP_4) | instskip(SKIP_4) | instid1(VALU_DEP_2)
	v_perm_b32 v53, v45, v44, v46
	v_dot4_i32_iu8 v44, v68, v61, 0 neg_lo:[1,1,0]
	s_wait_loadcnt 0x8
	v_cvt_f32_f16_e32 v20, v20
	v_dot4_i32_iu8 v21, v68, v21, 0 neg_lo:[1,1,0]
	v_mul_f32_e32 v20, v57, v20
	v_and_or_b32 v57, v47, 48, v58
	v_dot4_i32_iu8 v58, v68, v65, 0 neg_lo:[1,1,0]
	s_wait_loadcnt 0x5
	v_dot4_i32_iu8 v29, v73, v29, v44 neg_lo:[1,1,0]
	global_load_b128 v[44:47], v[82:83], off offset:16
	s_wait_loadcnt 0x2
	v_dot4_i32_iu8 v21, v73, v37, v21 neg_lo:[1,1,0]
	v_dot4_i32_iu8 v29, v89, v62, v29 neg_lo:[1,1,0]
	s_delay_alu instid0(VALU_DEP_2)
	v_dot4_i32_iu8 v21, v89, v22, v21 neg_lo:[1,1,0]
	global_load_b32 v22, v[2:3], off offset:16
	v_dot4_i32_iu8 v29, v69, v30, v29 neg_lo:[1,1,0]
	v_add_co_u32 v2, vcc_lo, 0x480, v2
	v_dot4_i32_iu8 v21, v69, v38, v21 neg_lo:[1,1,0]
	s_wait_alu 0xfffd
	v_add_co_ci_u32_e64 v3, null, 0, v3, vcc_lo
	v_dot4_i32_iu8 v29, v87, v63, v29 neg_lo:[1,1,0]
	s_delay_alu instid0(VALU_DEP_3)
	v_dot4_i32_iu8 v21, v87, v23, v21 neg_lo:[1,1,0]
	v_dot4_i32_iu8 v23, v54, v27, v25 neg_lo:[1,1,0]
	;; [unrolled: 1-line block ×15, first 2 shown]
	s_wait_loadcnt 0x2
	s_delay_alu instid0(VALU_DEP_1) | instskip(SKIP_2) | instid1(VALU_DEP_1)
	v_dot4_i32_iu8 v21, v53, v78, v21 neg_lo:[1,1,0]
	s_wait_loadcnt 0x1
	v_dot4_i32_iu8 v45, v73, v45, v58 neg_lo:[1,1,0]
	v_dot4_i32_iu8 v37, v89, v66, v45 neg_lo:[1,1,0]
	v_subrev_nc_u32_e32 v45, 32, v57
	s_wait_loadcnt 0x0
	v_dot4_i32_iu8 v22, v53, v22, v23 neg_lo:[1,1,0]
	s_delay_alu instid0(VALU_DEP_3)
	v_dot4_i32_iu8 v30, v69, v46, v37 neg_lo:[1,1,0]
	v_dot4_i32_iu8 v23, v53, v88, v24 neg_lo:[1,1,0]
	v_dot4_i32_iu8 v24, v53, v26, v25 neg_lo:[1,1,0]
	v_dot4_i32_iu8 v26, v53, v34, v31 neg_lo:[1,1,0]
	v_dot4_i32_iu8 v25, v53, v74, v27 neg_lo:[1,1,0]
	v_dot4_i32_iu8 v30, v87, v67, v30 neg_lo:[1,1,0]
	v_dot4_i32_iu8 v27, v53, v76, v28 neg_lo:[1,1,0]
	v_mul_lo_u32 v22, v45, v22
	v_mul_lo_u32 v26, v45, v26
	;; [unrolled: 1-line block ×3, first 2 shown]
	v_dot4_i32_iu8 v30, v54, v47, v30 neg_lo:[1,1,0]
	v_mul_lo_u32 v24, v45, v24
	v_mul_lo_u32 v25, v45, v25
	;; [unrolled: 1-line block ×4, first 2 shown]
	v_dot4_i32_iu8 v29, v52, v44, v30 neg_lo:[1,1,0]
	v_cvt_f32_i32_e32 v26, v26
	v_add_nc_u32_e32 v13, 4, v13
	v_cvt_f32_i32_e32 v22, v22
	v_cvt_f32_i32_e32 v23, v23
	v_dot4_i32_iu8 v28, v53, v77, v29 neg_lo:[1,1,0]
	v_cvt_f32_i32_e32 v24, v24
	v_cvt_f32_i32_e32 v25, v25
	;; [unrolled: 1-line block ×4, first 2 shown]
	v_mul_lo_u32 v28, v45, v28
	v_fmac_f32_e32 v8, v72, v26
	v_cmp_le_u32_e32 vcc_lo, s22, v13
	v_fmac_f32_e32 v14, v64, v22
	v_fmac_f32_e32 v12, v70, v23
	v_dual_fmac_f32 v10, v42, v24 :: v_dual_fmac_f32 v9, v71, v25
	v_fmac_f32_e32 v6, v75, v27
	v_cvt_f32_i32_e32 v28, v28
	v_fmac_f32_e32 v4, v20, v21
	s_or_b32 s3, vcc_lo, s3
	s_delay_alu instid0(VALU_DEP_2)
	v_fmac_f32_e32 v5, v55, v28
	s_wait_alu 0xfffe
	s_and_not1_b32 exec_lo, exec_lo, s3
	s_cbranch_execnz .LBB251_2
; %bb.3:
	s_or_b32 exec_lo, exec_lo, s3
.LBB251_4:
	s_delay_alu instid0(SALU_CYCLE_1)
	s_or_b32 exec_lo, exec_lo, s21
	s_mov_b32 s3, 0
	; wave barrier
	global_inv scope:SCOPE_SE
	s_mov_b32 s2, exec_lo
	v_cmpx_eq_u32_e32 0, v11
	s_cbranch_execz .LBB251_21
; %bb.5:
	v_mbcnt_lo_u32_b32 v11, -1, 0
	s_load_b64 s[0:1], s[0:1], 0x38
	s_mul_i32 s2, s10, s19
	s_mul_i32 s4, s18, s20
	s_wait_alu 0xfffe
	s_add_co_i32 s2, s2, ttmp9
	v_xor_b32_e32 v0, 16, v11
	v_xor_b32_e32 v1, 8, v11
	;; [unrolled: 1-line block ×3, first 2 shown]
	s_wait_alu 0xfffe
	s_add_co_i32 s2, s2, s4
	s_wait_alu 0xfffe
	s_lshl_b64 s[2:3], s[2:3], 2
	v_cmp_gt_i32_e32 vcc_lo, 32, v0
	s_wait_alu 0xfffd
	v_cndmask_b32_e32 v0, v11, v0, vcc_lo
	v_cmp_gt_i32_e32 vcc_lo, 32, v1
	s_wait_kmcnt 0x0
	s_wait_alu 0xfffe
	s_add_nc_u64 s[0:1], s[0:1], s[2:3]
	s_wait_alu 0xfffd
	v_cndmask_b32_e32 v1, v11, v1, vcc_lo
	s_delay_alu instid0(VALU_DEP_1)
	v_lshlrev_b32_e32 v1, 2, v1
	v_lshlrev_b32_e32 v0, 2, v0
	ds_bpermute_b32 v2, v0, v14
	s_wait_dscnt 0x0
	v_add_f32_e32 v3, v14, v2
	v_xor_b32_e32 v2, 4, v11
	ds_bpermute_b32 v13, v1, v3
	v_cmp_gt_i32_e32 vcc_lo, 32, v2
	s_wait_alu 0xfffd
	v_cndmask_b32_e32 v2, v11, v2, vcc_lo
	s_wait_dscnt 0x0
	v_add_f32_e32 v13, v3, v13
	v_xor_b32_e32 v3, 2, v11
	s_delay_alu instid0(VALU_DEP_1) | instskip(SKIP_3) | instid1(VALU_DEP_2)
	v_cmp_gt_i32_e32 vcc_lo, 32, v3
	s_wait_alu 0xfffd
	v_cndmask_b32_e32 v3, v11, v3, vcc_lo
	v_cmp_gt_i32_e32 vcc_lo, 32, v15
	v_lshlrev_b32_e32 v3, 2, v3
	s_wait_alu 0xfffd
	v_dual_cndmask_b32 v11, v11, v15 :: v_dual_lshlrev_b32 v2, 2, v2
	v_cmp_eq_u32_e32 vcc_lo, 0, v7
	ds_bpermute_b32 v14, v2, v13
	v_lshlrev_b32_e32 v11, 2, v11
	s_wait_dscnt 0x0
	v_add_f32_e32 v13, v13, v14
	ds_bpermute_b32 v14, v3, v13
	s_wait_dscnt 0x0
	v_add_f32_e32 v13, v13, v14
	ds_bpermute_b32 v14, v11, v13
	s_and_saveexec_b32 s2, vcc_lo
	s_cbranch_execz .LBB251_7
; %bb.6:
	s_wait_dscnt 0x0
	v_add_f32_e32 v7, v13, v14
	v_mov_b32_e32 v13, 0
	global_store_b32 v13, v7, s[0:1]
.LBB251_7:
	s_wait_alu 0xfffe
	s_or_b32 exec_lo, exec_lo, s2
	ds_bpermute_b32 v7, v0, v12
	s_wait_dscnt 0x0
	v_add_f32_e32 v7, v12, v7
	ds_bpermute_b32 v12, v1, v7
	s_wait_dscnt 0x0
	v_add_f32_e32 v7, v7, v12
	;; [unrolled: 3-line block ×4, first 2 shown]
	ds_bpermute_b32 v12, v11, v7
	s_and_saveexec_b32 s2, vcc_lo
	s_cbranch_execz .LBB251_9
; %bb.8:
	s_mov_b32 s7, 0
	s_wait_dscnt 0x0
	v_dual_add_f32 v7, v7, v12 :: v_dual_mov_b32 v12, 0
	s_wait_alu 0xfffe
	s_lshl_b64 s[4:5], s[6:7], 2
	s_wait_alu 0xfffe
	s_add_nc_u64 s[4:5], s[0:1], s[4:5]
	global_store_b32 v12, v7, s[4:5]
.LBB251_9:
	s_wait_alu 0xfffe
	s_or_b32 exec_lo, exec_lo, s2
	ds_bpermute_b32 v7, v0, v10
	s_wait_dscnt 0x0
	v_add_f32_e32 v7, v10, v7
	ds_bpermute_b32 v10, v1, v7
	s_wait_dscnt 0x0
	v_add_f32_e32 v7, v7, v10
	;; [unrolled: 3-line block ×4, first 2 shown]
	ds_bpermute_b32 v10, v11, v7
	s_and_saveexec_b32 s2, vcc_lo
	s_cbranch_execz .LBB251_11
; %bb.10:
	s_lshl_b32 s4, s6, 1
	s_mov_b32 s5, 0
	s_wait_dscnt 0x0
	v_dual_add_f32 v7, v7, v10 :: v_dual_mov_b32 v10, 0
	s_wait_alu 0xfffe
	s_lshl_b64 s[4:5], s[4:5], 2
	s_wait_alu 0xfffe
	s_add_nc_u64 s[4:5], s[0:1], s[4:5]
	global_store_b32 v10, v7, s[4:5]
.LBB251_11:
	s_wait_alu 0xfffe
	s_or_b32 exec_lo, exec_lo, s2
	ds_bpermute_b32 v7, v0, v9
	s_wait_dscnt 0x0
	v_add_f32_e32 v7, v9, v7
	ds_bpermute_b32 v9, v1, v7
	s_wait_dscnt 0x0
	v_add_f32_e32 v7, v7, v9
	;; [unrolled: 3-line block ×4, first 2 shown]
	ds_bpermute_b32 v9, v11, v7
	s_and_saveexec_b32 s2, vcc_lo
	s_cbranch_execz .LBB251_13
; %bb.12:
	s_mul_i32 s4, s6, 3
	s_mov_b32 s5, 0
	s_wait_dscnt 0x0
	v_add_f32_e32 v7, v7, v9
	v_mov_b32_e32 v9, 0
	s_wait_alu 0xfffe
	s_lshl_b64 s[4:5], s[4:5], 2
	s_wait_alu 0xfffe
	s_add_nc_u64 s[4:5], s[0:1], s[4:5]
	global_store_b32 v9, v7, s[4:5]
.LBB251_13:
	s_wait_alu 0xfffe
	s_or_b32 exec_lo, exec_lo, s2
	ds_bpermute_b32 v7, v0, v8
	s_wait_dscnt 0x0
	v_add_f32_e32 v7, v8, v7
	ds_bpermute_b32 v8, v1, v7
	s_wait_dscnt 0x0
	v_add_f32_e32 v7, v7, v8
	;; [unrolled: 3-line block ×4, first 2 shown]
	ds_bpermute_b32 v8, v11, v7
	s_and_saveexec_b32 s2, vcc_lo
	s_cbranch_execz .LBB251_15
; %bb.14:
	s_lshl_b32 s4, s6, 2
	s_mov_b32 s5, 0
	s_wait_dscnt 0x0
	v_dual_add_f32 v7, v7, v8 :: v_dual_mov_b32 v8, 0
	s_wait_alu 0xfffe
	s_lshl_b64 s[4:5], s[4:5], 2
	s_wait_alu 0xfffe
	s_add_nc_u64 s[4:5], s[0:1], s[4:5]
	global_store_b32 v8, v7, s[4:5]
.LBB251_15:
	s_wait_alu 0xfffe
	s_or_b32 exec_lo, exec_lo, s2
	ds_bpermute_b32 v7, v0, v6
	s_wait_dscnt 0x0
	v_add_f32_e32 v6, v6, v7
	ds_bpermute_b32 v7, v1, v6
	s_wait_dscnt 0x0
	v_add_f32_e32 v6, v6, v7
	;; [unrolled: 3-line block ×4, first 2 shown]
	ds_bpermute_b32 v7, v11, v6
	s_and_saveexec_b32 s2, vcc_lo
	s_cbranch_execz .LBB251_17
; %bb.16:
	s_mul_i32 s4, s6, 5
	s_mov_b32 s5, 0
	s_wait_dscnt 0x0
	v_dual_add_f32 v6, v6, v7 :: v_dual_mov_b32 v7, 0
	s_wait_alu 0xfffe
	s_lshl_b64 s[4:5], s[4:5], 2
	s_wait_alu 0xfffe
	s_add_nc_u64 s[4:5], s[0:1], s[4:5]
	global_store_b32 v7, v6, s[4:5]
.LBB251_17:
	s_wait_alu 0xfffe
	s_or_b32 exec_lo, exec_lo, s2
	ds_bpermute_b32 v6, v0, v5
	s_wait_dscnt 0x0
	v_add_f32_e32 v5, v5, v6
	ds_bpermute_b32 v6, v1, v5
	s_wait_dscnt 0x0
	v_add_f32_e32 v5, v5, v6
	ds_bpermute_b32 v6, v2, v5
	s_wait_dscnt 0x0
	v_add_f32_e32 v5, v5, v6
	ds_bpermute_b32 v6, v3, v5
	s_wait_dscnt 0x0
	v_add_f32_e32 v5, v5, v6
	ds_bpermute_b32 v6, v11, v5
	s_and_saveexec_b32 s2, vcc_lo
	s_cbranch_execz .LBB251_19
; %bb.18:
	s_mul_i32 s4, s6, 6
	s_mov_b32 s5, 0
	s_wait_dscnt 0x0
	v_dual_add_f32 v5, v5, v6 :: v_dual_mov_b32 v6, 0
	s_wait_alu 0xfffe
	s_lshl_b64 s[4:5], s[4:5], 2
	s_wait_alu 0xfffe
	s_add_nc_u64 s[4:5], s[0:1], s[4:5]
	global_store_b32 v6, v5, s[4:5]
.LBB251_19:
	s_wait_alu 0xfffe
	s_or_b32 exec_lo, exec_lo, s2
	ds_bpermute_b32 v0, v0, v4
	s_wait_dscnt 0x0
	v_add_f32_e32 v0, v4, v0
	ds_bpermute_b32 v1, v1, v0
	s_wait_dscnt 0x0
	v_add_f32_e32 v0, v0, v1
	;; [unrolled: 3-line block ×4, first 2 shown]
	ds_bpermute_b32 v1, v11, v0
	s_and_b32 exec_lo, exec_lo, vcc_lo
	s_cbranch_execz .LBB251_21
; %bb.20:
	s_mul_i32 s2, s6, 7
	s_mov_b32 s3, 0
	s_wait_dscnt 0x0
	v_dual_add_f32 v0, v0, v1 :: v_dual_mov_b32 v1, 0
	s_wait_alu 0xfffe
	s_lshl_b64 s[2:3], s[2:3], 2
	s_wait_alu 0xfffe
	s_add_nc_u64 s[0:1], s[0:1], s[2:3]
	global_store_b32 v1, v0, s[0:1]
.LBB251_21:
	s_endpgm
	.section	.rodata,"a",@progbits
	.p2align	6, 0x0
	.amdhsa_kernel _ZL13mul_mat_vec_qIL9ggml_type23ELi8ELb0ELb0EEvPKvS2_PKi31ggml_cuda_mm_fusion_args_devicePfj15HIP_vector_typeIjLj3EEjjjS8_jjjS8_jjjj
		.amdhsa_group_segment_fixed_size 0
		.amdhsa_private_segment_fixed_size 0
		.amdhsa_kernarg_size 144
		.amdhsa_user_sgpr_count 2
		.amdhsa_user_sgpr_dispatch_ptr 0
		.amdhsa_user_sgpr_queue_ptr 0
		.amdhsa_user_sgpr_kernarg_segment_ptr 1
		.amdhsa_user_sgpr_dispatch_id 0
		.amdhsa_user_sgpr_private_segment_size 0
		.amdhsa_wavefront_size32 1
		.amdhsa_uses_dynamic_stack 0
		.amdhsa_enable_private_segment 0
		.amdhsa_system_sgpr_workgroup_id_x 1
		.amdhsa_system_sgpr_workgroup_id_y 1
		.amdhsa_system_sgpr_workgroup_id_z 1
		.amdhsa_system_sgpr_workgroup_info 0
		.amdhsa_system_vgpr_workitem_id 1
		.amdhsa_next_free_vgpr 93
		.amdhsa_next_free_sgpr 30
		.amdhsa_reserve_vcc 1
		.amdhsa_float_round_mode_32 0
		.amdhsa_float_round_mode_16_64 0
		.amdhsa_float_denorm_mode_32 3
		.amdhsa_float_denorm_mode_16_64 3
		.amdhsa_fp16_overflow 0
		.amdhsa_workgroup_processor_mode 1
		.amdhsa_memory_ordered 1
		.amdhsa_forward_progress 1
		.amdhsa_inst_pref_size 28
		.amdhsa_round_robin_scheduling 0
		.amdhsa_exception_fp_ieee_invalid_op 0
		.amdhsa_exception_fp_denorm_src 0
		.amdhsa_exception_fp_ieee_div_zero 0
		.amdhsa_exception_fp_ieee_overflow 0
		.amdhsa_exception_fp_ieee_underflow 0
		.amdhsa_exception_fp_ieee_inexact 0
		.amdhsa_exception_int_div_zero 0
	.end_amdhsa_kernel
	.section	.text._ZL13mul_mat_vec_qIL9ggml_type23ELi8ELb0ELb0EEvPKvS2_PKi31ggml_cuda_mm_fusion_args_devicePfj15HIP_vector_typeIjLj3EEjjjS8_jjjS8_jjjj,"axG",@progbits,_ZL13mul_mat_vec_qIL9ggml_type23ELi8ELb0ELb0EEvPKvS2_PKi31ggml_cuda_mm_fusion_args_devicePfj15HIP_vector_typeIjLj3EEjjjS8_jjjS8_jjjj,comdat
.Lfunc_end251:
	.size	_ZL13mul_mat_vec_qIL9ggml_type23ELi8ELb0ELb0EEvPKvS2_PKi31ggml_cuda_mm_fusion_args_devicePfj15HIP_vector_typeIjLj3EEjjjS8_jjjS8_jjjj, .Lfunc_end251-_ZL13mul_mat_vec_qIL9ggml_type23ELi8ELb0ELb0EEvPKvS2_PKi31ggml_cuda_mm_fusion_args_devicePfj15HIP_vector_typeIjLj3EEjjjS8_jjjS8_jjjj
                                        ; -- End function
	.set _ZL13mul_mat_vec_qIL9ggml_type23ELi8ELb0ELb0EEvPKvS2_PKi31ggml_cuda_mm_fusion_args_devicePfj15HIP_vector_typeIjLj3EEjjjS8_jjjS8_jjjj.num_vgpr, 93
	.set _ZL13mul_mat_vec_qIL9ggml_type23ELi8ELb0ELb0EEvPKvS2_PKi31ggml_cuda_mm_fusion_args_devicePfj15HIP_vector_typeIjLj3EEjjjS8_jjjS8_jjjj.num_agpr, 0
	.set _ZL13mul_mat_vec_qIL9ggml_type23ELi8ELb0ELb0EEvPKvS2_PKi31ggml_cuda_mm_fusion_args_devicePfj15HIP_vector_typeIjLj3EEjjjS8_jjjS8_jjjj.numbered_sgpr, 30
	.set _ZL13mul_mat_vec_qIL9ggml_type23ELi8ELb0ELb0EEvPKvS2_PKi31ggml_cuda_mm_fusion_args_devicePfj15HIP_vector_typeIjLj3EEjjjS8_jjjS8_jjjj.num_named_barrier, 0
	.set _ZL13mul_mat_vec_qIL9ggml_type23ELi8ELb0ELb0EEvPKvS2_PKi31ggml_cuda_mm_fusion_args_devicePfj15HIP_vector_typeIjLj3EEjjjS8_jjjS8_jjjj.private_seg_size, 0
	.set _ZL13mul_mat_vec_qIL9ggml_type23ELi8ELb0ELb0EEvPKvS2_PKi31ggml_cuda_mm_fusion_args_devicePfj15HIP_vector_typeIjLj3EEjjjS8_jjjS8_jjjj.uses_vcc, 1
	.set _ZL13mul_mat_vec_qIL9ggml_type23ELi8ELb0ELb0EEvPKvS2_PKi31ggml_cuda_mm_fusion_args_devicePfj15HIP_vector_typeIjLj3EEjjjS8_jjjS8_jjjj.uses_flat_scratch, 0
	.set _ZL13mul_mat_vec_qIL9ggml_type23ELi8ELb0ELb0EEvPKvS2_PKi31ggml_cuda_mm_fusion_args_devicePfj15HIP_vector_typeIjLj3EEjjjS8_jjjS8_jjjj.has_dyn_sized_stack, 0
	.set _ZL13mul_mat_vec_qIL9ggml_type23ELi8ELb0ELb0EEvPKvS2_PKi31ggml_cuda_mm_fusion_args_devicePfj15HIP_vector_typeIjLj3EEjjjS8_jjjS8_jjjj.has_recursion, 0
	.set _ZL13mul_mat_vec_qIL9ggml_type23ELi8ELb0ELb0EEvPKvS2_PKi31ggml_cuda_mm_fusion_args_devicePfj15HIP_vector_typeIjLj3EEjjjS8_jjjS8_jjjj.has_indirect_call, 0
	.section	.AMDGPU.csdata,"",@progbits
; Kernel info:
; codeLenInByte = 3584
; TotalNumSgprs: 32
; NumVgprs: 93
; ScratchSize: 0
; MemoryBound: 0
; FloatMode: 240
; IeeeMode: 1
; LDSByteSize: 0 bytes/workgroup (compile time only)
; SGPRBlocks: 0
; VGPRBlocks: 11
; NumSGPRsForWavesPerEU: 32
; NumVGPRsForWavesPerEU: 93
; Occupancy: 16
; WaveLimiterHint : 0
; COMPUTE_PGM_RSRC2:SCRATCH_EN: 0
; COMPUTE_PGM_RSRC2:USER_SGPR: 2
; COMPUTE_PGM_RSRC2:TRAP_HANDLER: 0
; COMPUTE_PGM_RSRC2:TGID_X_EN: 1
; COMPUTE_PGM_RSRC2:TGID_Y_EN: 1
; COMPUTE_PGM_RSRC2:TGID_Z_EN: 1
; COMPUTE_PGM_RSRC2:TIDIG_COMP_CNT: 1
	.section	.text._ZL17mul_mat_vec_q_moeIL9ggml_type21ELi2EEvPKvS2_PKiPfj15HIP_vector_typeIjLj3EEjjjjjjjjj,"axG",@progbits,_ZL17mul_mat_vec_q_moeIL9ggml_type21ELi2EEvPKvS2_PKiPfj15HIP_vector_typeIjLj3EEjjjjjjjjj,comdat
	.globl	_ZL17mul_mat_vec_q_moeIL9ggml_type21ELi2EEvPKvS2_PKiPfj15HIP_vector_typeIjLj3EEjjjjjjjjj ; -- Begin function _ZL17mul_mat_vec_q_moeIL9ggml_type21ELi2EEvPKvS2_PKiPfj15HIP_vector_typeIjLj3EEjjjjjjjjj
	.p2align	8
	.type	_ZL17mul_mat_vec_q_moeIL9ggml_type21ELi2EEvPKvS2_PKiPfj15HIP_vector_typeIjLj3EEjjjjjjjjj,@function
_ZL17mul_mat_vec_q_moeIL9ggml_type21ELi2EEvPKvS2_PKiPfj15HIP_vector_typeIjLj3EEjjjjjjjjj: ; @_ZL17mul_mat_vec_q_moeIL9ggml_type21ELi2EEvPKvS2_PKiPfj15HIP_vector_typeIjLj3EEjjjjjjjjj
; %bb.0:
	s_load_b256 s[8:15], s[0:1], 0x30
	v_bfe_u32 v6, v0, 10, 10
	s_mov_b32 s2, exec_lo
	s_wait_kmcnt 0x0
	s_delay_alu instid0(VALU_DEP_1)
	v_cmpx_gt_u32_e64 s15, v6
	s_cbranch_execz .LBB252_7
; %bb.1:
	s_clause 0x2
	s_load_b32 s3, s[0:1], 0x20
	s_load_b32 s2, s[0:1], 0x50
	s_load_b256 s[16:23], s[0:1], 0x0
	v_bfe_u32 v8, v0, 3, 7
	v_dual_mov_b32 v0, 0 :: v_dual_and_b32 v7, 0x3ff, v0
	v_mov_b32_e32 v1, 0
	s_lshl_b32 s5, ttmp9, 1
	s_mov_b32 s24, exec_lo
	s_wait_kmcnt 0x0
	s_lshr_b32 s15, s3, 8
	s_wait_alu 0xfffe
	v_cmpx_gt_u32_e64 s15, v8
	s_cbranch_execz .LBB252_5
; %bb.2:
	s_mov_b32 s4, ttmp7
	v_lshrrev_b32_e32 v4, 3, v7
	v_mad_co_u64_u32 v[0:1], null, s2, v6, s[4:5]
	v_mov_b32_e32 v1, 0
	s_load_b96 s[0:2], s[0:1], 0x24
	s_delay_alu instid0(VALU_DEP_1) | instskip(NEXT) | instid1(VALU_DEP_1)
	v_lshlrev_b64_e32 v[2:3], 2, v[0:1]
	v_add_co_u32 v2, vcc_lo, s20, v2
	s_delay_alu instid0(VALU_DEP_1) | instskip(SKIP_4) | instid1(SALU_CYCLE_1)
	v_add_co_ci_u32_e64 v3, null, s21, v3, vcc_lo
	global_load_b32 v0, v[2:3], off
	v_mul_lo_u32 v2, s10, v6
	s_wait_kmcnt 0x0
	s_mul_hi_u32 s0, s0, ttmp7
	s_add_co_i32 s0, ttmp7, s0
	s_delay_alu instid0(SALU_CYCLE_1) | instskip(NEXT) | instid1(SALU_CYCLE_1)
	s_lshr_b32 s0, s0, s1
	s_mul_i32 s0, s0, s2
	s_delay_alu instid0(VALU_DEP_1) | instskip(SKIP_1) | instid1(SALU_CYCLE_1)
	v_mad_co_u64_u32 v[2:3], null, v2, 36, 0
	s_sub_co_i32 s0, ttmp7, s0
	s_mul_i32 s0, s0, s13
	v_mad_co_u64_u32 v[2:3], null, 0x120, v4, v[2:3]
	v_lshlrev_b32_e32 v4, 1, v7
	v_and_b32_e32 v9, 7, v7
	s_delay_alu instid0(VALU_DEP_2) | instskip(NEXT) | instid1(VALU_DEP_4)
	v_and_b32_e32 v13, 14, v4
	v_mad_co_u64_u32 v[2:3], null, s0, 36, v[2:3]
	s_add_co_i32 s0, s5, 1
	v_bfe_u32 v10, v4, 2, 2
	v_lshlrev_b32_e32 v12, 1, v13
	v_lshlrev_b32_e32 v13, 1, v13
	s_getpc_b64 s[6:7]
	s_sext_i32_i16 s7, s7
	s_add_co_u32 s6, s6, _ZL9iq3s_grid@rel32@lo+8
	s_add_co_ci_u32 s7, s7, _ZL9iq3s_grid@rel32@hi+16
	v_mad_co_u64_u32 v[2:3], null, v9, 36, v[2:3]
	v_and_b32_e32 v11, 4, v12
	v_lshlrev_b32_e32 v12, 1, v12
	s_delay_alu instid0(VALU_DEP_3) | instskip(SKIP_1) | instid1(VALU_DEP_4)
	v_add_co_u32 v5, vcc_lo, s18, v2
	s_wait_alu 0xfffd
	v_add_co_ci_u32_e64 v14, null, s19, v3, vcc_lo
	s_wait_loadcnt 0x0
	v_mul_lo_u32 v0, v0, s12
	s_delay_alu instid0(VALU_DEP_1)
	v_mad_co_u64_u32 v[2:3], null, s5, s9, v[0:1]
	s_wait_alu 0xfffe
	v_mad_co_u64_u32 v[3:4], null, s9, s0, v[0:1]
	v_add_co_u32 v4, vcc_lo, v5, 32
	s_wait_alu 0xfffd
	v_add_co_ci_u32_e64 v5, null, 0, v14, vcc_lo
	v_mov_b32_e32 v0, v1
	s_mov_b32 s9, 0
.LBB252_3:                              ; =>This Inner Loop Header: Depth=1
	v_add_nc_u32_e32 v14, v2, v8
	v_add_nc_u32_e32 v15, v3, v8
	;; [unrolled: 1-line block ×3, first 2 shown]
	s_delay_alu instid0(VALU_DEP_3) | instskip(NEXT) | instid1(VALU_DEP_3)
	v_mad_co_i64_i32 v[16:17], null, 0x6e, v14, s[16:17]
	v_mad_co_i64_i32 v[14:15], null, 0x6e, v15, s[16:17]
	s_delay_alu instid0(VALU_DEP_2) | instskip(SKIP_1) | instid1(VALU_DEP_3)
	v_add_co_u32 v18, vcc_lo, v16, v12
	s_wait_alu 0xfffd
	v_add_co_ci_u32_e64 v19, null, 0, v17, vcc_lo
	v_add_co_u32 v20, vcc_lo, v16, v9
	s_wait_alu 0xfffd
	v_add_co_ci_u32_e64 v21, null, 0, v17, vcc_lo
	;; [unrolled: 3-line block ×8, first 2 shown]
	s_clause 0x9
	global_load_b32 v34, v[22:23], off offset:74
	global_load_b64 v[18:19], v[18:19], off offset:2
	global_load_u8 v22, v[24:25], off offset:106
	global_load_u16 v14, v[14:15], off
	global_load_u8 v24, v[20:21], off offset:66
	global_load_b32 v25, v[30:31], off offset:74
	global_load_b64 v[20:21], v[26:27], off offset:2
	global_load_u8 v23, v[32:33], off offset:106
	global_load_u8 v26, v[28:29], off offset:66
	global_load_u16 v15, v[16:17], off
	s_wait_loadcnt 0x9
	v_and_b32_e32 v30, 0xff, v34
	s_wait_loadcnt 0x8
	v_and_b32_e32 v17, 0xff, v18
	v_bfe_u32 v28, v18, 8, 8
	v_lshlrev_b32_e32 v31, 21, v34
	s_wait_loadcnt 0x5
	v_lshlrev_b32_e32 v27, 8, v24
	v_lshlrev_b32_e32 v29, 7, v24
	v_bfe_u32 v36, v18, 16, 8
	v_lshlrev_b32_e32 v37, 6, v24
	v_lshrrev_b32_e32 v32, 2, v34
	v_and_or_b32 v94, 0x100, v27, v17
	v_and_or_b32 v29, 0x100, v29, v28
	v_lshl_or_b32 v17, v30, 7, v31
	v_and_or_b32 v31, 0x100, v37, v36
	v_lshrrev_b32_e32 v18, 24, v18
	v_lshlrev_b32_e32 v94, 2, v94
	v_lshlrev_b32_e32 v29, 2, v29
	;; [unrolled: 1-line block ×4, first 2 shown]
	s_clause 0x2
	global_load_b32 v94, v94, s[6:7]
	global_load_b32 v112, v29, s[6:7]
	;; [unrolled: 1-line block ×3, first 2 shown]
	v_and_b32_e32 v45, 0xff, v19
	v_lshlrev_b32_e32 v46, 4, v24
	v_bfe_u32 v47, v19, 8, 8
	v_lshlrev_b32_e32 v48, 3, v24
	v_lshrrev_b32_e32 v52, 22, v34
	v_bfe_u32 v53, v19, 16, 8
	v_lshlrev_b32_e32 v54, 2, v24
	v_lshrrev_b32_e32 v19, 24, v19
	v_lshlrev_b32_e32 v24, 1, v24
	v_bfe_i32 v27, v32, 0, 1
	v_and_or_b32 v32, 0x100, v38, v18
	v_and_or_b32 v46, 0x100, v46, v45
	;; [unrolled: 1-line block ×3, first 2 shown]
	v_bfe_i32 v37, v52, 0, 1
	v_and_or_b32 v52, 0x100, v54, v53
	v_and_or_b32 v24, 0x100, v24, v19
	v_lshlrev_b32_e32 v32, 2, v32
	v_lshlrev_b32_e32 v46, 2, v46
	;; [unrolled: 1-line block ×5, first 2 shown]
	s_clause 0x4
	global_load_b32 v116, v32, s[6:7]
	global_load_b32 v117, v46, s[6:7]
	;; [unrolled: 1-line block ×5, first 2 shown]
	v_lshrrev_b32_e32 v16, 16, v34
	v_lshrrev_b32_e32 v49, 9, v34
	;; [unrolled: 1-line block ×5, first 2 shown]
	s_wait_loadcnt 0xb
	v_bfe_u32 v63, v20, 8, 8
	s_wait_loadcnt 0x9
	v_lshlrev_b32_e32 v64, 7, v26
	v_lshrrev_b32_e32 v71, 1, v25
	v_lshrrev_b32_e32 v57, 21, v34
	v_and_b32_e32 v61, 0xff, v20
	v_lshlrev_b32_e32 v62, 8, v26
	v_and_b32_e32 v65, 0xff, v25
	v_lshlrev_b32_e32 v66, 21, v25
	v_lshrrev_b32_e32 v74, 5, v25
	v_lshrrev_b32_e32 v91, 6, v25
	v_lshl_or_b32 v49, v16, 21, v49
	v_lshl_or_b32 v16, v16, 17, v51
	v_and_or_b32 v51, 0x1fe00000, v56, v55
	v_and_or_b32 v55, 0x100, v64, v63
	v_and_b32_e32 v64, 0x180, v71
	v_lshrrev_b32_e32 v39, 1, v34
	v_lshrrev_b32_e32 v43, 15, v34
	;; [unrolled: 1-line block ×3, first 2 shown]
	v_lshlrev_b32_e32 v67, 17, v25
	v_bfe_u32 v68, v20, 16, 8
	v_lshrrev_b32_e32 v20, 24, v20
	v_lshlrev_b32_e32 v70, 5, v26
	v_lshrrev_b32_e32 v72, 11, v25
	v_lshrrev_b32_e32 v73, 10, v25
	;; [unrolled: 1-line block ×4, first 2 shown]
	v_lshrrev_b16 v53, 8, v57
	v_and_or_b32 v54, 0x100, v62, v61
	v_lshl_or_b32 v62, v65, 7, v66
	v_and_b32_e32 v66, 0x180, v74
	v_bfe_i32 v48, v91, 0, 1
	v_lshrrev_b16 v91, 8, v64
	v_lshlrev_b32_e32 v33, 17, v34
	v_lshrrev_b32_e32 v35, 6, v34
	v_lshrrev_b32_e32 v40, 11, v34
	;; [unrolled: 1-line block ×8, first 2 shown]
	v_and_b32_e32 v77, 0xff, v21
	v_lshlrev_b32_e32 v78, 4, v26
	v_lshrrev_b32_e32 v88, 31, v25
	v_lshrrev_b32_e32 v34, 26, v34
	v_and_b32_e32 v18, 0x180, v39
	v_bfe_i32 v96, v43, 0, 1
	v_lshrrev_b16 v98, 7, v57
	v_cmp_ne_u16_e32 vcc_lo, 0, v58
	v_lshl_or_b32 v63, v65, 3, v67
	v_and_or_b32 v57, 0x100, v70, v20
	v_bfe_i32 v65, v72, 0, 1
	v_bfe_i32 v39, v73, 0, 1
	v_lshrrev_b16 v70, 8, v87
	v_lshrrev_b16 v71, 7, v87
	v_bfe_i32 v43, v92, 0, 1
	v_bfe_i32 v87, v53, 0, 1
	v_lshrrev_b16 v64, 7, v64
	v_lshrrev_b16 v92, 8, v66
	v_cmp_ne_u16_e64 s0, 0, v91
	v_lshrrev_b32_e32 v60, 16, v25
	v_lshlrev_b32_e32 v69, 6, v26
	v_lshrrev_b32_e32 v75, 15, v25
	v_lshrrev_b32_e32 v81, 9, v25
	;; [unrolled: 1-line block ×9, first 2 shown]
	v_lshl_or_b32 v30, v30, 3, v33
	v_bfe_i32 v33, v41, 0, 1
	v_bfe_i32 v36, v50, 0, 1
	s_wait_alu 0xfffd
	v_cndmask_b32_e64 v99, 0, -1, vcc_lo
	v_bfe_i32 v41, v76, 0, 1
	v_and_or_b32 v58, 0x100, v78, v77
	v_cmp_ne_u16_e32 vcc_lo, 0, v88
	v_bfe_i32 v50, v34, 0, 1
	v_bfe_u32 v34, v17, 24, 1
	v_lshrrev_b16 v76, 8, v18
	v_lshrrev_b16 v77, 7, v18
	v_lshlrev_b16 v18, 8, v65
	v_and_b32_e32 v65, 0xff, v39
	v_lshrrev_b16 v66, 7, v66
	v_lshlrev_b16 v52, 8, v87
	v_bfe_i32 v87, v64, 0, 1
	s_wait_alu 0xf1ff
	v_cndmask_b32_e64 v64, 0, -1, s0
	v_cmp_ne_u16_e64 s0, 0, v92
	v_bfe_u32 v79, v21, 8, 8
	v_lshlrev_b32_e32 v80, 3, v26
	v_and_b32_e32 v95, 0x180, v42
	v_bfe_i32 v38, v59, 0, 1
	v_and_or_b32 v56, 0x100, v69, v68
	v_bfe_i32 v67, v75, 0, 1
	v_lshl_or_b32 v68, v60, 21, v81
	v_lshl_or_b32 v69, v60, 17, v82
	s_wait_alu 0xfffd
	v_cndmask_b32_e64 v72, 0, -1, vcc_lo
	v_bfe_i32 v45, v25, 0, 1
	v_and_b32_e32 v25, 0x1800180, v17
	v_and_b32_e32 v74, 0x1800180, v30
	v_bfe_u32 v30, v30, 24, 1
	v_cmp_ne_u16_e32 vcc_lo, 0, v34
	v_or_b32_e32 v65, v65, v18
	v_bfe_i32 v66, v66, 0, 1
	s_wait_alu 0xf1ff
	v_cndmask_b32_e64 v92, 0, -1, s0
	v_bfe_i32 v28, v35, 0, 1
	v_bfe_i32 v35, v44, 0, 1
	v_and_or_b32 v59, 0x100, v80, v79
	v_bfe_i32 v44, v93, 0, 1
	v_lshrrev_b16 v78, 8, v95
	v_lshrrev_b16 v79, 7, v95
	v_and_b32_e32 v88, 0xff, v38
	v_lshlrev_b16 v20, 8, v99
	v_lshlrev_b16 v17, 8, v67
	v_and_b32_e32 v67, 0xff, v41
	v_and_b32_e32 v93, 0x1800180, v68
	;; [unrolled: 1-line block ×3, first 2 shown]
	v_lshrrev_b16 v105, 8, v25
	s_wait_alu 0xfffd
	v_cndmask_b32_e64 v34, 0, -1, vcc_lo
	v_cmp_ne_u16_e32 vcc_lo, 0, v30
	v_lshlrev_b16 v119, 8, v64
	v_lshlrev_b32_e32 v64, 16, v65
	v_and_b32_e32 v65, 0xff, v66
	v_lshlrev_b16 v92, 8, v92
	v_lshrrev_b16 v25, 7, v25
	s_wait_alu 0xfffd
	v_cndmask_b32_e64 v30, 0, -1, vcc_lo
	v_cmp_ne_u16_e32 vcc_lo, 0, v76
	v_or_b32_e32 v29, v88, v20
	v_lshrrev_b16 v88, 8, v93
	v_lshrrev_b16 v91, 8, v95
	v_or_b32_e32 v67, v67, v17
	v_cmp_ne_u16_e64 s4, 0, v105
	v_or_b32_e32 v65, v65, v92
	v_bfe_u32 v83, v21, 16, 8
	v_lshlrev_b32_e32 v84, 2, v26
	v_lshrrev_b32_e32 v21, 24, v21
	v_lshlrev_b32_e32 v26, 1, v26
	v_and_b32_e32 v81, 0x1800180, v49
	v_bfe_u32 v49, v49, 24, 1
	s_wait_alu 0xfffd
	v_cndmask_b32_e64 v76, 0, -1, vcc_lo
	v_cmp_ne_u16_e32 vcc_lo, 0, v78
	v_cmp_ne_u16_e64 s1, 0, v88
	v_cmp_ne_u16_e64 s2, 0, v91
	v_bfe_i32 v88, v25, 0, 1
	s_wait_alu 0xf1ff
	v_cndmask_b32_e64 v91, 0, -1, s4
	v_lshlrev_b32_e32 v67, 16, v67
	v_and_b32_e32 v65, 0xffff, v65
	v_bfe_i32 v40, v40, 0, 1
	v_and_or_b32 v60, 0x100, v84, v83
	v_and_or_b32 v61, 0x100, v26, v21
	;; [unrolled: 1-line block ×3, first 2 shown]
	v_and_b32_e32 v73, 0xff, v27
	v_bfe_u32 v84, v16, 24, 1
	v_bfe_u32 v86, v51, 24, 1
	v_lshrrev_b16 v106, 8, v74
	s_wait_alu 0xfffd
	v_cndmask_b32_e64 v78, 0, -1, vcc_lo
	v_cmp_ne_u16_e32 vcc_lo, 0, v49
	v_lshlrev_b16 v46, 8, v34
	v_or_b32_e32 v67, v65, v67
	v_and_b32_e32 v65, 0xff, v88
	v_lshlrev_b16 v91, 8, v91
	v_bfe_i32 v42, v89, 0, 1
	v_bfe_i32 v47, v90, 0, 1
	v_lshlrev_b16 v21, 8, v40
	v_and_b32_e32 v40, 0xff, v33
	v_lshlrev_b16 v19, 8, v96
	v_and_b32_e32 v89, 0x1800180, v62
	v_bfe_u32 v62, v62, 24, 1
	v_and_b32_e32 v90, 0x1800180, v63
	v_and_b32_e32 v96, 0x1800180, v26
	v_bfe_u32 v26, v26, 24, 1
	v_lshrrev_b16 v74, 7, v74
	s_wait_alu 0xfffd
	v_cndmask_b32_e64 v109, 0, -1, vcc_lo
	v_cmp_ne_u16_e32 vcc_lo, 0, v84
	v_cmp_ne_u16_e64 s0, 0, v86
	v_cmp_ne_u16_e64 s4, 0, v106
	v_or_b32_e32 v73, v73, v46
	v_or_b32_e32 v65, v65, v91
	v_and_b32_e32 v85, 0x1800180, v51
	v_bfe_i32 v51, v98, 0, 1
	v_bfe_u32 v63, v63, 24, 1
	v_or_b32_e32 v107, v40, v21
	s_wait_alu 0xfffd
	v_cndmask_b32_e64 v84, 0, -1, vcc_lo
	v_cmp_ne_u16_e32 vcc_lo, 0, v26
	v_lshrrev_b16 v40, 8, v90
	s_wait_alu 0xf1ff
	v_cndmask_b32_e64 v86, 0, -1, s0
	v_cmp_ne_u16_e64 s0, 0, v62
	v_bfe_i32 v74, v74, 0, 1
	v_cndmask_b32_e64 v105, 0, -1, s4
	v_lshlrev_b32_e32 v73, 16, v73
	v_and_b32_e32 v65, 0xffff, v65
	v_and_b32_e32 v75, 0xff, v28
	v_bfe_u32 v68, v68, 24, 1
	v_bfe_i32 v70, v70, 0, 1
	v_bfe_i32 v53, v71, 0, 1
	v_lshrrev_b16 v108, 8, v81
	v_and_b32_e32 v26, 0xff, v51
	s_wait_alu 0xf1ff
	v_cndmask_b32_e64 v62, 0, -1, s0
	v_cmp_ne_u16_e64 s0, 0, v63
	s_wait_alu 0xfffd
	v_cndmask_b32_e64 v115, 0, -1, vcc_lo
	v_cmp_ne_u16_e32 vcc_lo, 0, v40
	v_lshlrev_b16 v40, 8, v30
	v_or_b32_e32 v65, v65, v73
	v_and_b32_e32 v73, 0xff, v74
	v_lshlrev_b16 v105, 8, v105
	v_bfe_u32 v69, v69, 24, 1
	v_bfe_i32 v79, v79, 0, 1
	v_lshrrev_b16 v81, 7, v81
	v_lshlrev_b16 v49, 8, v70
	v_and_b32_e32 v70, 0xff, v53
	s_wait_alu 0xf1ff
	v_cndmask_b32_e64 v63, 0, -1, s0
	v_cmp_ne_u16_e64 s0, 0, v68
	v_or_b32_e32 v24, v26, v52
	v_cmp_ne_u16_e64 s4, 0, v108
	v_or_b32_e32 v75, v75, v40
	v_or_b32_e32 v73, v73, v105
	v_and_b32_e32 v83, 0x1800180, v16
	v_lshrrev_b16 v31, 8, v89
	v_lshrrev_b16 v89, 7, v89
	s_wait_alu 0xf1ff
	v_cndmask_b32_e64 v68, 0, -1, s0
	v_cmp_ne_u16_e64 s0, 0, v69
	v_lshlrev_b32_e32 v25, 16, v29
	v_or_b32_e32 v26, v70, v49
	v_lshlrev_b32_e32 v106, 16, v107
	v_and_b32_e32 v107, 0xff, v79
	v_lshlrev_b16 v78, 8, v78
	v_bfe_i32 v81, v81, 0, 1
	v_cndmask_b32_e64 v108, 0, -1, s4
	v_and_b32_e32 v24, 0xffff, v24
	v_lshlrev_b32_e32 v75, 16, v75
	v_and_b32_e32 v73, 0xffff, v73
	v_and_b32_e32 v82, 0xff, v36
	v_lshrrev_b16 v110, 8, v83
	s_wait_alu 0xf1ff
	v_cndmask_b32_e64 v69, 0, -1, s0
	v_cmp_ne_u16_e64 s0, 0, v31
	v_lshlrev_b16 v30, 8, v109
	v_lshlrev_b16 v31, 8, v86
	v_bfe_i32 v86, v89, 0, 1
	v_or_b32_e32 v89, v24, v25
	v_and_b32_e32 v24, 0xffff, v26
	v_or_b32_e32 v26, v107, v78
	v_or_b32_e32 v73, v73, v75
	v_and_b32_e32 v75, 0xff, v81
	v_lshlrev_b16 v107, 8, v108
	v_lshrrev_b16 v83, 7, v83
	v_cmp_ne_u16_e64 s4, 0, v110
	v_or_b32_e32 v82, v82, v30
	v_lshlrev_b16 v16, 8, v72
	v_or_b32_e32 v75, v75, v107
	v_bfe_i32 v83, v83, 0, 1
	s_wait_alu 0xf1ff
	v_cndmask_b32_e64 v109, 0, -1, s4
	v_lshlrev_b32_e32 v82, 16, v82
	v_and_b32_e32 v72, 0xff, v37
	v_and_b32_e32 v75, 0xffff, v75
	v_lshrrev_b16 v111, 8, v85
	v_lshlrev_b16 v34, 8, v84
	v_lshlrev_b16 v108, 8, v109
	v_lshrrev_b16 v85, 7, v85
	v_or_b32_e32 v75, v75, v82
	v_and_b32_e32 v82, 0xff, v83
	v_cmp_ne_u16_e64 s4, 0, v111
	v_or_b32_e32 v72, v72, v34
	v_bfe_i32 v84, v85, 0, 1
	v_and_b32_e32 v98, 0xff, v50
	v_or_b32_e32 v82, v82, v108
	s_wait_alu 0xf1ff
	v_cndmask_b32_e64 v85, 0, -1, s4
	v_lshlrev_b32_e32 v72, 16, v72
	v_lshlrev_b16 v29, 8, v62
	v_cndmask_b32_e64 v62, 0, -1, s0
	v_and_b32_e32 v82, 0xffff, v82
	v_lshlrev_b16 v85, 8, v85
	v_or_b32_e32 v98, v98, v31
	v_and_b32_e32 v99, 0xff, v47
	v_lshlrev_b16 v109, 8, v62
	v_or_b32_e32 v72, v82, v72
	v_and_b32_e32 v82, 0xff, v84
	v_lshrrev_b16 v90, 7, v90
	v_lshlrev_b16 v32, 8, v63
	s_wait_alu 0xfffd
	v_cndmask_b32_e64 v63, 0, -1, vcc_lo
	v_and_b32_e32 v71, 0xff, v42
	v_or_b32_e32 v62, v82, v85
	v_lshlrev_b32_e32 v82, 16, v98
	v_or_b32_e32 v98, v99, v29
	v_bfe_i32 v90, v90, 0, 1
	v_lshlrev_b16 v99, 8, v63
	v_and_b32_e32 v62, 0xffff, v62
	v_and_b32_e32 v100, 0xff, v48
	v_lshlrev_b32_e32 v63, 16, v98
	v_bfe_i32 v77, v77, 0, 1
	v_or_b32_e32 v71, v71, v16
	v_or_b32_e32 v82, v62, v82
	v_and_b32_e32 v62, 0xff, v86
	v_lshrrev_b16 v93, 7, v93
	v_and_b32_e32 v70, 0xff, v77
	v_lshlrev_b16 v76, 8, v76
	v_lshlrev_b32_e32 v71, 16, v71
	v_or_b32_e32 v62, v62, v109
	v_and_b32_e32 v80, 0xff, v35
	v_bfe_i32 v93, v93, 0, 1
	v_and_b32_e32 v101, 0xff, v43
	v_or_b32_e32 v71, v24, v71
	v_and_b32_e32 v62, 0xffff, v62
	v_or_b32_e32 v24, v70, v76
	v_cndmask_b32_e64 v70, 0, -1, s1
	v_or_b32_e32 v80, v80, v19
	v_lshlrev_b16 v25, 8, v68
	v_or_b32_e32 v98, v62, v63
	v_and_b32_e32 v62, 0xff, v90
	v_or_b32_e32 v63, v100, v32
	v_lshlrev_b16 v70, 8, v70
	v_lshrrev_b16 v114, 8, v96
	v_lshrrev_b16 v95, 7, v95
	v_or_b32_e32 v62, v62, v99
	v_lshlrev_b32_e32 v63, 16, v63
	v_lshlrev_b32_e32 v80, 16, v80
	v_and_b32_e32 v24, 0xffff, v24
	v_and_b32_e32 v26, 0xffff, v26
	;; [unrolled: 1-line block ×3, first 2 shown]
	v_cmp_ne_u16_e64 s3, 0, v114
	v_and_b32_e32 v114, 0xff, v87
	v_or_b32_e32 v68, v24, v106
	v_bfe_i32 v95, v95, 0, 1
	v_or_b32_e32 v100, v62, v63
	v_and_b32_e32 v62, 0xff, v93
	v_or_b32_e32 v63, v101, v25
	v_lshlrev_b16 v24, 8, v69
	v_or_b32_e32 v69, v26, v80
	v_cndmask_b32_e64 v80, 0, -1, s2
	v_or_b32_e32 v62, v62, v70
	v_lshlrev_b32_e32 v63, 16, v63
	v_and_b32_e32 v102, 0xff, v44
	v_or_b32_e32 v106, v114, v119
	v_lshlrev_b16 v80, 8, v80
	v_and_b32_e32 v62, 0xffff, v62
	v_lshrrev_b16 v96, 7, v96
	v_and_b32_e32 v103, 0xff, v45
	v_and_b32_e32 v106, 0xffff, v106
	v_lshlrev_b16 v26, 8, v115
	v_or_b32_e32 v101, v62, v63
	v_and_b32_e32 v62, 0xff, v95
	v_or_b32_e32 v63, v102, v24
	v_bfe_i32 v96, v96, 0, 1
	v_or_b32_e32 v106, v106, v64
	s_wait_alu 0xf1ff
	v_cndmask_b32_e64 v64, 0, -1, s3
	v_or_b32_e32 v62, v62, v80
	v_lshlrev_b32_e32 v63, 16, v63
	v_lshlrev_b32_e32 v54, 2, v54
	;; [unrolled: 1-line block ×3, first 2 shown]
	v_lshlrev_b16 v102, 8, v64
	v_and_b32_e32 v62, 0xffff, v62
	v_lshlrev_b32_e32 v56, 2, v56
	v_lshlrev_b32_e32 v57, 2, v57
	;; [unrolled: 1-line block ×4, first 2 shown]
	v_or_b32_e32 v110, v62, v63
	v_and_b32_e32 v62, 0xff, v96
	v_or_b32_e32 v63, v103, v26
	v_lshlrev_b32_e32 v60, 2, v60
	v_lshlrev_b32_e32 v61, 2, v61
	s_wait_loadcnt 0x7
	v_xor_b32_e32 v94, v94, v65
	v_or_b32_e32 v62, v62, v102
	v_lshlrev_b32_e32 v63, 16, v63
	s_wait_loadcnt 0x6
	v_xor_b32_e32 v73, v112, v73
	s_wait_loadcnt 0x5
	v_xor_b32_e32 v68, v113, v68
	s_wait_loadcnt 0x2
	v_xor_b32_e32 v72, v97, v72
	v_and_b32_e32 v62, 0xffff, v62
	v_xor_b32_e32 v75, v117, v75
	v_lshlrev_b16 v88, 8, v88
	s_wait_loadcnt 0x1
	v_xor_b32_e32 v82, v104, v82
	v_lshlrev_b16 v74, 8, v74
	v_or_b32_e32 v103, v62, v63
	global_load_b128 v[62:65], v[4:5], off offset:-32
	s_clause 0x7
	global_load_b32 v111, v54, s[6:7]
	global_load_b32 v112, v55, s[6:7]
	;; [unrolled: 1-line block ×8, first 2 shown]
	s_clause 0x1
	global_load_b128 v[54:57], v[4:5], off offset:-16
	global_load_b32 v97, v[4:5], off
	v_lshlrev_b16 v81, 8, v81
	v_xor_b32_e32 v69, v116, v69
	v_lshlrev_b16 v83, 8, v83
	v_lshlrev_b16 v86, 8, v86
	s_wait_loadcnt 0xb
	v_xor_b32_e32 v89, v118, v89
	v_lshlrev_b16 v77, 8, v77
	v_lshlrev_b16 v79, 8, v79
	;; [unrolled: 1-line block ×27, first 2 shown]
	v_lshrrev_b32_e32 v22, v11, v22
	v_lshrrev_b32_e32 v23, v11, v23
	v_cvt_f32_f16_e32 v15, v15
	v_cvt_f32_f16_e32 v14, v14
	v_add_co_u32 v4, vcc_lo, 0x480, v4
	v_lshlrev_b32_e32 v22, 1, v22
	v_cmp_le_u32_e64 s0, s15, v8
	s_wait_alu 0xfffd
	v_add_co_ci_u32_e64 v5, null, 0, v5, vcc_lo
	s_wait_alu 0xfffe
	s_delay_alu instid0(VALU_DEP_2)
	s_or_b32 s9, s0, s9
	s_wait_loadcnt 0x9
	v_xor_b32_e32 v98, v111, v98
	s_wait_loadcnt 0x8
	v_xor_b32_e32 v100, v112, v100
	;; [unrolled: 2-line block ×3, first 2 shown]
	v_lshlrev_b16 v106, 8, v73
	s_wait_loadcnt 0x5
	v_xor_b32_e32 v58, v58, v101
	v_lshlrev_b16 v101, 8, v94
	s_wait_loadcnt 0x3
	v_xor_b32_e32 v60, v60, v103
	s_wait_loadcnt 0x2
	v_xor_b32_e32 v61, v61, v71
	v_and_b32_e32 v71, 0xffffff00, v94
	v_and_b32_e32 v103, 0xffffff00, v73
	v_sub_nc_i16 v88, v101, v88 clamp
	v_lshlrev_b16 v101, 8, v75
	v_sub_nc_i16 v74, v106, v74 clamp
	v_sub_nc_i16 v71, v71, v91 clamp
	v_and_b32_e32 v91, 0xffffff00, v75
	v_lshlrev_b16 v106, 8, v72
	v_sub_nc_i16 v81, v101, v81 clamp
	v_lshlrev_b16 v101, 8, v98
	v_xor_b32_e32 v67, v114, v67
	v_xor_b32_e32 v59, v59, v110
	v_and_b32_e32 v110, 0xffffff00, v68
	v_lshlrev_b16 v111, 8, v68
	v_and_b32_e32 v112, 0xffffff00, v69
	v_lshlrev_b16 v113, 8, v69
	v_sub_nc_i16 v103, v103, v105 clamp
	v_and_b32_e32 v105, 0xffffff00, v72
	v_sub_nc_i16 v91, v91, v107 clamp
	v_and_b32_e32 v107, 0xffffff00, v98
	v_sub_nc_i16 v83, v106, v83 clamp
	v_lshlrev_b16 v106, 8, v100
	v_sub_nc_i16 v86, v101, v86 clamp
	v_lshlrev_b16 v101, 8, v58
	v_and_b32_e32 v114, 0xffffff00, v60
	v_lshrrev_b32_e32 v94, 16, v94
	v_lshrrev_b32_e32 v98, 16, v98
	v_sub_nc_i16 v76, v110, v76 clamp
	v_and_b32_e32 v110, 0xffffff00, v82
	v_sub_nc_i16 v77, v111, v77 clamp
	v_lshlrev_b16 v111, 8, v82
	v_sub_nc_i16 v78, v112, v78 clamp
	v_and_b32_e32 v112, 0xffffff00, v89
	v_sub_nc_i16 v79, v113, v79 clamp
	v_lshlrev_b16 v113, 8, v89
	;; [unrolled: 4-line block ×3, first 2 shown]
	v_lshrrev_b32_e32 v73, 16, v73
	v_lshrrev_b32_e32 v100, 16, v100
	v_sub_nc_i16 v93, v101, v93 clamp
	v_sub_nc_i16 v101, v114, v102 clamp
	v_and_b32_e32 v102, 0xffffff00, v94
	v_lshlrev_b16 v94, 8, v94
	v_perm_b32 v71, v88, v71, 0xc0c0105
	v_and_b32_e32 v88, 0xffffff00, v98
	v_lshlrev_b16 v98, 8, v98
	v_sub_nc_i16 v85, v110, v85 clamp
	v_and_b32_e32 v110, 0xffffff00, v104
	v_sub_nc_i16 v84, v111, v84 clamp
	v_lshlrev_b16 v111, 8, v104
	v_sub_nc_i16 v52, v112, v52 clamp
	v_sub_nc_i16 v51, v113, v51 clamp
	;; [unrolled: 1-line block ×4, first 2 shown]
	v_and_b32_e32 v108, 0xffffff00, v59
	v_lshrrev_b32_e32 v68, 16, v68
	v_lshrrev_b32_e32 v104, 16, v104
	v_sub_nc_i16 v95, v106, v95 clamp
	v_and_b32_e32 v106, 0xffffff00, v73
	v_lshlrev_b16 v73, 8, v73
	v_sub_nc_i16 v46, v102, v46 clamp
	v_and_b32_e32 v102, 0xffffff00, v100
	v_lshlrev_b16 v100, 8, v100
	v_sub_nc_i16 v27, v94, v27 clamp
	v_sub_nc_i16 v29, v88, v29 clamp
	;; [unrolled: 1-line block ×3, first 2 shown]
	v_and_b32_e32 v112, 0xffffff00, v67
	v_lshlrev_b16 v113, 8, v67
	v_and_b32_e32 v109, 0xffffff00, v58
	v_lshrrev_b32_e32 v69, 16, v69
	v_lshrrev_b32_e32 v67, 16, v67
	v_sub_nc_i16 v80, v108, v80 clamp
	v_and_b32_e32 v108, 0xffffff00, v68
	v_lshlrev_b16 v68, 8, v68
	v_and_b32_e32 v94, 0xffffff00, v104
	v_lshlrev_b16 v104, 8, v104
	v_sub_nc_i16 v40, v106, v40 clamp
	v_sub_nc_i16 v28, v73, v28 clamp
	v_perm_b32 v51, v51, v52, 0xc0c0105
	v_perm_b32 v52, v86, v107, 0xc0c0105
	v_sub_nc_i16 v32, v102, v32 clamp
	v_sub_nc_i16 v48, v100, v48 clamp
	v_perm_b32 v27, v27, v46, 0xc0c0105
	v_perm_b32 v29, v47, v29, 0xc0c0105
	v_sub_nc_i16 v110, v110, v119 clamp
	v_sub_nc_i16 v87, v111, v87 clamp
	v_lshlrev_b16 v111, 8, v60
	v_lshrrev_b32_e32 v75, 16, v75
	v_lshrrev_b32_e32 v58, 16, v58
	v_sub_nc_i16 v70, v109, v70 clamp
	v_and_b32_e32 v109, 0xffffff00, v69
	v_lshlrev_b16 v69, 8, v69
	v_perm_b32 v74, v74, v103, 0xc0c0105
	v_and_b32_e32 v103, 0xffffff00, v67
	v_lshlrev_b16 v67, 8, v67
	v_sub_nc_i16 v21, v108, v21 clamp
	v_sub_nc_i16 v33, v68, v33 clamp
	v_perm_b32 v68, v79, v78, 0xc0c0105
	v_perm_b32 v78, v90, v99, 0xc0c0105
	v_sub_nc_i16 v18, v94, v18 clamp
	v_sub_nc_i16 v39, v104, v39 clamp
	v_perm_b32 v28, v28, v40, 0xc0c0105
	v_perm_b32 v32, v48, v32, 0xc0c0105
	v_lshl_or_b32 v27, v27, 16, v71
	v_lshl_or_b32 v29, v29, 16, v52
	v_sub_nc_i16 v92, v112, v92 clamp
	v_and_b32_e32 v112, 0xffffff00, v61
	v_sub_nc_i16 v66, v113, v66 clamp
	v_lshrrev_b32_e32 v72, 16, v72
	v_lshrrev_b32_e32 v59, 16, v59
	v_sub_nc_i16 v96, v111, v96 clamp
	v_and_b32_e32 v111, 0xffffff00, v75
	v_lshlrev_b16 v75, 8, v75
	v_and_b32_e32 v106, 0xffffff00, v58
	v_lshlrev_b16 v58, 8, v58
	v_perm_b32 v76, v77, v76, 0xc0c0105
	v_sub_nc_i16 v19, v109, v19 clamp
	v_sub_nc_i16 v35, v69, v35 clamp
	v_perm_b32 v79, v87, v110, 0xc0c0105
	v_sub_nc_i16 v17, v103, v17 clamp
	v_sub_nc_i16 v41, v67, v41 clamp
	v_perm_b32 v21, v33, v21, 0xc0c0105
	v_perm_b32 v18, v39, v18, 0xc0c0105
	v_lshl_or_b32 v28, v28, 16, v74
	v_lshl_or_b32 v32, v32, 16, v78
	v_dot4_i32_iu8 v27, v27, v63, 0 neg_lo:[1,1,0]
	v_dot4_i32_iu8 v29, v29, v63, 0 neg_lo:[1,1,0]
	v_lshlrev_b16 v113, 8, v61
	v_lshrrev_b32_e32 v82, 16, v82
	v_lshrrev_b32_e32 v60, 16, v60
	v_sub_nc_i16 v49, v112, v49 clamp
	v_and_b32_e32 v112, 0xffffff00, v72
	v_lshlrev_b16 v72, 8, v72
	v_and_b32_e32 v73, 0xffffff00, v59
	v_lshlrev_b16 v59, 8, v59
	v_sub_nc_i16 v30, v111, v30 clamp
	v_sub_nc_i16 v36, v75, v36 clamp
	v_perm_b32 v66, v66, v92, 0xc0c0105
	v_sub_nc_i16 v25, v106, v25 clamp
	v_sub_nc_i16 v43, v58, v43 clamp
	v_perm_b32 v19, v35, v19, 0xc0c0105
	v_perm_b32 v17, v41, v17, 0xc0c0105
	v_lshl_or_b32 v21, v21, 16, v76
	v_lshl_or_b32 v18, v18, 16, v79
	v_dot4_i32_iu8 v27, v28, v64, v27 neg_lo:[1,1,0]
	v_dot4_i32_iu8 v28, v32, v64, v29 neg_lo:[1,1,0]
	v_lshrrev_b32_e32 v89, 16, v89
	v_lshrrev_b32_e32 v61, 16, v61
	v_sub_nc_i16 v53, v113, v53 clamp
	v_and_b32_e32 v113, 0xffffff00, v82
	v_lshlrev_b16 v82, 8, v82
	v_and_b32_e32 v77, 0xffffff00, v60
	v_lshlrev_b16 v60, 8, v60
	v_perm_b32 v69, v81, v91, 0xc0c0105
	v_sub_nc_i16 v34, v112, v34 clamp
	v_sub_nc_i16 v37, v72, v37 clamp
	v_perm_b32 v67, v93, v70, 0xc0c0105
	v_sub_nc_i16 v24, v73, v24 clamp
	v_sub_nc_i16 v44, v59, v44 clamp
	v_perm_b32 v30, v36, v30, 0xc0c0105
	v_perm_b32 v25, v43, v25, 0xc0c0105
	v_lshl_or_b32 v19, v19, 16, v68
	v_lshl_or_b32 v17, v17, 16, v66
	v_dot4_i32_iu8 v21, v21, v65, v27 neg_lo:[1,1,0]
	v_dot4_i32_iu8 v18, v18, v65, v28 neg_lo:[1,1,0]
	v_and_b32_e32 v114, 0xffffff00, v89
	v_lshlrev_b16 v89, 8, v89
	v_and_b32_e32 v108, 0xffffff00, v61
	v_lshlrev_b16 v61, 8, v61
	v_perm_b32 v75, v83, v105, 0xc0c0105
	v_sub_nc_i16 v31, v113, v31 clamp
	v_sub_nc_i16 v50, v82, v50 clamp
	v_perm_b32 v58, v95, v80, 0xc0c0105
	v_sub_nc_i16 v26, v77, v26 clamp
	v_sub_nc_i16 v45, v60, v45 clamp
	v_perm_b32 v33, v37, v34, 0xc0c0105
	v_perm_b32 v24, v44, v24, 0xc0c0105
	v_lshl_or_b32 v27, v30, 16, v69
	v_lshl_or_b32 v25, v25, 16, v67
	s_wait_loadcnt 0x1
	v_dot4_i32_iu8 v19, v19, v54, v21 neg_lo:[1,1,0]
	v_dot4_i32_iu8 v17, v17, v54, v18 neg_lo:[1,1,0]
	v_perm_b32 v72, v84, v85, 0xc0c0105
	v_sub_nc_i16 v20, v114, v20 clamp
	v_sub_nc_i16 v38, v89, v38 clamp
	v_perm_b32 v59, v96, v101, 0xc0c0105
	v_sub_nc_i16 v16, v108, v16 clamp
	v_sub_nc_i16 v42, v61, v42 clamp
	v_perm_b32 v31, v50, v31, 0xc0c0105
	v_perm_b32 v18, v45, v26, 0xc0c0105
	v_lshl_or_b32 v21, v33, 16, v75
	v_lshl_or_b32 v24, v24, 16, v58
	v_dot4_i32_iu8 v19, v27, v55, v19 neg_lo:[1,1,0]
	v_dot4_i32_iu8 v17, v25, v55, v17 neg_lo:[1,1,0]
	v_perm_b32 v49, v53, v49, 0xc0c0105
	v_perm_b32 v20, v38, v20, 0xc0c0105
	;; [unrolled: 1-line block ×3, first 2 shown]
	v_lshl_or_b32 v25, v31, 16, v72
	v_lshl_or_b32 v18, v18, 16, v59
	v_dot4_i32_iu8 v19, v21, v56, v19 neg_lo:[1,1,0]
	v_dot4_i32_iu8 v17, v24, v56, v17 neg_lo:[1,1,0]
	v_lshlrev_b32_e32 v21, 1, v23
	v_lshl_or_b32 v20, v20, 16, v51
	v_lshl_or_b32 v16, v16, 16, v49
	v_dot4_i32_iu8 v19, v25, v57, v19 neg_lo:[1,1,0]
	v_dot4_i32_iu8 v17, v18, v57, v17 neg_lo:[1,1,0]
	v_and_or_b32 v18, v22, 30, 1
	v_and_or_b32 v21, v21, 30, 1
	s_wait_loadcnt 0x0
	v_dot4_i32_iu8 v19, v20, v97, v19 neg_lo:[1,1,0]
	v_dot4_i32_iu8 v16, v16, v97, v17 neg_lo:[1,1,0]
	v_cvt_f32_f16_e32 v17, v62
	s_delay_alu instid0(VALU_DEP_3) | instskip(NEXT) | instid1(VALU_DEP_3)
	v_mul_lo_u32 v18, v19, v18
	v_mul_lo_u32 v16, v16, v21
	s_delay_alu instid0(VALU_DEP_3) | instskip(SKIP_1) | instid1(VALU_DEP_4)
	v_mul_f32_e32 v15, v15, v17
	v_mul_f32_e32 v14, v14, v17
	v_cvt_f32_i32_e32 v17, v18
	s_delay_alu instid0(VALU_DEP_4) | instskip(NEXT) | instid1(VALU_DEP_1)
	v_cvt_f32_i32_e32 v16, v16
	v_dual_fmac_f32 v1, v15, v17 :: v_dual_fmac_f32 v0, v14, v16
	s_wait_alu 0xfffe
	s_and_not1_b32 exec_lo, exec_lo, s9
	s_cbranch_execnz .LBB252_3
; %bb.4:
	s_or_b32 exec_lo, exec_lo, s9
.LBB252_5:
	s_delay_alu instid0(SALU_CYCLE_1) | instskip(SKIP_1) | instid1(VALU_DEP_1)
	s_or_b32 exec_lo, exec_lo, s24
	v_mbcnt_lo_u32_b32 v2, -1, 0
	v_xor_b32_e32 v3, 16, v2
	v_xor_b32_e32 v5, 8, v2
	s_delay_alu instid0(VALU_DEP_2) | instskip(SKIP_2) | instid1(VALU_DEP_3)
	v_cmp_gt_i32_e32 vcc_lo, 32, v3
	s_wait_alu 0xfffd
	v_cndmask_b32_e32 v3, v2, v3, vcc_lo
	v_cmp_gt_i32_e32 vcc_lo, 32, v5
	s_delay_alu instid0(VALU_DEP_2)
	v_lshlrev_b32_e32 v3, 2, v3
	ds_bpermute_b32 v4, v3, v1
	ds_bpermute_b32 v3, v3, v0
	s_wait_alu 0xfffd
	v_cndmask_b32_e32 v5, v2, v5, vcc_lo
	s_wait_dscnt 0x0
	v_dual_add_f32 v1, v1, v4 :: v_dual_add_f32 v0, v0, v3
	s_delay_alu instid0(VALU_DEP_2) | instskip(SKIP_3) | instid1(VALU_DEP_1)
	v_lshlrev_b32_e32 v5, 2, v5
	ds_bpermute_b32 v3, v5, v1
	ds_bpermute_b32 v4, v5, v0
	v_xor_b32_e32 v5, 4, v2
	v_cmp_gt_i32_e32 vcc_lo, 32, v5
	s_wait_alu 0xfffd
	v_cndmask_b32_e32 v5, v2, v5, vcc_lo
	s_delay_alu instid0(VALU_DEP_1)
	v_lshlrev_b32_e32 v5, 2, v5
	s_wait_dscnt 0x0
	v_dual_add_f32 v1, v1, v3 :: v_dual_add_f32 v0, v0, v4
	ds_bpermute_b32 v3, v5, v1
	ds_bpermute_b32 v4, v5, v0
	v_xor_b32_e32 v5, 2, v2
	s_delay_alu instid0(VALU_DEP_1) | instskip(SKIP_2) | instid1(VALU_DEP_1)
	v_cmp_gt_i32_e32 vcc_lo, 32, v5
	s_wait_alu 0xfffd
	v_cndmask_b32_e32 v5, v2, v5, vcc_lo
	v_lshlrev_b32_e32 v5, 2, v5
	s_wait_dscnt 0x1
	v_add_f32_e32 v1, v1, v3
	s_wait_dscnt 0x0
	v_add_f32_e32 v3, v0, v4
	ds_bpermute_b32 v0, v5, v1
	ds_bpermute_b32 v4, v5, v3
	v_xor_b32_e32 v5, 1, v2
	s_delay_alu instid0(VALU_DEP_1) | instskip(SKIP_4) | instid1(VALU_DEP_2)
	v_cmp_gt_i32_e32 vcc_lo, 32, v5
	s_wait_alu 0xfffd
	v_cndmask_b32_e32 v2, v2, v5, vcc_lo
	v_cmp_gt_u32_e32 vcc_lo, 2, v7
	s_wait_dscnt 0x1
	v_dual_add_f32 v0, v1, v0 :: v_dual_lshlrev_b32 v5, 2, v2
	s_wait_dscnt 0x0
	v_dual_add_f32 v1, v3, v4 :: v_dual_add_nc_u32 v4, s5, v7
	ds_bpermute_b32 v2, v5, v0
	ds_bpermute_b32 v3, v5, v1
	v_cmp_gt_u32_e64 s0, s8, v4
	s_and_b32 s0, vcc_lo, s0
	s_wait_alu 0xfffe
	s_and_b32 exec_lo, exec_lo, s0
	s_cbranch_execz .LBB252_7
; %bb.6:
	v_mul_lo_u32 v4, s11, v6
	v_or_b32_e32 v6, s5, v7
	s_mul_i32 s0, s14, ttmp7
	s_wait_dscnt 0x1
	v_dual_mov_b32 v5, 0 :: v_dual_add_f32 v2, v0, v2
	s_wait_dscnt 0x0
	v_add_f32_e32 v3, v1, v3
	v_cmp_eq_u32_e32 vcc_lo, 1, v7
	s_wait_alu 0xfffe
	v_add3_u32 v4, v6, v4, s0
	s_wait_alu 0xfffd
	v_cndmask_b32_e32 v2, v2, v3, vcc_lo
	s_delay_alu instid0(VALU_DEP_2) | instskip(NEXT) | instid1(VALU_DEP_1)
	v_lshlrev_b64_e32 v[0:1], 2, v[4:5]
	v_add_co_u32 v0, vcc_lo, s22, v0
	s_wait_alu 0xfffd
	s_delay_alu instid0(VALU_DEP_2)
	v_add_co_ci_u32_e64 v1, null, s23, v1, vcc_lo
	global_store_b32 v[0:1], v2, off
.LBB252_7:
	s_nop 0
	s_sendmsg sendmsg(MSG_DEALLOC_VGPRS)
	s_endpgm
	.section	.rodata,"a",@progbits
	.p2align	6, 0x0
	.amdhsa_kernel _ZL17mul_mat_vec_q_moeIL9ggml_type21ELi2EEvPKvS2_PKiPfj15HIP_vector_typeIjLj3EEjjjjjjjjj
		.amdhsa_group_segment_fixed_size 0
		.amdhsa_private_segment_fixed_size 0
		.amdhsa_kernarg_size 84
		.amdhsa_user_sgpr_count 2
		.amdhsa_user_sgpr_dispatch_ptr 0
		.amdhsa_user_sgpr_queue_ptr 0
		.amdhsa_user_sgpr_kernarg_segment_ptr 1
		.amdhsa_user_sgpr_dispatch_id 0
		.amdhsa_user_sgpr_private_segment_size 0
		.amdhsa_wavefront_size32 1
		.amdhsa_uses_dynamic_stack 0
		.amdhsa_enable_private_segment 0
		.amdhsa_system_sgpr_workgroup_id_x 1
		.amdhsa_system_sgpr_workgroup_id_y 1
		.amdhsa_system_sgpr_workgroup_id_z 0
		.amdhsa_system_sgpr_workgroup_info 0
		.amdhsa_system_vgpr_workitem_id 1
		.amdhsa_next_free_vgpr 120
		.amdhsa_next_free_sgpr 25
		.amdhsa_reserve_vcc 1
		.amdhsa_float_round_mode_32 0
		.amdhsa_float_round_mode_16_64 0
		.amdhsa_float_denorm_mode_32 3
		.amdhsa_float_denorm_mode_16_64 3
		.amdhsa_fp16_overflow 0
		.amdhsa_workgroup_processor_mode 1
		.amdhsa_memory_ordered 1
		.amdhsa_forward_progress 1
		.amdhsa_inst_pref_size 51
		.amdhsa_round_robin_scheduling 0
		.amdhsa_exception_fp_ieee_invalid_op 0
		.amdhsa_exception_fp_denorm_src 0
		.amdhsa_exception_fp_ieee_div_zero 0
		.amdhsa_exception_fp_ieee_overflow 0
		.amdhsa_exception_fp_ieee_underflow 0
		.amdhsa_exception_fp_ieee_inexact 0
		.amdhsa_exception_int_div_zero 0
	.end_amdhsa_kernel
	.section	.text._ZL17mul_mat_vec_q_moeIL9ggml_type21ELi2EEvPKvS2_PKiPfj15HIP_vector_typeIjLj3EEjjjjjjjjj,"axG",@progbits,_ZL17mul_mat_vec_q_moeIL9ggml_type21ELi2EEvPKvS2_PKiPfj15HIP_vector_typeIjLj3EEjjjjjjjjj,comdat
.Lfunc_end252:
	.size	_ZL17mul_mat_vec_q_moeIL9ggml_type21ELi2EEvPKvS2_PKiPfj15HIP_vector_typeIjLj3EEjjjjjjjjj, .Lfunc_end252-_ZL17mul_mat_vec_q_moeIL9ggml_type21ELi2EEvPKvS2_PKiPfj15HIP_vector_typeIjLj3EEjjjjjjjjj
                                        ; -- End function
	.set _ZL17mul_mat_vec_q_moeIL9ggml_type21ELi2EEvPKvS2_PKiPfj15HIP_vector_typeIjLj3EEjjjjjjjjj.num_vgpr, 120
	.set _ZL17mul_mat_vec_q_moeIL9ggml_type21ELi2EEvPKvS2_PKiPfj15HIP_vector_typeIjLj3EEjjjjjjjjj.num_agpr, 0
	.set _ZL17mul_mat_vec_q_moeIL9ggml_type21ELi2EEvPKvS2_PKiPfj15HIP_vector_typeIjLj3EEjjjjjjjjj.numbered_sgpr, 25
	.set _ZL17mul_mat_vec_q_moeIL9ggml_type21ELi2EEvPKvS2_PKiPfj15HIP_vector_typeIjLj3EEjjjjjjjjj.num_named_barrier, 0
	.set _ZL17mul_mat_vec_q_moeIL9ggml_type21ELi2EEvPKvS2_PKiPfj15HIP_vector_typeIjLj3EEjjjjjjjjj.private_seg_size, 0
	.set _ZL17mul_mat_vec_q_moeIL9ggml_type21ELi2EEvPKvS2_PKiPfj15HIP_vector_typeIjLj3EEjjjjjjjjj.uses_vcc, 1
	.set _ZL17mul_mat_vec_q_moeIL9ggml_type21ELi2EEvPKvS2_PKiPfj15HIP_vector_typeIjLj3EEjjjjjjjjj.uses_flat_scratch, 0
	.set _ZL17mul_mat_vec_q_moeIL9ggml_type21ELi2EEvPKvS2_PKiPfj15HIP_vector_typeIjLj3EEjjjjjjjjj.has_dyn_sized_stack, 0
	.set _ZL17mul_mat_vec_q_moeIL9ggml_type21ELi2EEvPKvS2_PKiPfj15HIP_vector_typeIjLj3EEjjjjjjjjj.has_recursion, 0
	.set _ZL17mul_mat_vec_q_moeIL9ggml_type21ELi2EEvPKvS2_PKiPfj15HIP_vector_typeIjLj3EEjjjjjjjjj.has_indirect_call, 0
	.section	.AMDGPU.csdata,"",@progbits
; Kernel info:
; codeLenInByte = 6516
; TotalNumSgprs: 27
; NumVgprs: 120
; ScratchSize: 0
; MemoryBound: 0
; FloatMode: 240
; IeeeMode: 1
; LDSByteSize: 0 bytes/workgroup (compile time only)
; SGPRBlocks: 0
; VGPRBlocks: 14
; NumSGPRsForWavesPerEU: 27
; NumVGPRsForWavesPerEU: 120
; Occupancy: 12
; WaveLimiterHint : 1
; COMPUTE_PGM_RSRC2:SCRATCH_EN: 0
; COMPUTE_PGM_RSRC2:USER_SGPR: 2
; COMPUTE_PGM_RSRC2:TRAP_HANDLER: 0
; COMPUTE_PGM_RSRC2:TGID_X_EN: 1
; COMPUTE_PGM_RSRC2:TGID_Y_EN: 1
; COMPUTE_PGM_RSRC2:TGID_Z_EN: 0
; COMPUTE_PGM_RSRC2:TIDIG_COMP_CNT: 1
	.section	.text._ZL13mul_mat_vec_qIL9ggml_type21ELi1ELb1ELb1EEvPKvS2_PKi31ggml_cuda_mm_fusion_args_devicePfj15HIP_vector_typeIjLj3EEjjjS8_jjjS8_jjjj,"axG",@progbits,_ZL13mul_mat_vec_qIL9ggml_type21ELi1ELb1ELb1EEvPKvS2_PKi31ggml_cuda_mm_fusion_args_devicePfj15HIP_vector_typeIjLj3EEjjjS8_jjjS8_jjjj,comdat
	.globl	_ZL13mul_mat_vec_qIL9ggml_type21ELi1ELb1ELb1EEvPKvS2_PKi31ggml_cuda_mm_fusion_args_devicePfj15HIP_vector_typeIjLj3EEjjjS8_jjjS8_jjjj ; -- Begin function _ZL13mul_mat_vec_qIL9ggml_type21ELi1ELb1ELb1EEvPKvS2_PKi31ggml_cuda_mm_fusion_args_devicePfj15HIP_vector_typeIjLj3EEjjjS8_jjjS8_jjjj
	.p2align	8
	.type	_ZL13mul_mat_vec_qIL9ggml_type21ELi1ELb1ELb1EEvPKvS2_PKi31ggml_cuda_mm_fusion_args_devicePfj15HIP_vector_typeIjLj3EEjjjS8_jjjS8_jjjj,@function
_ZL13mul_mat_vec_qIL9ggml_type21ELi1ELb1ELb1EEvPKvS2_PKi31ggml_cuda_mm_fusion_args_devicePfj15HIP_vector_typeIjLj3EEjjjS8_jjjS8_jjjj: ; @_ZL13mul_mat_vec_qIL9ggml_type21ELi1ELb1ELb1EEvPKvS2_PKi31ggml_cuda_mm_fusion_args_devicePfj15HIP_vector_typeIjLj3EEjjjS8_jjjS8_jjjj
; %bb.0:
	s_clause 0x3
	s_load_b256 s[8:15], s[0:1], 0x0
	s_load_b128 s[16:19], s[0:1], 0x20
	s_load_b128 s[20:23], s[0:1], 0x40
	;; [unrolled: 1-line block ×3, first 2 shown]
	s_and_b32 s27, ttmp7, 0xffff
	s_wait_kmcnt 0x0
	s_cmp_lg_u64 s[12:13], 0
	s_cselect_b32 s2, -1, 0
	s_cmp_eq_u64 s[12:13], 0
	s_cbranch_scc1 .LBB253_24
; %bb.1:
	s_lshl_b32 s3, s27, 2
	s_load_b32 s29, s[12:13], s3 offset:0x0
	s_clause 0x1
	s_load_b32 s30, s[0:1], 0x50
	s_load_b32 s28, s[0:1], 0x78
	s_cbranch_execnz .LBB253_3
.LBB253_2:
	s_load_b64 s[12:13], s[0:1], 0x5c
	s_wait_kmcnt 0x0
	s_mul_hi_u32 s3, s12, s27
	s_delay_alu instid0(SALU_CYCLE_1) | instskip(NEXT) | instid1(SALU_CYCLE_1)
	s_add_co_i32 s3, s27, s3
	s_lshr_b32 s29, s3, s13
.LBB253_3:
	s_and_not1_b32 vcc_lo, exec_lo, s2
	s_mov_b32 s3, s27
	s_mov_b32 s31, s27
	s_cbranch_vccnz .LBB253_5
; %bb.4:
	s_mul_hi_u32 s2, s21, s27
	s_wait_kmcnt 0x0
	s_mov_b32 s3, s29
	s_add_co_i32 s2, s27, s2
	s_delay_alu instid0(SALU_CYCLE_1) | instskip(NEXT) | instid1(SALU_CYCLE_1)
	s_lshr_b32 s2, s2, s22
	s_mul_i32 s2, s2, s23
	s_delay_alu instid0(SALU_CYCLE_1)
	s_sub_co_i32 s31, s27, s2
.LBB253_5:
	s_load_b96 s[24:26], s[0:1], 0x80
	v_bfe_u32 v13, v0, 10, 10
	v_dual_mov_b32 v11, 0 :: v_dual_and_b32 v10, 0x3ff, v0
	s_lshr_b32 s21, ttmp7, 16
	s_cmp_lg_u64 s[14:15], 0
	v_mov_b32_e32 v12, 0
	s_delay_alu instid0(VALU_DEP_2) | instskip(SKIP_3) | instid1(VALU_DEP_1)
	v_or_b32_e32 v0, v10, v13
	s_cselect_b32 s2, -1, 0
	s_mov_b32 s23, 0
	s_mul_i32 s12, s3, s6
	v_cmp_eq_u32_e32 vcc_lo, 0, v0
	s_and_b32 s13, s2, vcc_lo
	s_delay_alu instid0(SALU_CYCLE_1)
	s_and_saveexec_b32 s3, s13
	s_cbranch_execz .LBB253_7
; %bb.6:
	s_wait_kmcnt 0x0
	s_mul_i32 s22, s26, s21
	s_mov_b32 s13, s23
	s_lshl_b64 s[22:23], s[22:23], 2
	s_mov_b32 s34, ttmp9
	s_lshl_b64 s[36:37], s[12:13], 2
	s_add_nc_u64 s[14:15], s[14:15], s[22:23]
	s_ashr_i32 s35, ttmp9, 31
	v_lshlrev_b32_e32 v0, 2, v10
	s_add_nc_u64 s[14:15], s[14:15], s[36:37]
	s_lshl_b64 s[22:23], s[34:35], 2
	s_delay_alu instid0(SALU_CYCLE_1)
	s_add_nc_u64 s[14:15], s[14:15], s[22:23]
	global_load_b32 v12, v0, s[14:15]
.LBB253_7:
	s_or_b32 exec_lo, exec_lo, s3
	s_cmp_lg_u64 s[16:17], 0
	s_cselect_b32 s14, -1, 0
	s_cmp_lg_u64 s[18:19], 0
	s_cselect_b32 s3, -1, 0
	s_delay_alu instid0(SALU_CYCLE_1) | instskip(NEXT) | instid1(SALU_CYCLE_1)
	s_and_b32 s13, s3, s14
	s_and_b32 s13, s13, vcc_lo
	s_delay_alu instid0(SALU_CYCLE_1)
	s_and_saveexec_b32 s15, s13
	s_cbranch_execz .LBB253_9
; %bb.8:
	s_wait_kmcnt 0x0
	s_mul_i32 s34, s26, s21
	s_mov_b32 s35, 0
	s_mov_b32 s22, ttmp9
	s_lshl_b64 s[36:37], s[34:35], 2
	s_mov_b32 s13, s35
	s_add_nc_u64 s[18:19], s[18:19], s[36:37]
	s_lshl_b64 s[12:13], s[12:13], 2
	s_ashr_i32 s23, ttmp9, 31
	v_lshlrev_b32_e32 v0, 2, v10
	s_add_nc_u64 s[12:13], s[18:19], s[12:13]
	s_lshl_b64 s[18:19], s[22:23], 2
	s_delay_alu instid0(SALU_CYCLE_1)
	s_add_nc_u64 s[12:13], s[12:13], s[18:19]
	global_load_b32 v11, v0, s[12:13]
.LBB253_9:
	s_or_b32 exec_lo, exec_lo, s15
	v_lshl_add_u32 v0, v13, 5, v10
	v_dual_mov_b32 v16, 0 :: v_dual_mov_b32 v15, 0
	v_cndmask_b32_e64 v14, 0, 1, s14
	s_lshr_b32 s15, s20, 8
	s_delay_alu instid0(VALU_DEP_3) | instskip(SKIP_2) | instid1(VALU_DEP_1)
	v_lshrrev_b32_e32 v17, 3, v0
	s_mov_b32 s18, exec_lo
	s_wait_alu 0xfffe
	v_cmpx_gt_u32_e64 s15, v17
	s_cbranch_execz .LBB253_15
; %bb.10:
	v_lshrrev_b32_e32 v0, 3, v0
	s_mul_i32 s12, s31, s5
	s_mov_b32 s13, 0
	s_mul_hi_u32 s5, s7, s21
	s_mul_u64 s[22:23], s[12:13], 36
	s_wait_kmcnt 0x0
	s_mul_i32 s7, s25, s21
	v_mad_co_u64_u32 v[0:1], null, 0x120, v0, s[22:23]
	v_and_b32_e32 v18, 7, v10
	v_dual_mov_b32 v15, 0 :: v_dual_lshlrev_b32 v2, 1, v10
	v_mov_b32_e32 v16, 0
	s_mul_i32 s30, s30, ttmp9
	s_delay_alu instid0(VALU_DEP_4) | instskip(NEXT) | instid1(VALU_DEP_3)
	v_mad_co_u64_u32 v[0:1], null, s7, 36, v[0:1]
	v_and_b32_e32 v3, 14, v2
	s_mul_i32 s7, s29, s4
	s_add_co_i32 s4, s21, s5
	v_bfe_u32 v19, v2, 2, 2
	s_lshr_b32 s4, s4, s28
	v_lshlrev_b32_e32 v4, 1, v3
	s_delay_alu instid0(VALU_DEP_4)
	v_mad_co_u64_u32 v[0:1], null, v18, 36, v[0:1]
	s_mul_i32 s4, s4, s24
	v_lshlrev_b32_e32 v20, 1, v3
	v_and_b32_e32 v21, 4, v4
	v_lshlrev_b32_e32 v22, 1, v4
	s_add_co_i32 s4, s4, s30
	v_add_co_u32 v0, vcc_lo, s10, v0
	s_delay_alu instid0(VALU_DEP_1) | instskip(SKIP_2) | instid1(VALU_DEP_2)
	v_add_co_ci_u32_e64 v1, null, s11, v1, vcc_lo
	s_wait_alu 0xfffe
	s_add_co_i32 s7, s7, s4
	v_add_co_u32 v8, vcc_lo, v0, 32
	s_wait_alu 0xfffd
	v_add_co_ci_u32_e64 v9, null, 0, v1, vcc_lo
	s_branch .LBB253_12
.LBB253_11:                             ;   in Loop: Header=BB253_12 Depth=1
	s_wait_loadcnt 0xa
	v_and_b32_e32 v35, 0xff, v27
	v_lshlrev_b32_e32 v36, 21, v27
	v_lshlrev_b32_e32 v38, 17, v27
	v_lshrrev_b32_e32 v37, 2, v27
	v_lshrrev_b32_e32 v39, 6, v27
	;; [unrolled: 1-line block ×3, first 2 shown]
	v_lshl_or_b32 v36, v35, 7, v36
	v_lshl_or_b32 v35, v35, 3, v38
	v_bfe_i32 v37, v37, 0, 1
	v_bfe_i32 v39, v39, 0, 1
	;; [unrolled: 1-line block ×3, first 2 shown]
	v_and_b32_e32 v38, 0x1800180, v36
	v_bfe_u32 v36, v36, 24, 1
	v_and_b32_e32 v41, 0x1800180, v35
	v_bfe_u32 v35, v35, 24, 1
	v_and_b32_e32 v40, 0xff, v37
	v_lshrrev_b16 v42, 7, v38
	v_lshrrev_b16 v38, 8, v38
	v_cmp_ne_u16_e32 vcc_lo, 0, v36
	v_lshrrev_b16 v43, 8, v41
	v_lshrrev_b16 v41, 7, v41
	v_bfe_i32 v42, v42, 0, 1
	v_and_b32_e32 v46, 0xff, v39
	s_wait_alu 0xfffd
	v_cndmask_b32_e64 v36, 0, -1, vcc_lo
	v_cmp_ne_u16_e32 vcc_lo, 0, v38
	v_bfe_i32 v41, v41, 0, 1
	v_and_b32_e32 v44, 0xff, v42
	v_lshlrev_b16 v37, 8, v37
	v_lshlrev_b16 v36, 8, v36
	s_wait_alu 0xfffd
	v_cndmask_b32_e64 v38, 0, -1, vcc_lo
	v_cmp_ne_u16_e32 vcc_lo, 0, v35
	v_and_b32_e32 v45, 0xff, v41
	v_lshlrev_b16 v42, 8, v42
	v_or_b32_e32 v40, v40, v36
	v_lshlrev_b16 v38, 8, v38
	s_wait_alu 0xfffd
	v_cndmask_b32_e64 v35, 0, -1, vcc_lo
	v_cmp_ne_u16_e32 vcc_lo, 0, v43
	v_lshlrev_b16 v39, 8, v39
	v_lshlrev_b32_e32 v40, 16, v40
	v_or_b32_e32 v44, v44, v38
	v_lshlrev_b16 v35, 8, v35
	s_wait_alu 0xfffd
	v_cndmask_b32_e64 v43, 0, -1, vcc_lo
	v_and_b32_e32 v50, 0xff, v49
	v_lshrrev_b32_e32 v47, 16, v27
	v_and_b32_e32 v44, 0xffff, v44
	s_wait_loadcnt 0x9
	v_and_b32_e32 v25, 0xff, v25
	v_lshlrev_b16 v43, 8, v43
	v_add_nc_u32_e32 v17, 4, v17
	v_add_co_u32 v8, s4, 0x480, v8
	v_or_b32_e32 v40, v44, v40
	v_or_b32_e32 v44, v46, v35
	;; [unrolled: 1-line block ×3, first 2 shown]
	v_lshrrev_b32_e32 v46, 1, v27
	s_wait_alu 0xf1ff
	v_add_co_ci_u32_e64 v9, null, 0, v9, s4
	s_wait_loadcnt 0x7
	v_xor_b32_e32 v34, v34, v40
	v_lshlrev_b32_e32 v40, 16, v44
	v_and_b32_e32 v44, 0xffff, v45
	v_and_b32_e32 v45, 0x180, v46
	s_delay_alu instid0(VALU_DEP_4) | instskip(NEXT) | instid1(VALU_DEP_3)
	v_lshrrev_b32_e32 v46, 16, v34
	v_or_b32_e32 v40, v44, v40
	v_and_b32_e32 v44, 0xffffff00, v34
	v_lshlrev_b16 v34, 8, v34
	s_delay_alu instid0(VALU_DEP_4)
	v_and_b32_e32 v48, 0xffffff00, v46
	v_lshlrev_b16 v46, 8, v46
	s_wait_loadcnt 0x6
	v_xor_b32_e32 v33, v33, v40
	v_lshlrev_b16 v40, 8, v41
	v_sub_nc_i16 v38, v44, v38 clamp
	v_sub_nc_i16 v36, v48, v36 clamp
	;; [unrolled: 1-line block ×3, first 2 shown]
	v_and_b32_e32 v41, 0xffffff00, v33
	v_sub_nc_i16 v34, v34, v42 clamp
	v_lshlrev_b16 v42, 8, v33
	v_lshrrev_b32_e32 v44, 10, v27
	v_perm_b32 v36, v37, v36, 0xc0c0105
	v_sub_nc_i16 v37, v41, v43 clamp
	v_lshrrev_b16 v41, 8, v45
	v_perm_b32 v34, v34, v38, 0xc0c0105
	v_sub_nc_i16 v38, v42, v40 clamp
	v_lshrrev_b16 v40, 7, v45
	v_lshrrev_b32_e32 v43, 11, v27
	v_cmp_ne_u16_e32 vcc_lo, 0, v41
	v_lshrrev_b32_e32 v33, 16, v33
	v_bfe_i32 v44, v44, 0, 1
	v_bfe_i32 v40, v40, 0, 1
	v_bfe_i32 v43, v43, 0, 1
	s_wait_alu 0xfffd
	v_cndmask_b32_e64 v41, 0, -1, vcc_lo
	v_lshrrev_b32_e32 v46, 5, v27
	v_and_b32_e32 v42, 0xffffff00, v33
	v_and_b32_e32 v45, 0xff, v40
	v_lshlrev_b16 v33, 8, v33
	v_lshlrev_b16 v41, 8, v41
	;; [unrolled: 1-line block ×3, first 2 shown]
	v_and_b32_e32 v48, 0xff, v44
	v_and_b32_e32 v46, 0x180, v46
	v_sub_nc_i16 v35, v42, v35 clamp
	v_or_b32_e32 v45, v45, v41
	v_sub_nc_i16 v33, v33, v39 clamp
	v_or_b32_e32 v42, v48, v43
	v_lshrrev_b32_e32 v48, 15, v27
	v_perm_b32 v37, v38, v37, 0xc0c0105
	v_and_b32_e32 v39, 0xffff, v45
	v_lshrrev_b16 v45, 7, v46
	v_lshrrev_b16 v46, 8, v46
	v_lshlrev_b32_e32 v42, 16, v42
	v_bfe_i32 v48, v48, 0, 1
	v_perm_b32 v33, v33, v35, 0xc0c0105
	v_bfe_i32 v45, v45, 0, 1
	v_cmp_ne_u16_e32 vcc_lo, 0, v46
	v_or_b32_e32 v39, v39, v42
	v_lshlrev_b16 v48, 8, v48
	v_lshl_or_b32 v34, v36, 16, v34
	v_and_b32_e32 v42, 0xff, v45
	s_wait_alu 0xfffd
	v_cndmask_b32_e64 v46, 0, -1, vcc_lo
	s_wait_loadcnt 0x5
	v_xor_b32_e32 v32, v32, v39
	v_or_b32_e32 v38, v50, v48
	v_lshl_or_b32 v33, v33, 16, v37
	v_lshlrev_b16 v39, 8, v40
	v_lshlrev_b16 v46, 8, v46
	v_lshrrev_b32_e32 v36, 16, v32
	v_lshlrev_b32_e32 v37, 16, v38
	v_and_b32_e32 v38, 0xffffff00, v32
	v_lshlrev_b16 v32, 8, v32
	v_or_b32_e32 v35, v42, v46
	v_and_b32_e32 v40, 0xffffff00, v36
	v_lshlrev_b16 v36, 8, v36
	v_lshlrev_b16 v42, 8, v44
	v_sub_nc_i16 v32, v32, v39 clamp
	v_and_b32_e32 v35, 0xffff, v35
	v_lshrrev_b32_e32 v39, 9, v27
	v_sub_nc_i16 v38, v38, v41 clamp
	v_sub_nc_i16 v40, v40, v43 clamp
	;; [unrolled: 1-line block ×3, first 2 shown]
	v_or_b32_e32 v35, v35, v37
	v_dot4_i32_iu8 v5, v34, v5, 0 neg_lo:[1,1,0]
	v_lshl_or_b32 v34, v47, 21, v39
	v_perm_b32 v32, v32, v38, 0xc0c0105
	v_perm_b32 v36, v36, v40, 0xc0c0105
	s_wait_loadcnt 0x4
	v_xor_b32_e32 v31, v31, v35
	v_lshrrev_b32_e32 v38, 13, v27
	v_and_b32_e32 v35, 0x1800180, v34
	v_dot4_i32_iu8 v5, v33, v6, v5 neg_lo:[1,1,0]
	v_lshl_or_b32 v6, v36, 16, v32
	v_bfe_u32 v34, v34, 24, 1
	v_lshl_or_b32 v38, v47, 17, v38
	v_lshrrev_b16 v36, 7, v35
	v_lshrrev_b16 v35, 8, v35
	v_lshrrev_b32_e32 v40, 18, v27
	v_lshlrev_b16 v37, 8, v45
	v_and_b32_e32 v41, 0x1800180, v38
	v_bfe_u32 v38, v38, 24, 1
	v_cmp_ne_u16_e32 vcc_lo, 0, v35
	v_bfe_i32 v36, v36, 0, 1
	v_bfe_i32 v40, v40, 0, 1
	v_lshrrev_b16 v43, 7, v41
	v_lshrrev_b16 v41, 8, v41
	s_wait_alu 0xfffd
	v_cndmask_b32_e64 v35, 0, -1, vcc_lo
	v_cmp_ne_u16_e32 vcc_lo, 0, v34
	v_lshrrev_b32_e32 v45, 22, v27
	v_lshrrev_b32_e32 v32, 16, v31
	v_and_b32_e32 v33, 0xffffff00, v31
	v_lshlrev_b16 v31, 8, v31
	s_wait_alu 0xfffd
	v_cndmask_b32_e64 v34, 0, -1, vcc_lo
	v_cmp_ne_u16_e32 vcc_lo, 0, v41
	v_and_b32_e32 v39, 0xff, v36
	v_lshlrev_b16 v35, 8, v35
	v_and_b32_e32 v44, 0xff, v40
	v_lshlrev_b16 v34, 8, v34
	s_wait_alu 0xfffd
	v_cndmask_b32_e64 v41, 0, -1, vcc_lo
	v_cmp_ne_u16_e32 vcc_lo, 0, v38
	v_bfe_i32 v43, v43, 0, 1
	v_bfe_i32 v45, v45, 0, 1
	v_sub_nc_i16 v33, v33, v46 clamp
	v_sub_nc_i16 v31, v31, v37 clamp
	s_wait_alu 0xfffd
	v_cndmask_b32_e64 v38, 0, -1, vcc_lo
	v_and_b32_e32 v37, 0xffffff00, v32
	v_lshlrev_b16 v32, 8, v32
	v_or_b32_e32 v39, v39, v35
	v_lshlrev_b16 v42, 8, v49
	v_or_b32_e32 v44, v44, v34
	v_and_b32_e32 v46, 0xff, v43
	v_lshlrev_b16 v41, 8, v41
	v_lshlrev_b16 v38, 8, v38
	v_and_b32_e32 v47, 0xff, v45
	v_and_b32_e32 v39, 0xffff, v39
	v_lshlrev_b32_e32 v44, 16, v44
	v_sub_nc_i16 v37, v37, v48 clamp
	v_sub_nc_i16 v32, v32, v42 clamp
	v_or_b32_e32 v42, v46, v41
	v_or_b32_e32 v46, v47, v38
	;; [unrolled: 1-line block ×3, first 2 shown]
	v_perm_b32 v31, v31, v33, 0xc0c0105
	v_perm_b32 v32, v32, v37, 0xc0c0105
	v_and_b32_e32 v33, 0xffff, v42
	v_lshlrev_b32_e32 v37, 16, v46
	s_wait_loadcnt 0x3
	v_xor_b32_e32 v30, v30, v39
	v_dot4_i32_iu8 v5, v6, v7, v5 neg_lo:[1,1,0]
	v_lshl_or_b32 v31, v32, 16, v31
	v_lshlrev_b16 v36, 8, v36
	v_or_b32_e32 v6, v33, v37
	v_lshrrev_b32_e32 v33, 17, v27
	v_lshrrev_b32_e32 v37, 3, v27
	;; [unrolled: 1-line block ×3, first 2 shown]
	v_and_b32_e32 v32, 0xffffff00, v30
	v_lshlrev_b16 v30, 8, v30
	v_lshlrev_b16 v40, 8, v40
	v_and_or_b32 v33, 0x1fe00000, v37, v33
	v_and_b32_e32 v39, 0xffffff00, v7
	v_sub_nc_i16 v32, v32, v35 clamp
	v_sub_nc_i16 v30, v30, v36 clamp
	v_lshlrev_b16 v7, 8, v7
	v_and_b32_e32 v35, 0x1800180, v33
	v_dot4_i32_iu8 v0, v31, v0, v5 neg_lo:[1,1,0]
	s_wait_loadcnt 0x2
	v_xor_b32_e32 v5, v29, v6
	v_perm_b32 v6, v30, v32, 0xc0c0105
	v_sub_nc_i16 v34, v39, v34 clamp
	v_lshrrev_b16 v30, 8, v35
	v_sub_nc_i16 v7, v7, v40 clamp
	v_lshrrev_b16 v29, 7, v35
	v_and_b32_e32 v31, 0xffffff00, v5
	v_lshlrev_b16 v32, 8, v5
	v_cmp_ne_u16_e32 vcc_lo, 0, v30
	v_perm_b32 v7, v7, v34, 0xc0c0105
	v_lshlrev_b16 v34, 8, v43
	v_bfe_i32 v29, v29, 0, 1
	v_bfe_u32 v33, v33, 24, 1
	s_wait_alu 0xfffd
	v_cndmask_b32_e64 v30, 0, -1, vcc_lo
	v_lshl_or_b32 v6, v7, 16, v6
	v_sub_nc_i16 v7, v31, v41 clamp
	v_sub_nc_i16 v31, v32, v34 clamp
	v_and_b32_e32 v32, 0xff, v29
	v_lshlrev_b16 v30, 8, v30
	v_lshrrev_b32_e32 v34, 26, v27
	v_cmp_ne_u16_e32 vcc_lo, 0, v33
	v_perm_b32 v7, v31, v7, 0xc0c0105
	v_lshrrev_b32_e32 v39, 30, v27
	v_or_b32_e32 v31, v32, v30
	v_bfe_i32 v33, v34, 0, 1
	s_wait_alu 0xfffd
	v_cndmask_b32_e64 v32, 0, -1, vcc_lo
	v_lshrrev_b32_e32 v34, 21, v27
	v_lshrrev_b32_e32 v27, 31, v27
	v_bfe_i32 v39, v39, 0, 1
	v_and_b32_e32 v36, 0xff, v33
	v_lshlrev_b16 v32, 8, v32
	v_lshrrev_b16 v37, 8, v34
	v_lshrrev_b16 v34, 7, v34
	v_cmp_ne_u16_e32 vcc_lo, 0, v27
	v_lshrrev_b32_e32 v5, 16, v5
	v_or_b32_e32 v36, v36, v32
	v_bfe_i32 v37, v37, 0, 1
	v_bfe_i32 v34, v34, 0, 1
	s_wait_alu 0xfffd
	v_cndmask_b32_e64 v27, 0, -1, vcc_lo
	v_and_b32_e32 v31, 0xffff, v31
	v_lshlrev_b32_e32 v36, 16, v36
	v_lshlrev_b16 v37, 8, v37
	v_and_b32_e32 v40, 0xff, v34
	v_and_b32_e32 v41, 0xff, v39
	v_lshlrev_b16 v27, 8, v27
	v_and_b32_e32 v35, 0xffffff00, v5
	v_or_b32_e32 v31, v31, v36
	v_lshlrev_b16 v5, 8, v5
	v_lshlrev_b16 v36, 8, v45
	v_or_b32_e32 v40, v40, v37
	v_or_b32_e32 v41, v41, v27
	s_wait_loadcnt 0x1
	v_xor_b32_e32 v28, v28, v31
	v_sub_nc_i16 v31, v35, v38 clamp
	v_sub_nc_i16 v5, v5, v36 clamp
	v_and_b32_e32 v35, 0xffff, v40
	v_lshlrev_b32_e32 v36, 16, v41
	v_and_b32_e32 v38, 0xffffff00, v28
	v_lshlrev_b16 v40, 8, v28
	v_lshlrev_b16 v29, 8, v29
	v_perm_b32 v5, v5, v31, 0xc0c0105
	v_or_b32_e32 v31, v35, v36
	v_lshrrev_b32_e32 v28, 16, v28
	v_sub_nc_i16 v30, v38, v30 clamp
	v_sub_nc_i16 v29, v40, v29 clamp
	v_lshl_or_b32 v5, v5, 16, v7
	s_wait_loadcnt 0x0
	v_xor_b32_e32 v7, v26, v31
	v_and_b32_e32 v35, 0xffffff00, v28
	v_dot4_i32_iu8 v0, v6, v1, v0 neg_lo:[1,1,0]
	v_perm_b32 v1, v29, v30, 0xc0c0105
	v_lshlrev_b16 v26, 8, v28
	v_lshrrev_b32_e32 v28, 16, v7
	v_lshlrev_b16 v29, 8, v33
	v_sub_nc_i16 v6, v35, v32 clamp
	v_and_b32_e32 v30, 0xffffff00, v7
	v_lshlrev_b16 v7, 8, v7
	v_lshlrev_b16 v31, 8, v34
	v_and_b32_e32 v32, 0xffffff00, v28
	v_lshlrev_b16 v28, 8, v28
	v_lshlrev_b16 v33, 8, v39
	v_sub_nc_i16 v26, v26, v29 clamp
	v_sub_nc_i16 v29, v30, v37 clamp
	;; [unrolled: 1-line block ×5, first 2 shown]
	v_perm_b32 v6, v26, v6, 0xc0c0105
	v_dot4_i32_iu8 v0, v5, v2, v0 neg_lo:[1,1,0]
	v_perm_b32 v2, v7, v29, 0xc0c0105
	v_cmp_le_u32_e32 vcc_lo, s15, v17
	v_perm_b32 v5, v28, v27, 0xc0c0105
	v_lshl_or_b32 v1, v6, 16, v1
	v_lshrrev_b32_e32 v6, v21, v25
	s_or_b32 s13, vcc_lo, s13
	s_delay_alu instid0(VALU_DEP_3) | instskip(NEXT) | instid1(VALU_DEP_3)
	v_lshl_or_b32 v2, v5, 16, v2
	v_dot4_i32_iu8 v0, v1, v3, v0 neg_lo:[1,1,0]
	s_delay_alu instid0(VALU_DEP_3) | instskip(NEXT) | instid1(VALU_DEP_2)
	v_lshlrev_b32_e32 v1, 1, v6
	v_dot4_i32_iu8 v0, v2, v23, v0 neg_lo:[1,1,0]
	s_delay_alu instid0(VALU_DEP_2) | instskip(NEXT) | instid1(VALU_DEP_1)
	v_and_or_b32 v1, v1, 30, 1
	v_mul_lo_u32 v0, v0, v1
	v_cvt_f32_f16_e32 v1, v24
	s_delay_alu instid0(VALU_DEP_1) | instskip(NEXT) | instid1(VALU_DEP_3)
	v_mul_f32_e32 v1, v1, v4
	v_cvt_f32_i32_e32 v0, v0
	s_delay_alu instid0(VALU_DEP_1)
	v_fmac_f32_e32 v16, v1, v0
	s_and_not1_b32 exec_lo, exec_lo, s13
	s_cbranch_execz .LBB253_14
.LBB253_12:                             ; =>This Inner Loop Header: Depth=1
	s_wait_alu 0xfffe
	v_add_nc_u32_e32 v35, s7, v17
	s_getpc_b64 s[4:5]
	s_wait_alu 0xfffe
	s_sext_i32_i16 s5, s5
	s_add_co_u32 s4, s4, _ZL9iq3s_grid@rel32@lo+12
	s_wait_alu 0xfffe
	s_add_co_ci_u32 s5, s5, _ZL9iq3s_grid@rel32@hi+24
	v_mad_co_i64_i32 v[28:29], null, 0x6e, v35, s[8:9]
	s_delay_alu instid0(VALU_DEP_1) | instskip(SKIP_1) | instid1(VALU_DEP_2)
	v_add_co_u32 v0, vcc_lo, v28, v22
	s_wait_alu 0xfffd
	v_add_co_ci_u32_e64 v1, null, 0, v29, vcc_lo
	v_add_co_u32 v2, vcc_lo, v28, v18
	s_wait_alu 0xfffd
	v_add_co_ci_u32_e64 v3, null, 0, v29, vcc_lo
	s_clause 0x1
	global_load_b64 v[30:31], v[0:1], off offset:2
	global_load_u8 v26, v[2:3], off offset:66
	v_add_co_u32 v24, vcc_lo, v28, v20
	s_wait_alu 0xfffd
	v_add_co_ci_u32_e64 v25, null, 0, v29, vcc_lo
	v_add_co_u32 v32, vcc_lo, v28, v19
	s_wait_alu 0xfffd
	v_add_co_ci_u32_e64 v33, null, 0, v29, vcc_lo
	s_clause 0x2
	global_load_b128 v[4:7], v[8:9], off offset:-32
	global_load_b128 v[0:3], v[8:9], off offset:-16
	global_load_b32 v23, v[8:9], off
	s_clause 0x2
	global_load_b32 v27, v[24:25], off offset:74
	global_load_u8 v25, v[32:33], off offset:106
	global_load_u16 v24, v[28:29], off
	s_and_not1_b32 vcc_lo, exec_lo, s14
	s_wait_loadcnt 0x7
	v_and_b32_e32 v28, 0xff, v30
	s_wait_loadcnt 0x6
	v_lshlrev_b32_e32 v29, 8, v26
	v_bfe_u32 v32, v30, 8, 8
	v_lshlrev_b32_e32 v33, 7, v26
	v_bfe_u32 v34, v30, 16, 8
	v_lshlrev_b32_e32 v36, 6, v26
	v_lshrrev_b32_e32 v30, 24, v30
	v_lshlrev_b32_e32 v37, 5, v26
	v_and_b32_e32 v38, 0xff, v31
	v_lshlrev_b32_e32 v39, 4, v26
	v_bfe_u32 v40, v31, 8, 8
	v_lshlrev_b32_e32 v41, 3, v26
	v_bfe_u32 v42, v31, 16, 8
	v_lshlrev_b32_e32 v43, 2, v26
	v_lshrrev_b32_e32 v31, 24, v31
	v_lshlrev_b32_e32 v26, 1, v26
	v_and_or_b32 v28, 0x100, v29, v28
	v_and_or_b32 v29, 0x100, v33, v32
	v_and_or_b32 v32, 0x100, v36, v34
	v_and_or_b32 v30, 0x100, v37, v30
	v_and_or_b32 v33, 0x100, v39, v38
	v_and_or_b32 v26, 0x100, v26, v31
	v_and_or_b32 v34, 0x100, v41, v40
	v_and_or_b32 v36, 0x100, v43, v42
	v_lshlrev_b32_e32 v28, 2, v28
	v_lshlrev_b32_e32 v29, 2, v29
	;; [unrolled: 1-line block ×8, first 2 shown]
	s_clause 0x7
	global_load_b32 v34, v28, s[4:5]
	global_load_b32 v33, v29, s[4:5]
	;; [unrolled: 1-line block ×8, first 2 shown]
	s_wait_loadcnt 0xd
	v_cvt_f32_f16_e32 v4, v4
	s_wait_alu 0xfffe
	s_cbranch_vccnz .LBB253_11
; %bb.13:                               ;   in Loop: Header=BB253_12 Depth=1
	v_mad_co_i64_i32 v[35:36], null, 0x6e, v35, s[16:17]
	s_delay_alu instid0(VALU_DEP_1) | instskip(SKIP_1) | instid1(VALU_DEP_2)
	v_add_co_u32 v37, vcc_lo, v35, v22
	s_wait_alu 0xfffd
	v_add_co_ci_u32_e64 v38, null, 0, v36, vcc_lo
	v_add_co_u32 v39, vcc_lo, v35, v18
	s_wait_alu 0xfffd
	v_add_co_ci_u32_e64 v40, null, 0, v36, vcc_lo
	s_clause 0x1
	global_load_b64 v[37:38], v[37:38], off offset:2
	global_load_u8 v41, v[39:40], off offset:66
	v_add_co_u32 v39, vcc_lo, v35, v20
	s_wait_alu 0xfffd
	v_add_co_ci_u32_e64 v40, null, 0, v36, vcc_lo
	global_load_b32 v39, v[39:40], off offset:74
	s_wait_loadcnt 0x2
	v_and_b32_e32 v40, 0xff, v37
	s_wait_loadcnt 0x1
	v_lshlrev_b32_e32 v42, 8, v41
	v_bfe_u32 v43, v37, 8, 8
	v_lshlrev_b32_e32 v44, 7, v41
	v_bfe_u32 v45, v37, 16, 8
	v_lshlrev_b32_e32 v46, 6, v41
	v_lshrrev_b32_e32 v37, 24, v37
	v_lshlrev_b32_e32 v47, 5, v41
	v_and_b32_e32 v48, 0xff, v38
	v_lshlrev_b32_e32 v49, 4, v41
	v_bfe_u32 v50, v38, 8, 8
	v_lshlrev_b32_e32 v51, 3, v41
	v_bfe_u32 v52, v38, 16, 8
	v_lshlrev_b32_e32 v53, 2, v41
	v_lshrrev_b32_e32 v38, 24, v38
	v_lshlrev_b32_e32 v41, 1, v41
	v_and_or_b32 v40, 0x100, v42, v40
	v_and_or_b32 v42, 0x100, v44, v43
	;; [unrolled: 1-line block ×8, first 2 shown]
	v_lshlrev_b32_e32 v40, 2, v40
	v_lshlrev_b32_e32 v41, 2, v42
	;; [unrolled: 1-line block ×8, first 2 shown]
	s_clause 0x7
	global_load_b32 v40, v40, s[4:5]
	global_load_b32 v41, v41, s[4:5]
	;; [unrolled: 1-line block ×8, first 2 shown]
	v_add_co_u32 v37, vcc_lo, v35, v19
	s_wait_alu 0xfffd
	v_add_co_ci_u32_e64 v38, null, 0, v36, vcc_lo
	s_clause 0x1
	global_load_u8 v37, v[37:38], off offset:106
	global_load_u16 v35, v[35:36], off
	s_wait_loadcnt 0xa
	v_and_b32_e32 v38, 0xff, v39
	v_lshlrev_b32_e32 v48, 21, v39
	v_lshrrev_b32_e32 v36, 16, v39
	v_lshlrev_b32_e32 v50, 17, v39
	v_lshrrev_b32_e32 v51, 6, v39
	v_lshrrev_b32_e32 v52, 1, v39
	;; [unrolled: 1-line block ×13, first 2 shown]
	v_lshl_or_b32 v48, v38, 7, v48
	v_lshrrev_b32_e32 v59, 18, v39
	v_lshrrev_b32_e32 v61, 22, v39
	;; [unrolled: 1-line block ×3, first 2 shown]
	v_lshl_or_b32 v38, v38, 3, v50
	v_bfe_i32 v50, v51, 0, 1
	v_and_b32_e32 v51, 0x180, v52
	v_bfe_i32 v52, v53, 0, 1
	v_bfe_i32 v53, v54, 0, 1
	v_and_b32_e32 v54, 0x180, v55
	v_bfe_i32 v55, v56, 0, 1
	v_bfe_i32 v56, v57, 0, 1
	v_lshl_or_b32 v57, v36, 21, v58
	v_lshl_or_b32 v36, v36, 17, v60
	v_and_or_b32 v60, 0x1fe00000, v63, v62
	v_lshrrev_b16 v62, 8, v65
	v_lshrrev_b16 v63, 7, v65
	v_cmp_ne_u16_e32 vcc_lo, 0, v66
	v_and_b32_e32 v65, 0x1800180, v48
	v_bfe_u32 v48, v48, 24, 1
	v_bfe_i32 v58, v59, 0, 1
	v_bfe_i32 v59, v61, 0, 1
	;; [unrolled: 1-line block ×3, first 2 shown]
	s_wait_alu 0xfffd
	v_cndmask_b32_e64 v64, 0, -1, vcc_lo
	v_and_b32_e32 v67, 0x1800180, v38
	v_bfe_u32 v38, v38, 24, 1
	v_cmp_ne_u16_e32 vcc_lo, 0, v48
	v_lshrrev_b16 v69, 8, v51
	v_lshrrev_b16 v71, 8, v54
	v_and_b32_e32 v73, 0x1800180, v57
	v_bfe_u32 v57, v57, 24, 1
	s_wait_alu 0xfffd
	v_cndmask_b32_e64 v48, 0, -1, vcc_lo
	v_cmp_ne_u16_e32 vcc_lo, 0, v38
	v_and_b32_e32 v75, 0x1800180, v36
	v_bfe_u32 v36, v36, 24, 1
	v_and_b32_e32 v77, 0x1800180, v60
	v_bfe_u32 v60, v60, 24, 1
	s_wait_alu 0xfffd
	v_cndmask_b32_e64 v38, 0, -1, vcc_lo
	v_cmp_ne_u16_e32 vcc_lo, 0, v69
	v_lshrrev_b32_e32 v49, 2, v39
	v_lshrrev_b32_e32 v39, 30, v39
	v_lshrrev_b16 v80, 8, v65
	v_bfe_i32 v62, v62, 0, 1
	s_wait_alu 0xfffd
	v_cndmask_b32_e64 v69, 0, -1, vcc_lo
	v_cmp_ne_u16_e32 vcc_lo, 0, v71
	v_bfe_i32 v39, v39, 0, 1
	v_bfe_i32 v63, v63, 0, 1
	v_lshrrev_b16 v65, 7, v65
	v_lshrrev_b16 v81, 8, v67
	s_wait_alu 0xfffd
	v_cndmask_b32_e64 v71, 0, -1, vcc_lo
	v_cmp_ne_u16_e32 vcc_lo, 0, v57
	v_bfe_i32 v49, v49, 0, 1
	v_and_b32_e32 v79, 0xff, v39
	v_lshlrev_b16 v64, 8, v64
	v_lshrrev_b16 v67, 7, v67
	s_wait_alu 0xfffd
	v_cndmask_b32_e64 v57, 0, -1, vcc_lo
	v_cmp_ne_u16_e32 vcc_lo, 0, v36
	v_lshrrev_b16 v82, 8, v73
	v_lshlrev_b16 v62, 8, v62
	v_and_b32_e32 v85, 0xff, v63
	v_bfe_i32 v65, v65, 0, 1
	s_wait_alu 0xfffd
	v_cndmask_b32_e64 v36, 0, -1, vcc_lo
	v_cmp_ne_u16_e32 vcc_lo, 0, v60
	v_and_b32_e32 v66, 0xff, v49
	v_lshrrev_b16 v51, 7, v51
	v_lshrrev_b16 v54, 7, v54
	;; [unrolled: 1-line block ×3, first 2 shown]
	s_wait_alu 0xfffd
	v_cndmask_b32_e64 v60, 0, -1, vcc_lo
	v_cmp_ne_u16_e32 vcc_lo, 0, v80
	v_or_b32_e32 v79, v79, v64
	v_lshlrev_b16 v48, 8, v48
	v_bfe_i32 v67, v67, 0, 1
	v_or_b32_e32 v85, v85, v62
	s_wait_alu 0xfffd
	v_cndmask_b32_e64 v80, 0, -1, vcc_lo
	v_cmp_ne_u16_e32 vcc_lo, 0, v81
	v_and_b32_e32 v88, 0xff, v65
	v_and_b32_e32 v68, 0xff, v50
	v_bfe_i32 v51, v51, 0, 1
	v_lshlrev_b16 v80, 8, v80
	s_wait_alu 0xfffd
	v_cndmask_b32_e64 v81, 0, -1, vcc_lo
	v_cmp_ne_u16_e32 vcc_lo, 0, v82
	v_bfe_i32 v54, v54, 0, 1
	v_lshrrev_b16 v73, 7, v73
	v_lshrrev_b16 v75, 7, v75
	;; [unrolled: 1-line block ×3, first 2 shown]
	v_lshlrev_b16 v38, 8, v38
	s_wait_alu 0xfffd
	v_cndmask_b32_e64 v82, 0, -1, vcc_lo
	v_cmp_ne_u16_e32 vcc_lo, 0, v83
	v_lshlrev_b32_e32 v79, 16, v79
	v_or_b32_e32 v66, v66, v48
	v_and_b32_e32 v89, 0xff, v67
	v_lshlrev_b16 v81, 8, v81
	v_and_b32_e32 v85, 0xffff, v85
	v_or_b32_e32 v88, v88, v80
	v_lshlrev_b16 v52, 8, v52
	v_and_b32_e32 v70, 0xff, v53
	v_lshlrev_b16 v55, 8, v55
	v_and_b32_e32 v72, 0xff, v56
	v_lshrrev_b16 v77, 7, v77
	v_and_b32_e32 v86, 0xff, v51
	v_lshlrev_b16 v69, 8, v69
	v_and_b32_e32 v87, 0xff, v54
	v_lshlrev_b16 v71, 8, v71
	v_bfe_i32 v73, v73, 0, 1
	v_bfe_i32 v75, v75, 0, 1
	s_wait_alu 0xfffd
	v_cndmask_b32_e64 v83, 0, -1, vcc_lo
	v_cmp_ne_u16_e32 vcc_lo, 0, v84
	v_or_b32_e32 v68, v68, v38
	v_lshlrev_b32_e32 v66, 16, v66
	v_or_b32_e32 v89, v89, v81
	v_or_b32_e32 v79, v85, v79
	v_and_b32_e32 v85, 0xffff, v88
	v_and_b32_e32 v74, 0xff, v58
	;; [unrolled: 1-line block ×3, first 2 shown]
	v_or_b32_e32 v70, v70, v52
	v_or_b32_e32 v72, v72, v55
	v_lshlrev_b16 v57, 8, v57
	v_lshlrev_b16 v36, 8, v36
	v_bfe_i32 v77, v77, 0, 1
	s_wait_alu 0xfffd
	v_cndmask_b32_e64 v84, 0, -1, vcc_lo
	v_or_b32_e32 v86, v86, v69
	v_or_b32_e32 v87, v87, v71
	v_and_b32_e32 v90, 0xff, v73
	v_lshlrev_b16 v82, 8, v82
	v_and_b32_e32 v91, 0xff, v75
	v_lshlrev_b16 v83, 8, v83
	v_lshlrev_b32_e32 v68, 16, v68
	v_and_b32_e32 v88, 0xffff, v89
	v_or_b32_e32 v66, v85, v66
	v_and_b32_e32 v78, 0xff, v61
	v_lshlrev_b32_e32 v70, 16, v70
	v_lshlrev_b32_e32 v72, 16, v72
	v_lshlrev_b16 v60, 8, v60
	v_or_b32_e32 v74, v74, v57
	v_or_b32_e32 v76, v76, v36
	v_and_b32_e32 v92, 0xff, v77
	v_lshlrev_b16 v84, 8, v84
	v_and_b32_e32 v86, 0xffff, v86
	v_and_b32_e32 v87, 0xffff, v87
	v_or_b32_e32 v90, v90, v82
	v_or_b32_e32 v91, v91, v83
	;; [unrolled: 1-line block ×3, first 2 shown]
	v_lshlrev_b16 v65, 8, v65
	v_or_b32_e32 v78, v78, v60
	v_lshlrev_b32_e32 v74, 16, v74
	v_lshlrev_b32_e32 v76, 16, v76
	v_or_b32_e32 v92, v92, v84
	v_or_b32_e32 v70, v86, v70
	;; [unrolled: 1-line block ×3, first 2 shown]
	v_and_b32_e32 v86, 0xffff, v90
	v_and_b32_e32 v87, 0xffff, v91
	v_lshlrev_b16 v49, 8, v49
	v_lshlrev_b16 v67, 8, v67
	v_lshlrev_b32_e32 v78, 16, v78
	v_and_b32_e32 v89, 0xffff, v92
	v_or_b32_e32 v74, v86, v74
	v_or_b32_e32 v76, v87, v76
	v_lshlrev_b16 v50, 8, v50
	v_lshlrev_b16 v51, 8, v51
	v_or_b32_e32 v78, v89, v78
	v_lshlrev_b16 v53, 8, v53
	v_lshlrev_b16 v54, 8, v54
	;; [unrolled: 1-line block ×11, first 2 shown]
	s_wait_loadcnt 0x9
	v_xor_b32_e32 v40, v40, v66
	s_wait_loadcnt 0x8
	v_xor_b32_e32 v41, v41, v68
	;; [unrolled: 2-line block ×5, first 2 shown]
	v_lshrrev_b32_e32 v66, 16, v40
	v_and_b32_e32 v68, 0xffffff00, v40
	v_lshlrev_b16 v40, 8, v40
	v_lshrrev_b32_e32 v70, 16, v41
	v_and_b32_e32 v72, 0xffffff00, v41
	v_lshlrev_b16 v41, 8, v41
	s_wait_loadcnt 0x4
	v_xor_b32_e32 v44, v44, v76
	v_sub_nc_i16 v40, v40, v65 clamp
	v_and_b32_e32 v65, 0xffffff00, v66
	v_lshlrev_b16 v66, 8, v66
	v_lshrrev_b32_e32 v74, 16, v42
	v_and_b32_e32 v76, 0xffffff00, v42
	v_lshlrev_b16 v42, 8, v42
	v_sub_nc_i16 v68, v68, v80 clamp
	v_sub_nc_i16 v41, v41, v67 clamp
	v_and_b32_e32 v67, 0xffffff00, v70
	v_lshlrev_b16 v70, 8, v70
	v_sub_nc_i16 v48, v65, v48 clamp
	v_sub_nc_i16 v49, v66, v49 clamp
	s_wait_loadcnt 0x3
	v_xor_b32_e32 v45, v45, v78
	s_wait_loadcnt 0x2
	v_xor_b32_e32 v47, v47, v79
	v_lshrrev_b32_e32 v78, 16, v46
	v_and_b32_e32 v79, 0xffffff00, v46
	v_lshlrev_b16 v46, 8, v46
	v_sub_nc_i16 v72, v72, v81 clamp
	v_sub_nc_i16 v42, v42, v51 clamp
	v_and_b32_e32 v51, 0xffffff00, v74
	v_lshlrev_b16 v74, 8, v74
	v_perm_b32 v40, v40, v68, 0xc0c0105
	v_sub_nc_i16 v38, v67, v38 clamp
	v_sub_nc_i16 v50, v70, v50 clamp
	v_perm_b32 v48, v49, v48, 0xc0c0105
	v_lshrrev_b32_e32 v85, 16, v43
	v_and_b32_e32 v86, 0xffffff00, v43
	v_lshlrev_b16 v43, 8, v43
	v_lshrrev_b32_e32 v87, 16, v44
	v_and_b32_e32 v88, 0xffffff00, v44
	v_lshlrev_b16 v44, 8, v44
	v_sub_nc_i16 v69, v76, v69 clamp
	v_sub_nc_i16 v46, v46, v54 clamp
	v_and_b32_e32 v54, 0xffffff00, v78
	v_lshlrev_b16 v76, 8, v78
	v_perm_b32 v41, v41, v72, 0xc0c0105
	v_sub_nc_i16 v51, v51, v52 clamp
	v_sub_nc_i16 v52, v74, v53 clamp
	v_perm_b32 v38, v50, v38, 0xc0c0105
	v_lshl_or_b32 v40, v48, 16, v40
	v_sub_nc_i16 v71, v79, v71 clamp
	v_sub_nc_i16 v43, v43, v73 clamp
	v_and_b32_e32 v73, 0xffffff00, v85
	v_lshlrev_b16 v79, 8, v85
	v_sub_nc_i16 v80, v88, v83 clamp
	v_sub_nc_i16 v44, v44, v75 clamp
	v_perm_b32 v42, v42, v69, 0xc0c0105
	v_sub_nc_i16 v49, v54, v55 clamp
	v_sub_nc_i16 v53, v76, v56 clamp
	v_perm_b32 v51, v52, v51, 0xc0c0105
	v_lshl_or_b32 v38, v38, 16, v41
	v_dot4_i32_iu8 v40, v40, v5, 0 neg_lo:[1,1,0]
	v_lshrrev_b32_e32 v89, 16, v45
	v_and_b32_e32 v90, 0xffffff00, v45
	v_lshlrev_b16 v45, 8, v45
	v_sub_nc_i16 v78, v86, v82 clamp
	v_and_b32_e32 v75, 0xffffff00, v87
	v_lshlrev_b16 v81, 8, v87
	v_perm_b32 v46, v46, v71, 0xc0c0105
	v_sub_nc_i16 v48, v73, v57 clamp
	v_sub_nc_i16 v50, v79, v58 clamp
	v_perm_b32 v41, v44, v80, 0xc0c0105
	v_perm_b32 v44, v53, v49, 0xc0c0105
	v_lshl_or_b32 v42, v51, 16, v42
	v_dot4_i32_iu8 v38, v38, v6, v40 neg_lo:[1,1,0]
	v_lshrrev_b32_e32 v91, 16, v47
	v_and_b32_e32 v92, 0xffffff00, v47
	v_lshlrev_b16 v47, 8, v47
	v_sub_nc_i16 v45, v45, v77 clamp
	v_and_b32_e32 v77, 0xffffff00, v89
	v_lshlrev_b16 v83, 8, v89
	v_perm_b32 v43, v43, v78, 0xc0c0105
	v_sub_nc_i16 v36, v75, v36 clamp
	v_sub_nc_i16 v40, v81, v59 clamp
	v_perm_b32 v48, v50, v48, 0xc0c0105
	v_lshl_or_b32 v44, v44, 16, v46
	v_dot4_i32_iu8 v38, v42, v7, v38 neg_lo:[1,1,0]
	v_sub_nc_i16 v82, v90, v84 clamp
	v_sub_nc_i16 v47, v47, v63 clamp
	v_and_b32_e32 v63, 0xffffff00, v91
	v_lshlrev_b16 v84, 8, v91
	v_sub_nc_i16 v42, v77, v60 clamp
	v_sub_nc_i16 v46, v83, v61 clamp
	v_perm_b32 v36, v40, v36, 0xc0c0105
	v_lshl_or_b32 v40, v48, 16, v43
	v_dot4_i32_iu8 v38, v44, v0, v38 neg_lo:[1,1,0]
	v_sub_nc_i16 v62, v92, v62 clamp
	v_perm_b32 v45, v45, v82, 0xc0c0105
	v_sub_nc_i16 v43, v63, v64 clamp
	v_sub_nc_i16 v39, v84, v39 clamp
	v_perm_b32 v42, v46, v42, 0xc0c0105
	v_lshl_or_b32 v36, v36, 16, v41
	v_dot4_i32_iu8 v38, v40, v1, v38 neg_lo:[1,1,0]
	v_perm_b32 v40, v47, v62, 0xc0c0105
	v_perm_b32 v39, v39, v43, 0xc0c0105
	v_lshl_or_b32 v41, v42, 16, v45
	s_wait_loadcnt 0x1
	v_lshrrev_b32_e32 v37, v21, v37
	v_dot4_i32_iu8 v36, v36, v2, v38 neg_lo:[1,1,0]
	s_wait_loadcnt 0x0
	v_cvt_f32_f16_e32 v35, v35
	v_lshl_or_b32 v38, v39, 16, v40
	v_lshlrev_b32_e32 v37, 1, v37
	v_dot4_i32_iu8 v36, v41, v3, v36 neg_lo:[1,1,0]
	s_delay_alu instid0(VALU_DEP_4) | instskip(NEXT) | instid1(VALU_DEP_3)
	v_mul_f32_e32 v35, v4, v35
	v_and_or_b32 v37, v37, 30, 1
	s_delay_alu instid0(VALU_DEP_3) | instskip(NEXT) | instid1(VALU_DEP_1)
	v_dot4_i32_iu8 v36, v38, v23, v36 neg_lo:[1,1,0]
	v_mul_lo_u32 v36, v36, v37
	s_delay_alu instid0(VALU_DEP_1) | instskip(NEXT) | instid1(VALU_DEP_1)
	v_cvt_f32_i32_e32 v36, v36
	v_fmac_f32_e32 v15, v35, v36
	s_branch .LBB253_11
.LBB253_14:
	s_or_b32 exec_lo, exec_lo, s13
.LBB253_15:
	s_delay_alu instid0(SALU_CYCLE_1)
	s_or_b32 exec_lo, exec_lo, s18
	s_load_b32 s4, s[0:1], 0x30
	s_wait_loadcnt 0x0
	; wave barrier
	global_inv scope:SCOPE_SE
	s_mov_b32 s5, exec_lo
	v_cmpx_eq_u32_e32 0, v13
	s_cbranch_execz .LBB253_43
; %bb.16:
	v_mbcnt_lo_u32_b32 v1, -1, 0
	s_delay_alu instid0(VALU_DEP_1) | instskip(SKIP_2) | instid1(VALU_DEP_3)
	v_xor_b32_e32 v0, 16, v1
	v_xor_b32_e32 v3, 8, v1
	;; [unrolled: 1-line block ×3, first 2 shown]
	v_cmp_gt_i32_e32 vcc_lo, 32, v0
	s_wait_alu 0xfffd
	v_cndmask_b32_e32 v0, v1, v0, vcc_lo
	v_cmp_gt_i32_e32 vcc_lo, 32, v3
	s_wait_alu 0xfffd
	v_cndmask_b32_e32 v3, v1, v3, vcc_lo
	v_cmp_gt_i32_e32 vcc_lo, 32, v4
	s_delay_alu instid0(VALU_DEP_2)
	v_lshlrev_b32_e32 v3, 2, v3
	v_lshlrev_b32_e32 v0, 2, v0
	s_wait_alu 0xfffd
	v_cndmask_b32_e32 v4, v1, v4, vcc_lo
	ds_bpermute_b32 v2, v0, v16
	s_wait_dscnt 0x0
	v_add_f32_e32 v2, v16, v2
	ds_bpermute_b32 v5, v3, v2
	s_wait_dscnt 0x0
	v_add_f32_e32 v2, v2, v5
	v_xor_b32_e32 v5, 2, v1
	s_delay_alu instid0(VALU_DEP_1) | instskip(SKIP_2) | instid1(VALU_DEP_1)
	v_cmp_gt_i32_e32 vcc_lo, 32, v5
	s_wait_alu 0xfffd
	v_cndmask_b32_e32 v5, v1, v5, vcc_lo
	v_lshlrev_b32_e32 v5, 2, v5
	v_lshlrev_b32_e32 v4, 2, v4
	ds_bpermute_b32 v6, v4, v2
	s_wait_dscnt 0x0
	v_add_f32_e32 v2, v2, v6
	v_xor_b32_e32 v6, 1, v1
	ds_bpermute_b32 v7, v5, v2
	v_cmp_gt_i32_e32 vcc_lo, 32, v6
	s_wait_alu 0xfffd
	v_cndmask_b32_e32 v1, v1, v6, vcc_lo
	v_cmp_ne_u32_e32 vcc_lo, 1, v14
	s_delay_alu instid0(VALU_DEP_2)
	v_lshlrev_b32_e32 v6, 2, v1
	s_wait_dscnt 0x0
	v_add_f32_e32 v1, v2, v7
	ds_bpermute_b32 v2, v6, v1
	s_cbranch_vccnz .LBB253_18
; %bb.17:
	ds_bpermute_b32 v0, v0, v15
	s_wait_dscnt 0x0
	v_add_f32_e32 v0, v15, v0
	ds_bpermute_b32 v3, v3, v0
	s_wait_dscnt 0x0
	v_add_f32_e32 v0, v0, v3
	ds_bpermute_b32 v3, v4, v0
	s_wait_dscnt 0x0
	v_add_f32_e32 v0, v0, v3
	ds_bpermute_b32 v3, v5, v0
	s_wait_dscnt 0x0
	v_add_f32_e32 v0, v0, v3
	ds_bpermute_b32 v3, v6, v0
	s_wait_dscnt 0x0
	v_add_f32_e32 v15, v0, v3
.LBB253_18:
	v_cmp_eq_u32_e32 vcc_lo, 0, v10
	s_and_b32 exec_lo, exec_lo, vcc_lo
	s_cbranch_execz .LBB253_43
; %bb.19:
	s_wait_dscnt 0x0
	v_add_f32_e32 v0, v1, v2
	v_cmp_ne_u32_e32 vcc_lo, 1, v14
	s_delay_alu instid0(VALU_DEP_2) | instskip(NEXT) | instid1(VALU_DEP_1)
	v_add_f32_e32 v1, v12, v0
	v_cndmask_b32_e64 v0, v0, v1, s2
	s_cbranch_vccnz .LBB253_42
; %bb.20:
	v_add_f32_e32 v1, v11, v15
	s_wait_kmcnt 0x0
	s_cmp_lt_i32 s4, 2
	s_mov_b32 s2, 0
	s_delay_alu instid0(VALU_DEP_1)
	v_cndmask_b32_e64 v1, v15, v1, s3
	s_cbranch_scc1 .LBB253_25
; %bb.21:
	s_cmp_gt_i32 s4, 2
	s_cbranch_scc0 .LBB253_26
; %bb.22:
	s_cmp_eq_u32 s4, 3
	s_cbranch_scc0 .LBB253_27
; %bb.23:
	v_max_num_f32_e32 v2, v1, v1
	s_mov_b32 s3, 0xc0e00000
	s_delay_alu instid0(VALU_DEP_1) | instskip(NEXT) | instid1(VALU_DEP_1)
	v_min_num_f32_e32 v2, 0x40e00000, v2
	v_mul_f32_e32 v3, 0xbfd9db23, v2
	s_delay_alu instid0(VALU_DEP_1) | instskip(NEXT) | instid1(VALU_DEP_1)
	v_mul_f32_e32 v4, 0x3fb8aa3b, v3
	v_fma_f32 v5, 0x3fb8aa3b, v3, -v4
	v_rndne_f32_e32 v6, v4
	s_delay_alu instid0(VALU_DEP_1) | instskip(NEXT) | instid1(VALU_DEP_1)
	v_dual_fmamk_f32 v5, v3, 0x32a5705f, v5 :: v_dual_sub_f32 v4, v4, v6
	v_add_f32_e32 v4, v4, v5
	v_cvt_i32_f32_e32 v5, v6
	v_cmp_ngt_f32_e32 vcc_lo, 0xc2ce8ed0, v3
	s_delay_alu instid0(VALU_DEP_3) | instskip(NEXT) | instid1(TRANS32_DEP_1)
	v_exp_f32_e32 v4, v4
	v_ldexp_f32 v4, v4, v5
	s_wait_alu 0xfffd
	s_delay_alu instid0(VALU_DEP_1) | instskip(SKIP_2) | instid1(VALU_DEP_2)
	v_cndmask_b32_e32 v4, 0, v4, vcc_lo
	v_cmp_nlt_f32_e32 vcc_lo, 0x42b17218, v3
	s_wait_alu 0xfffd
	v_cndmask_b32_e32 v3, 0x7f800000, v4, vcc_lo
	s_delay_alu instid0(VALU_DEP_1) | instskip(NEXT) | instid1(VALU_DEP_1)
	v_add_f32_e32 v3, 1.0, v3
	v_div_scale_f32 v4, null, v3, v3, v2
	v_div_scale_f32 v7, vcc_lo, v2, v3, v2
	s_delay_alu instid0(VALU_DEP_2) | instskip(NEXT) | instid1(TRANS32_DEP_1)
	v_rcp_f32_e32 v5, v4
	v_fma_f32 v6, -v4, v5, 1.0
	s_delay_alu instid0(VALU_DEP_1) | instskip(NEXT) | instid1(VALU_DEP_1)
	v_fmac_f32_e32 v5, v6, v5
	v_mul_f32_e32 v6, v7, v5
	s_delay_alu instid0(VALU_DEP_1) | instskip(NEXT) | instid1(VALU_DEP_1)
	v_fma_f32 v8, -v4, v6, v7
	v_fmac_f32_e32 v6, v8, v5
	s_delay_alu instid0(VALU_DEP_1) | instskip(SKIP_1) | instid1(VALU_DEP_1)
	v_fma_f32 v4, -v4, v6, v7
	s_wait_alu 0xfffd
	v_div_fmas_f32 v4, v4, v5, v6
	s_delay_alu instid0(VALU_DEP_1) | instskip(SKIP_2) | instid1(VALU_DEP_1)
	v_div_fixup_f32 v2, v4, v3, v2
	v_max_num_f32_e32 v7, v0, v0
	s_wait_alu 0xfffe
	v_minmax_num_f32 v5, v7, 0x40e00000, s3
	s_mov_b32 s3, 0
	s_delay_alu instid0(VALU_DEP_1) | instskip(NEXT) | instid1(VALU_DEP_1)
	v_add_f32_e32 v3, 1.0, v5
	v_mul_f32_e32 v2, v3, v2
	s_branch .LBB253_28
.LBB253_24:
                                        ; implicit-def: $sgpr29
	s_clause 0x1
	s_load_b32 s30, s[0:1], 0x50
	s_load_b32 s28, s[0:1], 0x78
	s_branch .LBB253_2
.LBB253_25:
	s_mov_b32 s3, 0
                                        ; implicit-def: $vgpr2
	s_cbranch_execnz .LBB253_32
	s_branch .LBB253_33
.LBB253_26:
	s_mov_b32 s5, -1
	s_mov_b32 s3, 0
                                        ; implicit-def: $vgpr2
	s_branch .LBB253_29
.LBB253_27:
	s_mov_b32 s3, -1
                                        ; implicit-def: $vgpr2
.LBB253_28:
	s_mov_b32 s5, 0
.LBB253_29:
	s_wait_alu 0xfffe
	s_and_b32 vcc_lo, exec_lo, s5
	s_wait_alu 0xfffe
	s_cbranch_vccz .LBB253_31
; %bb.30:
	v_mul_f32_e32 v2, 0xbfb8aa3b, v1
	v_cmp_nlt_f32_e32 vcc_lo, 0x42ce8ed0, v1
	s_delay_alu instid0(VALU_DEP_2) | instskip(SKIP_1) | instid1(VALU_DEP_2)
	v_rndne_f32_e32 v3, v2
	v_fma_f32 v4, 0xbfb8aa3b, v1, -v2
	v_sub_f32_e32 v2, v2, v3
	s_delay_alu instid0(VALU_DEP_2) | instskip(SKIP_1) | instid1(VALU_DEP_2)
	v_fmamk_f32 v4, v1, 0xb2a5705f, v4
	v_cvt_i32_f32_e32 v3, v3
	v_add_f32_e32 v2, v2, v4
	s_delay_alu instid0(VALU_DEP_1) | instskip(NEXT) | instid1(TRANS32_DEP_1)
	v_exp_f32_e32 v2, v2
	v_ldexp_f32 v2, v2, v3
	s_wait_alu 0xfffd
	s_delay_alu instid0(VALU_DEP_1) | instskip(SKIP_2) | instid1(VALU_DEP_2)
	v_cndmask_b32_e32 v2, 0, v2, vcc_lo
	v_cmp_ngt_f32_e32 vcc_lo, 0xc2b17218, v1
	s_wait_alu 0xfffd
	v_cndmask_b32_e32 v2, 0x7f800000, v2, vcc_lo
	s_delay_alu instid0(VALU_DEP_1) | instskip(NEXT) | instid1(VALU_DEP_1)
	v_add_f32_e32 v2, 1.0, v2
	v_div_scale_f32 v3, null, v2, v2, v1
	s_delay_alu instid0(VALU_DEP_1) | instskip(NEXT) | instid1(TRANS32_DEP_1)
	v_rcp_f32_e32 v4, v3
	v_fma_f32 v5, -v3, v4, 1.0
	s_delay_alu instid0(VALU_DEP_1) | instskip(SKIP_1) | instid1(VALU_DEP_1)
	v_fmac_f32_e32 v4, v5, v4
	v_div_scale_f32 v5, vcc_lo, v1, v2, v1
	v_mul_f32_e32 v6, v5, v4
	s_delay_alu instid0(VALU_DEP_1) | instskip(NEXT) | instid1(VALU_DEP_1)
	v_fma_f32 v7, -v3, v6, v5
	v_fmac_f32_e32 v6, v7, v4
	s_delay_alu instid0(VALU_DEP_1) | instskip(SKIP_1) | instid1(VALU_DEP_1)
	v_fma_f32 v3, -v3, v6, v5
	s_wait_alu 0xfffd
	v_div_fmas_f32 v3, v3, v4, v6
	s_delay_alu instid0(VALU_DEP_1) | instskip(NEXT) | instid1(VALU_DEP_1)
	v_div_fixup_f32 v2, v3, v2, v1
	v_mul_f32_e32 v2, v0, v2
.LBB253_31:
	s_branch .LBB253_33
.LBB253_32:
	s_cmp_lg_u32 s4, 1
	s_mov_b32 s2, -1
	s_cselect_b32 s3, -1, 0
.LBB253_33:
	s_wait_alu 0xfffe
	s_and_not1_b32 vcc_lo, exec_lo, s3
	s_wait_alu 0xfffe
	s_cbranch_vccz .LBB253_35
; %bb.34:
	s_and_not1_b32 vcc_lo, exec_lo, s2
	s_wait_alu 0xfffe
	s_cbranch_vccz .LBB253_36
	s_branch .LBB253_41
.LBB253_35:
	v_mul_f32_e32 v2, v1, v0
	s_cbranch_execnz .LBB253_41
.LBB253_36:
	v_mul_f32_e32 v2, 0x3d372713, v1
	v_mul_f32_e32 v3, 0x3f4c422a, v1
	s_delay_alu instid0(VALU_DEP_2) | instskip(NEXT) | instid1(VALU_DEP_1)
	v_fma_f32 v2, v1, v2, 1.0
	v_mul_f32_e32 v2, v3, v2
                                        ; implicit-def: $vgpr3
	s_delay_alu instid0(VALU_DEP_1)
	v_cmp_ngt_f32_e64 s2, 0x3f200000, |v2|
	s_and_saveexec_b32 s3, s2
	s_wait_alu 0xfffe
	s_xor_b32 s2, exec_lo, s3
	s_cbranch_execz .LBB253_38
; %bb.37:
	v_add_f32_e64 v3, |v2|, |v2|
	s_delay_alu instid0(VALU_DEP_1) | instskip(SKIP_1) | instid1(VALU_DEP_2)
	v_mul_f32_e32 v4, 0x3fb8aa3b, v3
	v_cmp_ngt_f32_e32 vcc_lo, 0xc2ce8ed0, v3
	v_rndne_f32_e32 v5, v4
	v_fma_f32 v6, 0x3fb8aa3b, v3, -v4
	s_delay_alu instid0(VALU_DEP_2) | instskip(NEXT) | instid1(VALU_DEP_2)
	v_sub_f32_e32 v4, v4, v5
	v_fmamk_f32 v6, v3, 0x32a5705f, v6
	v_cvt_i32_f32_e32 v5, v5
	s_delay_alu instid0(VALU_DEP_2) | instskip(NEXT) | instid1(VALU_DEP_1)
	v_add_f32_e32 v4, v4, v6
	v_exp_f32_e32 v4, v4
	s_delay_alu instid0(TRANS32_DEP_1) | instskip(SKIP_1) | instid1(VALU_DEP_1)
	v_ldexp_f32 v4, v4, v5
	s_wait_alu 0xfffd
	v_cndmask_b32_e32 v4, 0, v4, vcc_lo
	v_cmp_nlt_f32_e32 vcc_lo, 0x42b17218, v3
	s_wait_alu 0xfffd
	s_delay_alu instid0(VALU_DEP_2) | instskip(NEXT) | instid1(VALU_DEP_1)
	v_cndmask_b32_e32 v3, 0x7f800000, v4, vcc_lo
	v_add_f32_e32 v3, 1.0, v3
	s_delay_alu instid0(VALU_DEP_1) | instskip(NEXT) | instid1(TRANS32_DEP_1)
	v_rcp_f32_e32 v3, v3
	v_fma_f32 v3, v3, -2.0, 1.0
.LBB253_38:
	s_wait_alu 0xfffe
	s_and_not1_saveexec_b32 s2, s2
	s_cbranch_execz .LBB253_40
; %bb.39:
	v_mul_f32_e32 v3, v2, v2
	s_mov_b32 s3, 0xbbbac73d
	s_wait_alu 0xfffe
	s_delay_alu instid0(VALU_DEP_1) | instskip(NEXT) | instid1(VALU_DEP_1)
	v_fmaak_f32 v4, s3, v3, 0x3ca908c9
	v_fmaak_f32 v4, v3, v4, 0xbd5c1c4e
	s_delay_alu instid0(VALU_DEP_1) | instskip(NEXT) | instid1(VALU_DEP_1)
	v_fmaak_f32 v4, v3, v4, 0x3e088382
	v_fmaak_f32 v4, v3, v4, 0xbeaaaa99
	s_delay_alu instid0(VALU_DEP_1) | instskip(NEXT) | instid1(VALU_DEP_1)
	v_mul_f32_e64 v4, |v2|, v4
	v_fma_f32 v3, v3, v4, |v2|
.LBB253_40:
	s_wait_alu 0xfffe
	s_or_b32 exec_lo, exec_lo, s2
	s_delay_alu instid0(VALU_DEP_1) | instskip(NEXT) | instid1(VALU_DEP_1)
	v_bfi_b32 v2, 0x7fffffff, v3, v2
	v_dual_mul_f32 v1, 0.5, v1 :: v_dual_add_f32 v2, 1.0, v2
	s_delay_alu instid0(VALU_DEP_1) | instskip(NEXT) | instid1(VALU_DEP_1)
	v_mul_f32_e32 v1, v1, v2
	v_mul_f32_e32 v2, v0, v1
.LBB253_41:
	s_delay_alu instid0(VALU_DEP_1)
	v_mov_b32_e32 v0, v2
.LBB253_42:
	s_load_b64 s[0:1], s[0:1], 0x38
	s_mul_i32 s2, s6, s27
	s_wait_kmcnt 0x0
	s_mul_i32 s3, s26, s21
	s_wait_alu 0xfffe
	s_add_co_i32 s2, s2, ttmp9
	v_lshlrev_b32_e32 v1, 2, v10
	s_wait_alu 0xfffe
	s_add_co_i32 s2, s2, s3
	s_mov_b32 s3, 0
	s_wait_alu 0xfffe
	s_lshl_b64 s[2:3], s[2:3], 2
	s_wait_alu 0xfffe
	s_add_nc_u64 s[0:1], s[0:1], s[2:3]
	global_store_b32 v1, v0, s[0:1]
.LBB253_43:
	s_endpgm
	.section	.rodata,"a",@progbits
	.p2align	6, 0x0
	.amdhsa_kernel _ZL13mul_mat_vec_qIL9ggml_type21ELi1ELb1ELb1EEvPKvS2_PKi31ggml_cuda_mm_fusion_args_devicePfj15HIP_vector_typeIjLj3EEjjjS8_jjjS8_jjjj
		.amdhsa_group_segment_fixed_size 0
		.amdhsa_private_segment_fixed_size 0
		.amdhsa_kernarg_size 144
		.amdhsa_user_sgpr_count 2
		.amdhsa_user_sgpr_dispatch_ptr 0
		.amdhsa_user_sgpr_queue_ptr 0
		.amdhsa_user_sgpr_kernarg_segment_ptr 1
		.amdhsa_user_sgpr_dispatch_id 0
		.amdhsa_user_sgpr_private_segment_size 0
		.amdhsa_wavefront_size32 1
		.amdhsa_uses_dynamic_stack 0
		.amdhsa_enable_private_segment 0
		.amdhsa_system_sgpr_workgroup_id_x 1
		.amdhsa_system_sgpr_workgroup_id_y 1
		.amdhsa_system_sgpr_workgroup_id_z 1
		.amdhsa_system_sgpr_workgroup_info 0
		.amdhsa_system_vgpr_workitem_id 1
		.amdhsa_next_free_vgpr 93
		.amdhsa_next_free_sgpr 38
		.amdhsa_reserve_vcc 1
		.amdhsa_float_round_mode_32 0
		.amdhsa_float_round_mode_16_64 0
		.amdhsa_float_denorm_mode_32 3
		.amdhsa_float_denorm_mode_16_64 3
		.amdhsa_fp16_overflow 0
		.amdhsa_workgroup_processor_mode 1
		.amdhsa_memory_ordered 1
		.amdhsa_forward_progress 1
		.amdhsa_inst_pref_size 62
		.amdhsa_round_robin_scheduling 0
		.amdhsa_exception_fp_ieee_invalid_op 0
		.amdhsa_exception_fp_denorm_src 0
		.amdhsa_exception_fp_ieee_div_zero 0
		.amdhsa_exception_fp_ieee_overflow 0
		.amdhsa_exception_fp_ieee_underflow 0
		.amdhsa_exception_fp_ieee_inexact 0
		.amdhsa_exception_int_div_zero 0
	.end_amdhsa_kernel
	.section	.text._ZL13mul_mat_vec_qIL9ggml_type21ELi1ELb1ELb1EEvPKvS2_PKi31ggml_cuda_mm_fusion_args_devicePfj15HIP_vector_typeIjLj3EEjjjS8_jjjS8_jjjj,"axG",@progbits,_ZL13mul_mat_vec_qIL9ggml_type21ELi1ELb1ELb1EEvPKvS2_PKi31ggml_cuda_mm_fusion_args_devicePfj15HIP_vector_typeIjLj3EEjjjS8_jjjS8_jjjj,comdat
.Lfunc_end253:
	.size	_ZL13mul_mat_vec_qIL9ggml_type21ELi1ELb1ELb1EEvPKvS2_PKi31ggml_cuda_mm_fusion_args_devicePfj15HIP_vector_typeIjLj3EEjjjS8_jjjS8_jjjj, .Lfunc_end253-_ZL13mul_mat_vec_qIL9ggml_type21ELi1ELb1ELb1EEvPKvS2_PKi31ggml_cuda_mm_fusion_args_devicePfj15HIP_vector_typeIjLj3EEjjjS8_jjjS8_jjjj
                                        ; -- End function
	.set _ZL13mul_mat_vec_qIL9ggml_type21ELi1ELb1ELb1EEvPKvS2_PKi31ggml_cuda_mm_fusion_args_devicePfj15HIP_vector_typeIjLj3EEjjjS8_jjjS8_jjjj.num_vgpr, 93
	.set _ZL13mul_mat_vec_qIL9ggml_type21ELi1ELb1ELb1EEvPKvS2_PKi31ggml_cuda_mm_fusion_args_devicePfj15HIP_vector_typeIjLj3EEjjjS8_jjjS8_jjjj.num_agpr, 0
	.set _ZL13mul_mat_vec_qIL9ggml_type21ELi1ELb1ELb1EEvPKvS2_PKi31ggml_cuda_mm_fusion_args_devicePfj15HIP_vector_typeIjLj3EEjjjS8_jjjS8_jjjj.numbered_sgpr, 38
	.set _ZL13mul_mat_vec_qIL9ggml_type21ELi1ELb1ELb1EEvPKvS2_PKi31ggml_cuda_mm_fusion_args_devicePfj15HIP_vector_typeIjLj3EEjjjS8_jjjS8_jjjj.num_named_barrier, 0
	.set _ZL13mul_mat_vec_qIL9ggml_type21ELi1ELb1ELb1EEvPKvS2_PKi31ggml_cuda_mm_fusion_args_devicePfj15HIP_vector_typeIjLj3EEjjjS8_jjjS8_jjjj.private_seg_size, 0
	.set _ZL13mul_mat_vec_qIL9ggml_type21ELi1ELb1ELb1EEvPKvS2_PKi31ggml_cuda_mm_fusion_args_devicePfj15HIP_vector_typeIjLj3EEjjjS8_jjjS8_jjjj.uses_vcc, 1
	.set _ZL13mul_mat_vec_qIL9ggml_type21ELi1ELb1ELb1EEvPKvS2_PKi31ggml_cuda_mm_fusion_args_devicePfj15HIP_vector_typeIjLj3EEjjjS8_jjjS8_jjjj.uses_flat_scratch, 0
	.set _ZL13mul_mat_vec_qIL9ggml_type21ELi1ELb1ELb1EEvPKvS2_PKi31ggml_cuda_mm_fusion_args_devicePfj15HIP_vector_typeIjLj3EEjjjS8_jjjS8_jjjj.has_dyn_sized_stack, 0
	.set _ZL13mul_mat_vec_qIL9ggml_type21ELi1ELb1ELb1EEvPKvS2_PKi31ggml_cuda_mm_fusion_args_devicePfj15HIP_vector_typeIjLj3EEjjjS8_jjjS8_jjjj.has_recursion, 0
	.set _ZL13mul_mat_vec_qIL9ggml_type21ELi1ELb1ELb1EEvPKvS2_PKi31ggml_cuda_mm_fusion_args_devicePfj15HIP_vector_typeIjLj3EEjjjS8_jjjS8_jjjj.has_indirect_call, 0
	.section	.AMDGPU.csdata,"",@progbits
; Kernel info:
; codeLenInByte = 7872
; TotalNumSgprs: 40
; NumVgprs: 93
; ScratchSize: 0
; MemoryBound: 0
; FloatMode: 240
; IeeeMode: 1
; LDSByteSize: 0 bytes/workgroup (compile time only)
; SGPRBlocks: 0
; VGPRBlocks: 11
; NumSGPRsForWavesPerEU: 40
; NumVGPRsForWavesPerEU: 93
; Occupancy: 16
; WaveLimiterHint : 0
; COMPUTE_PGM_RSRC2:SCRATCH_EN: 0
; COMPUTE_PGM_RSRC2:USER_SGPR: 2
; COMPUTE_PGM_RSRC2:TRAP_HANDLER: 0
; COMPUTE_PGM_RSRC2:TGID_X_EN: 1
; COMPUTE_PGM_RSRC2:TGID_Y_EN: 1
; COMPUTE_PGM_RSRC2:TGID_Z_EN: 1
; COMPUTE_PGM_RSRC2:TIDIG_COMP_CNT: 1
	.section	.text._ZL13mul_mat_vec_qIL9ggml_type21ELi1ELb0ELb1EEvPKvS2_PKi31ggml_cuda_mm_fusion_args_devicePfj15HIP_vector_typeIjLj3EEjjjS8_jjjS8_jjjj,"axG",@progbits,_ZL13mul_mat_vec_qIL9ggml_type21ELi1ELb0ELb1EEvPKvS2_PKi31ggml_cuda_mm_fusion_args_devicePfj15HIP_vector_typeIjLj3EEjjjS8_jjjS8_jjjj,comdat
	.globl	_ZL13mul_mat_vec_qIL9ggml_type21ELi1ELb0ELb1EEvPKvS2_PKi31ggml_cuda_mm_fusion_args_devicePfj15HIP_vector_typeIjLj3EEjjjS8_jjjS8_jjjj ; -- Begin function _ZL13mul_mat_vec_qIL9ggml_type21ELi1ELb0ELb1EEvPKvS2_PKi31ggml_cuda_mm_fusion_args_devicePfj15HIP_vector_typeIjLj3EEjjjS8_jjjS8_jjjj
	.p2align	8
	.type	_ZL13mul_mat_vec_qIL9ggml_type21ELi1ELb0ELb1EEvPKvS2_PKi31ggml_cuda_mm_fusion_args_devicePfj15HIP_vector_typeIjLj3EEjjjS8_jjjS8_jjjj,@function
_ZL13mul_mat_vec_qIL9ggml_type21ELi1ELb0ELb1EEvPKvS2_PKi31ggml_cuda_mm_fusion_args_devicePfj15HIP_vector_typeIjLj3EEjjjS8_jjjS8_jjjj: ; @_ZL13mul_mat_vec_qIL9ggml_type21ELi1ELb0ELb1EEvPKvS2_PKi31ggml_cuda_mm_fusion_args_devicePfj15HIP_vector_typeIjLj3EEjjjS8_jjjS8_jjjj
; %bb.0:
	s_clause 0x1
	s_load_b64 s[2:3], s[0:1], 0x10
	s_load_b128 s[8:11], s[0:1], 0x40
	s_and_b32 s15, ttmp7, 0xffff
	s_wait_kmcnt 0x0
	s_cmp_lg_u64 s[2:3], 0
	s_cselect_b32 s12, -1, 0
	s_cmp_eq_u64 s[2:3], 0
	s_cbranch_scc1 .LBB254_13
; %bb.1:
	s_lshl_b32 s4, s15, 2
	s_load_b32 s19, s[2:3], s4 offset:0x0
	s_clause 0x1
	s_load_b128 s[4:7], s[0:1], 0x68
	s_load_b32 s20, s[0:1], 0x50
	s_cbranch_execnz .LBB254_3
.LBB254_2:
	s_load_b64 s[2:3], s[0:1], 0x5c
	s_wait_kmcnt 0x0
	s_mul_hi_u32 s2, s2, s15
	s_delay_alu instid0(SALU_CYCLE_1) | instskip(NEXT) | instid1(SALU_CYCLE_1)
	s_add_co_i32 s2, s15, s2
	s_lshr_b32 s19, s2, s3
.LBB254_3:
	s_load_b32 s21, s[0:1], 0x78
	s_and_not1_b32 vcc_lo, exec_lo, s12
	s_mov_b32 s2, s15
	s_cbranch_vccnz .LBB254_5
; %bb.4:
	s_mul_hi_u32 s2, s9, s15
	s_delay_alu instid0(SALU_CYCLE_1) | instskip(NEXT) | instid1(SALU_CYCLE_1)
	s_add_co_i32 s2, s15, s2
	s_lshr_b32 s2, s2, s10
	s_delay_alu instid0(SALU_CYCLE_1) | instskip(NEXT) | instid1(SALU_CYCLE_1)
	s_mul_i32 s2, s2, s11
	s_sub_co_i32 s2, s15, s2
.LBB254_5:
	s_load_b96 s[12:14], s[0:1], 0x80
	v_bfe_u32 v7, v0, 10, 10
	v_and_b32_e32 v6, 0x3ff, v0
	v_mov_b32_e32 v8, 0
	s_lshr_b32 s18, s8, 8
	s_lshr_b32 s16, ttmp7, 16
	s_mov_b32 s17, exec_lo
	v_lshl_or_b32 v0, v7, 5, v6
	s_delay_alu instid0(VALU_DEP_1) | instskip(NEXT) | instid1(VALU_DEP_1)
	v_lshrrev_b32_e32 v9, 3, v0
	v_cmpx_gt_u32_e64 s18, v9
	s_cbranch_execz .LBB254_9
; %bb.6:
	v_lshrrev_b32_e32 v0, 3, v0
	s_wait_kmcnt 0x0
	s_mul_i32 s2, s2, s5
	s_mov_b32 s3, 0
	v_and_b32_e32 v10, 7, v6
	s_mul_u64 s[8:9], s[2:3], 36
	s_mul_i32 s2, s13, s16
	v_mad_co_u64_u32 v[0:1], null, 0x120, v0, s[8:9]
	s_load_b128 s[8:11], s[0:1], 0x0
	v_lshlrev_b32_e32 v2, 1, v6
	v_mov_b32_e32 v8, 0
	s_mul_i32 s20, s20, ttmp9
	s_delay_alu instid0(VALU_DEP_2)
	v_and_b32_e32 v3, 14, v2
	v_mad_co_u64_u32 v[0:1], null, s2, 36, v[0:1]
	s_mul_hi_u32 s2, s7, s16
	v_bfe_u32 v11, v2, 2, 2
	v_lshlrev_b32_e32 v4, 1, v3
	s_wait_alu 0xfffe
	s_add_co_i32 s2, s16, s2
	v_lshlrev_b32_e32 v14, 1, v3
	s_wait_alu 0xfffe
	s_lshr_b32 s2, s2, s21
	v_mad_co_u64_u32 v[0:1], null, v10, 36, v[0:1]
	v_and_b32_e32 v12, 4, v4
	v_lshlrev_b32_e32 v13, 1, v4
	s_wait_alu 0xfffe
	s_mul_i32 s2, s2, s12
	s_mul_i32 s7, s19, s4
	s_wait_alu 0xfffe
	s_add_co_i32 s2, s2, s20
	s_wait_kmcnt 0x0
	v_add_co_u32 v0, vcc_lo, s10, v0
	s_delay_alu instid0(VALU_DEP_1) | instskip(SKIP_2) | instid1(VALU_DEP_2)
	v_add_co_ci_u32_e64 v1, null, s11, v1, vcc_lo
	s_wait_alu 0xfffe
	s_add_co_i32 s7, s7, s2
	v_add_co_u32 v4, vcc_lo, v0, 32
	s_wait_alu 0xfffd
	v_add_co_ci_u32_e64 v5, null, 0, v1, vcc_lo
.LBB254_7:                              ; =>This Inner Loop Header: Depth=1
	v_add_nc_u32_e32 v0, s7, v9
	s_getpc_b64 s[4:5]
	s_sext_i32_i16 s5, s5
	s_add_co_u32 s4, s4, _ZL9iq3s_grid@rel32@lo+8
	s_add_co_ci_u32 s5, s5, _ZL9iq3s_grid@rel32@hi+16
	v_add_nc_u32_e32 v9, 4, v9
	v_mad_co_i64_i32 v[15:16], null, 0x6e, v0, s[8:9]
	s_delay_alu instid0(VALU_DEP_2)
	v_cmp_le_u32_e64 s2, s18, v9
	s_or_b32 s3, s2, s3
	v_add_co_u32 v0, vcc_lo, v15, v13
	s_wait_alu 0xfffd
	v_add_co_ci_u32_e64 v1, null, 0, v16, vcc_lo
	v_add_co_u32 v2, vcc_lo, v15, v10
	s_wait_alu 0xfffd
	v_add_co_ci_u32_e64 v3, null, 0, v16, vcc_lo
	s_clause 0x1
	global_load_b64 v[17:18], v[0:1], off offset:2
	global_load_u8 v23, v[2:3], off offset:66
	global_load_b128 v[0:3], v[4:5], off offset:-32
	v_add_co_u32 v19, vcc_lo, v15, v14
	s_wait_alu 0xfffd
	v_add_co_ci_u32_e64 v20, null, 0, v16, vcc_lo
	v_add_co_u32 v21, vcc_lo, v15, v11
	s_wait_alu 0xfffd
	v_add_co_ci_u32_e64 v22, null, 0, v16, vcc_lo
	s_clause 0x2
	global_load_b32 v19, v[19:20], off offset:74
	global_load_u8 v20, v[21:22], off offset:106
	global_load_u16 v21, v[15:16], off
	s_wait_loadcnt 0x5
	v_bfe_u32 v22, v17, 8, 8
	s_wait_loadcnt 0x4
	v_lshlrev_b32_e32 v16, 8, v23
	s_wait_loadcnt 0x3
	v_cvt_f32_f16_e32 v0, v0
	v_and_b32_e32 v15, 0xff, v17
	v_lshlrev_b32_e32 v24, 7, v23
	v_bfe_u32 v25, v17, 16, 8
	v_lshlrev_b32_e32 v26, 6, v23
	v_lshrrev_b32_e32 v17, 24, v17
	v_lshlrev_b32_e32 v27, 5, v23
	v_and_b32_e32 v28, 0xff, v18
	v_lshlrev_b32_e32 v29, 4, v23
	v_bfe_u32 v30, v18, 8, 8
	v_lshlrev_b32_e32 v31, 3, v23
	v_bfe_u32 v32, v18, 16, 8
	v_lshlrev_b32_e32 v33, 2, v23
	v_lshrrev_b32_e32 v18, 24, v18
	v_lshlrev_b32_e32 v23, 1, v23
	v_and_or_b32 v15, 0x100, v16, v15
	v_and_or_b32 v16, 0x100, v24, v22
	;; [unrolled: 1-line block ×8, first 2 shown]
	v_lshlrev_b32_e32 v15, 2, v15
	v_lshlrev_b32_e32 v16, 2, v16
	;; [unrolled: 1-line block ×8, first 2 shown]
	s_clause 0x7
	global_load_b32 v26, v15, s[4:5]
	global_load_b32 v27, v16, s[4:5]
	;; [unrolled: 1-line block ×8, first 2 shown]
	s_clause 0x1
	global_load_b128 v[15:18], v[4:5], off offset:-16
	global_load_b32 v30, v[4:5], off
	s_wait_loadcnt 0xc
	v_and_b32_e32 v32, 0xff, v19
	v_lshlrev_b32_e32 v33, 21, v19
	v_lshrrev_b32_e32 v31, 16, v19
	v_lshlrev_b32_e32 v35, 17, v19
	v_lshrrev_b32_e32 v36, 6, v19
	v_lshrrev_b32_e32 v37, 1, v19
	;; [unrolled: 1-line block ×13, first 2 shown]
	v_lshl_or_b32 v33, v32, 7, v33
	v_lshrrev_b32_e32 v44, 18, v19
	v_lshrrev_b32_e32 v46, 22, v19
	;; [unrolled: 1-line block ×3, first 2 shown]
	v_lshl_or_b32 v32, v32, 3, v35
	v_bfe_i32 v35, v36, 0, 1
	v_and_b32_e32 v36, 0x180, v37
	v_bfe_i32 v37, v38, 0, 1
	v_bfe_i32 v38, v39, 0, 1
	v_and_b32_e32 v39, 0x180, v40
	v_bfe_i32 v40, v41, 0, 1
	v_bfe_i32 v41, v42, 0, 1
	v_lshl_or_b32 v42, v31, 21, v43
	v_lshl_or_b32 v31, v31, 17, v45
	v_and_or_b32 v45, 0x1fe00000, v48, v47
	v_lshrrev_b16 v47, 8, v50
	v_lshrrev_b16 v48, 7, v50
	v_cmp_ne_u16_e32 vcc_lo, 0, v51
	v_and_b32_e32 v50, 0x1800180, v33
	v_bfe_u32 v33, v33, 24, 1
	v_bfe_i32 v43, v44, 0, 1
	v_bfe_i32 v44, v46, 0, 1
	;; [unrolled: 1-line block ×3, first 2 shown]
	s_wait_alu 0xfffd
	v_cndmask_b32_e64 v49, 0, -1, vcc_lo
	v_and_b32_e32 v52, 0x1800180, v32
	v_bfe_u32 v32, v32, 24, 1
	v_cmp_ne_u16_e32 vcc_lo, 0, v33
	v_lshrrev_b16 v54, 8, v36
	v_lshrrev_b16 v56, 8, v39
	v_and_b32_e32 v58, 0x1800180, v42
	v_bfe_u32 v42, v42, 24, 1
	s_wait_alu 0xfffd
	v_cndmask_b32_e64 v33, 0, -1, vcc_lo
	v_cmp_ne_u16_e32 vcc_lo, 0, v32
	v_and_b32_e32 v60, 0x1800180, v31
	v_bfe_u32 v31, v31, 24, 1
	v_and_b32_e32 v62, 0x1800180, v45
	v_bfe_u32 v45, v45, 24, 1
	s_wait_alu 0xfffd
	v_cndmask_b32_e64 v32, 0, -1, vcc_lo
	v_cmp_ne_u16_e32 vcc_lo, 0, v54
	v_lshrrev_b32_e32 v34, 2, v19
	v_lshrrev_b32_e32 v19, 30, v19
	v_lshrrev_b16 v65, 8, v50
	v_bfe_i32 v47, v47, 0, 1
	s_wait_alu 0xfffd
	v_cndmask_b32_e64 v54, 0, -1, vcc_lo
	v_cmp_ne_u16_e32 vcc_lo, 0, v56
	v_bfe_i32 v19, v19, 0, 1
	v_bfe_i32 v48, v48, 0, 1
	v_lshrrev_b16 v50, 7, v50
	v_lshrrev_b16 v66, 8, v52
	s_wait_alu 0xfffd
	v_cndmask_b32_e64 v56, 0, -1, vcc_lo
	v_cmp_ne_u16_e32 vcc_lo, 0, v42
	v_bfe_i32 v34, v34, 0, 1
	v_and_b32_e32 v64, 0xff, v19
	v_lshlrev_b16 v49, 8, v49
	v_lshrrev_b16 v52, 7, v52
	s_wait_alu 0xfffd
	v_cndmask_b32_e64 v42, 0, -1, vcc_lo
	v_cmp_ne_u16_e32 vcc_lo, 0, v31
	v_lshrrev_b16 v67, 8, v58
	v_lshlrev_b16 v47, 8, v47
	v_and_b32_e32 v70, 0xff, v48
	v_bfe_i32 v50, v50, 0, 1
	s_wait_alu 0xfffd
	v_cndmask_b32_e64 v31, 0, -1, vcc_lo
	v_cmp_ne_u16_e32 vcc_lo, 0, v45
	v_and_b32_e32 v51, 0xff, v34
	v_lshrrev_b16 v36, 7, v36
	v_lshrrev_b16 v39, 7, v39
	;; [unrolled: 1-line block ×3, first 2 shown]
	s_wait_alu 0xfffd
	v_cndmask_b32_e64 v45, 0, -1, vcc_lo
	v_cmp_ne_u16_e32 vcc_lo, 0, v65
	v_or_b32_e32 v64, v64, v49
	v_lshlrev_b16 v33, 8, v33
	v_bfe_i32 v52, v52, 0, 1
	v_or_b32_e32 v70, v70, v47
	s_wait_alu 0xfffd
	v_cndmask_b32_e64 v65, 0, -1, vcc_lo
	v_cmp_ne_u16_e32 vcc_lo, 0, v66
	v_and_b32_e32 v73, 0xff, v50
	v_and_b32_e32 v53, 0xff, v35
	v_bfe_i32 v36, v36, 0, 1
	v_lshlrev_b16 v65, 8, v65
	s_wait_alu 0xfffd
	v_cndmask_b32_e64 v66, 0, -1, vcc_lo
	v_cmp_ne_u16_e32 vcc_lo, 0, v67
	v_bfe_i32 v39, v39, 0, 1
	v_lshrrev_b16 v58, 7, v58
	v_lshrrev_b16 v60, 7, v60
	;; [unrolled: 1-line block ×3, first 2 shown]
	v_lshlrev_b16 v32, 8, v32
	s_wait_alu 0xfffd
	v_cndmask_b32_e64 v67, 0, -1, vcc_lo
	v_cmp_ne_u16_e32 vcc_lo, 0, v68
	v_lshlrev_b32_e32 v64, 16, v64
	v_or_b32_e32 v51, v51, v33
	v_and_b32_e32 v74, 0xff, v52
	v_lshlrev_b16 v66, 8, v66
	v_and_b32_e32 v70, 0xffff, v70
	v_or_b32_e32 v73, v73, v65
	v_lshlrev_b16 v37, 8, v37
	v_and_b32_e32 v55, 0xff, v38
	v_lshlrev_b16 v40, 8, v40
	v_and_b32_e32 v57, 0xff, v41
	v_lshrrev_b16 v62, 7, v62
	v_and_b32_e32 v71, 0xff, v36
	v_lshlrev_b16 v54, 8, v54
	v_and_b32_e32 v72, 0xff, v39
	v_lshlrev_b16 v56, 8, v56
	v_bfe_i32 v58, v58, 0, 1
	v_bfe_i32 v60, v60, 0, 1
	s_wait_alu 0xfffd
	v_cndmask_b32_e64 v68, 0, -1, vcc_lo
	v_cmp_ne_u16_e32 vcc_lo, 0, v69
	v_or_b32_e32 v53, v53, v32
	v_lshlrev_b32_e32 v51, 16, v51
	v_or_b32_e32 v74, v74, v66
	v_or_b32_e32 v64, v70, v64
	v_and_b32_e32 v70, 0xffff, v73
	v_and_b32_e32 v59, 0xff, v43
	;; [unrolled: 1-line block ×3, first 2 shown]
	v_or_b32_e32 v55, v55, v37
	v_or_b32_e32 v57, v57, v40
	v_lshlrev_b16 v42, 8, v42
	v_lshlrev_b16 v31, 8, v31
	v_bfe_i32 v62, v62, 0, 1
	s_wait_alu 0xfffd
	v_cndmask_b32_e64 v69, 0, -1, vcc_lo
	v_or_b32_e32 v71, v71, v54
	v_or_b32_e32 v72, v72, v56
	v_and_b32_e32 v75, 0xff, v58
	v_lshlrev_b16 v67, 8, v67
	v_and_b32_e32 v76, 0xff, v60
	v_lshlrev_b16 v68, 8, v68
	v_lshlrev_b32_e32 v53, 16, v53
	v_and_b32_e32 v73, 0xffff, v74
	v_or_b32_e32 v51, v70, v51
	v_and_b32_e32 v63, 0xff, v46
	v_lshlrev_b32_e32 v55, 16, v55
	v_lshlrev_b32_e32 v57, 16, v57
	v_lshlrev_b16 v45, 8, v45
	v_or_b32_e32 v59, v59, v42
	v_or_b32_e32 v61, v61, v31
	v_and_b32_e32 v77, 0xff, v62
	v_lshlrev_b16 v69, 8, v69
	v_and_b32_e32 v71, 0xffff, v71
	v_and_b32_e32 v72, 0xffff, v72
	v_or_b32_e32 v75, v75, v67
	v_or_b32_e32 v76, v76, v68
	;; [unrolled: 1-line block ×3, first 2 shown]
	v_lshlrev_b16 v50, 8, v50
	v_or_b32_e32 v63, v63, v45
	v_lshlrev_b32_e32 v59, 16, v59
	v_lshlrev_b32_e32 v61, 16, v61
	v_or_b32_e32 v77, v77, v69
	v_or_b32_e32 v55, v71, v55
	;; [unrolled: 1-line block ×3, first 2 shown]
	v_and_b32_e32 v71, 0xffff, v75
	v_and_b32_e32 v72, 0xffff, v76
	v_lshlrev_b16 v34, 8, v34
	v_lshlrev_b16 v52, 8, v52
	v_lshlrev_b32_e32 v63, 16, v63
	v_and_b32_e32 v74, 0xffff, v77
	v_or_b32_e32 v59, v71, v59
	v_or_b32_e32 v61, v72, v61
	v_lshlrev_b16 v35, 8, v35
	v_lshlrev_b16 v36, 8, v36
	v_or_b32_e32 v63, v74, v63
	v_lshlrev_b16 v38, 8, v38
	v_lshlrev_b16 v39, 8, v39
	v_lshlrev_b16 v41, 8, v41
	v_lshlrev_b16 v58, 8, v58
	v_lshlrev_b16 v43, 8, v43
	v_lshlrev_b16 v60, 8, v60
	v_lshlrev_b16 v44, 8, v44
	v_lshlrev_b16 v62, 8, v62
	v_lshlrev_b16 v46, 8, v46
	v_lshlrev_b16 v48, 8, v48
	v_lshlrev_b16 v19, 8, v19
	s_wait_loadcnt 0xb
	v_lshrrev_b32_e32 v20, v12, v20
	v_add_co_u32 v4, vcc_lo, 0x480, v4
	s_wait_alu 0xfffd
	v_add_co_ci_u32_e64 v5, null, 0, v5, vcc_lo
	s_wait_loadcnt 0x9
	v_xor_b32_e32 v26, v26, v51
	s_wait_loadcnt 0x8
	v_xor_b32_e32 v27, v27, v53
	;; [unrolled: 2-line block ×5, first 2 shown]
	v_lshrrev_b32_e32 v51, 16, v26
	v_and_b32_e32 v53, 0xffffff00, v26
	v_lshlrev_b16 v26, 8, v26
	v_lshrrev_b32_e32 v55, 16, v27
	v_and_b32_e32 v57, 0xffffff00, v27
	v_lshlrev_b16 v27, 8, v27
	s_wait_loadcnt 0x4
	v_xor_b32_e32 v24, v24, v61
	v_sub_nc_i16 v26, v26, v50 clamp
	v_and_b32_e32 v50, 0xffffff00, v51
	v_lshlrev_b16 v51, 8, v51
	v_lshrrev_b32_e32 v59, 16, v22
	v_and_b32_e32 v61, 0xffffff00, v22
	v_lshlrev_b16 v22, 8, v22
	v_sub_nc_i16 v53, v53, v65 clamp
	v_sub_nc_i16 v27, v27, v52 clamp
	v_and_b32_e32 v52, 0xffffff00, v55
	v_lshlrev_b16 v55, 8, v55
	v_sub_nc_i16 v33, v50, v33 clamp
	v_sub_nc_i16 v34, v51, v34 clamp
	s_wait_loadcnt 0x3
	v_xor_b32_e32 v25, v25, v63
	s_wait_loadcnt 0x2
	v_xor_b32_e32 v29, v29, v64
	v_lshrrev_b32_e32 v63, 16, v28
	v_and_b32_e32 v64, 0xffffff00, v28
	v_lshlrev_b16 v28, 8, v28
	v_sub_nc_i16 v57, v57, v66 clamp
	v_sub_nc_i16 v22, v22, v36 clamp
	v_and_b32_e32 v36, 0xffffff00, v59
	v_lshlrev_b16 v59, 8, v59
	v_perm_b32 v26, v26, v53, 0xc0c0105
	v_sub_nc_i16 v32, v52, v32 clamp
	v_sub_nc_i16 v35, v55, v35 clamp
	v_perm_b32 v33, v34, v33, 0xc0c0105
	v_lshrrev_b32_e32 v70, 16, v23
	v_and_b32_e32 v71, 0xffffff00, v23
	v_lshlrev_b16 v23, 8, v23
	v_sub_nc_i16 v54, v61, v54 clamp
	v_sub_nc_i16 v28, v28, v39 clamp
	v_and_b32_e32 v39, 0xffffff00, v63
	v_lshlrev_b16 v61, 8, v63
	v_perm_b32 v27, v27, v57, 0xc0c0105
	v_sub_nc_i16 v36, v36, v37 clamp
	v_sub_nc_i16 v37, v59, v38 clamp
	v_perm_b32 v32, v35, v32, 0xc0c0105
	v_lshl_or_b32 v26, v33, 16, v26
	v_lshrrev_b32_e32 v72, 16, v24
	v_and_b32_e32 v73, 0xffffff00, v24
	v_lshlrev_b16 v24, 8, v24
	v_sub_nc_i16 v56, v64, v56 clamp
	v_sub_nc_i16 v23, v23, v58 clamp
	v_and_b32_e32 v58, 0xffffff00, v70
	v_lshlrev_b16 v64, 8, v70
	v_perm_b32 v22, v22, v54, 0xc0c0105
	v_sub_nc_i16 v38, v39, v40 clamp
	v_sub_nc_i16 v39, v61, v41 clamp
	v_perm_b32 v33, v37, v36, 0xc0c0105
	v_lshl_or_b32 v27, v32, 16, v27
	v_dot4_i32_iu8 v1, v26, v1, 0 neg_lo:[1,1,0]
	v_lshrrev_b32_e32 v74, 16, v25
	v_and_b32_e32 v75, 0xffffff00, v25
	v_lshlrev_b16 v25, 8, v25
	v_sub_nc_i16 v63, v71, v67 clamp
	v_sub_nc_i16 v24, v24, v60 clamp
	v_and_b32_e32 v60, 0xffffff00, v72
	v_lshlrev_b16 v66, 8, v72
	v_perm_b32 v28, v28, v56, 0xc0c0105
	v_sub_nc_i16 v40, v58, v42 clamp
	v_sub_nc_i16 v41, v64, v43 clamp
	v_perm_b32 v32, v39, v38, 0xc0c0105
	v_lshl_or_b32 v22, v33, 16, v22
	v_dot4_i32_iu8 v1, v27, v2, v1 neg_lo:[1,1,0]
	;; [unrolled: 13-line block ×3, first 2 shown]
	v_sub_nc_i16 v67, v75, v69 clamp
	v_sub_nc_i16 v29, v29, v48 clamp
	v_and_b32_e32 v48, 0xffffff00, v76
	v_lshlrev_b16 v69, 8, v76
	v_perm_b32 v24, v24, v65, 0xc0c0105
	v_sub_nc_i16 v26, v62, v45 clamp
	v_sub_nc_i16 v2, v68, v46 clamp
	v_perm_b32 v22, v34, v31, 0xc0c0105
	v_lshl_or_b32 v23, v27, 16, v23
	s_wait_loadcnt 0x1
	v_dot4_i32_iu8 v1, v28, v15, v1 neg_lo:[1,1,0]
	v_sub_nc_i16 v47, v77, v47 clamp
	v_perm_b32 v25, v25, v67, 0xc0c0105
	v_sub_nc_i16 v3, v48, v49 clamp
	v_sub_nc_i16 v15, v69, v19 clamp
	v_perm_b32 v2, v2, v26, 0xc0c0105
	v_lshl_or_b32 v19, v22, 16, v24
	v_dot4_i32_iu8 v1, v23, v16, v1 neg_lo:[1,1,0]
	v_perm_b32 v16, v29, v47, 0xc0c0105
	v_perm_b32 v3, v15, v3, 0xc0c0105
	v_lshl_or_b32 v2, v2, 16, v25
	v_lshlrev_b32_e32 v15, 1, v20
	v_dot4_i32_iu8 v1, v19, v17, v1 neg_lo:[1,1,0]
	s_delay_alu instid0(VALU_DEP_4) | instskip(NEXT) | instid1(VALU_DEP_2)
	v_lshl_or_b32 v3, v3, 16, v16
	v_dot4_i32_iu8 v1, v2, v18, v1 neg_lo:[1,1,0]
	s_delay_alu instid0(VALU_DEP_4) | instskip(SKIP_1) | instid1(VALU_DEP_2)
	v_and_or_b32 v2, v15, 30, 1
	s_wait_loadcnt 0x0
	v_dot4_i32_iu8 v1, v3, v30, v1 neg_lo:[1,1,0]
	s_delay_alu instid0(VALU_DEP_1) | instskip(SKIP_1) | instid1(VALU_DEP_1)
	v_mul_lo_u32 v1, v1, v2
	v_cvt_f32_f16_e32 v2, v21
	v_mul_f32_e32 v0, v2, v0
	s_delay_alu instid0(VALU_DEP_3) | instskip(NEXT) | instid1(VALU_DEP_1)
	v_cvt_f32_i32_e32 v1, v1
	v_fmac_f32_e32 v8, v0, v1
	s_wait_alu 0xfffe
	s_and_not1_b32 exec_lo, exec_lo, s3
	s_cbranch_execnz .LBB254_7
; %bb.8:
	s_or_b32 exec_lo, exec_lo, s3
.LBB254_9:
	s_delay_alu instid0(SALU_CYCLE_1)
	s_or_b32 exec_lo, exec_lo, s17
	; wave barrier
	global_inv scope:SCOPE_SE
	s_mov_b32 s2, exec_lo
	v_cmpx_eq_u32_e32 0, v7
	s_cbranch_execz .LBB254_12
; %bb.10:
	v_mbcnt_lo_u32_b32 v0, -1, 0
	s_delay_alu instid0(VALU_DEP_1) | instskip(SKIP_2) | instid1(VALU_DEP_3)
	v_xor_b32_e32 v1, 16, v0
	v_xor_b32_e32 v2, 8, v0
	;; [unrolled: 1-line block ×3, first 2 shown]
	v_cmp_gt_i32_e32 vcc_lo, 32, v1
	s_wait_alu 0xfffd
	v_cndmask_b32_e32 v1, v0, v1, vcc_lo
	v_cmp_gt_i32_e32 vcc_lo, 32, v2
	s_wait_alu 0xfffd
	v_cndmask_b32_e32 v2, v0, v2, vcc_lo
	;; [unrolled: 3-line block ×3, first 2 shown]
	s_delay_alu instid0(VALU_DEP_1)
	v_lshlrev_b32_e32 v3, 2, v3
	v_lshlrev_b32_e32 v2, 2, v2
	;; [unrolled: 1-line block ×3, first 2 shown]
	ds_bpermute_b32 v1, v1, v8
	s_wait_dscnt 0x0
	v_add_f32_e32 v1, v8, v1
	ds_bpermute_b32 v2, v2, v1
	s_wait_dscnt 0x0
	v_add_f32_e32 v1, v1, v2
	ds_bpermute_b32 v2, v3, v1
	v_xor_b32_e32 v3, 2, v0
	s_delay_alu instid0(VALU_DEP_1) | instskip(SKIP_2) | instid1(VALU_DEP_1)
	v_cmp_gt_i32_e32 vcc_lo, 32, v3
	s_wait_alu 0xfffd
	v_cndmask_b32_e32 v3, v0, v3, vcc_lo
	v_lshlrev_b32_e32 v3, 2, v3
	s_wait_dscnt 0x0
	v_add_f32_e32 v1, v1, v2
	ds_bpermute_b32 v2, v3, v1
	v_xor_b32_e32 v3, 1, v0
	s_delay_alu instid0(VALU_DEP_1) | instskip(SKIP_4) | instid1(VALU_DEP_2)
	v_cmp_gt_i32_e32 vcc_lo, 32, v3
	s_wait_alu 0xfffd
	v_cndmask_b32_e32 v0, v0, v3, vcc_lo
	v_cmp_eq_u32_e32 vcc_lo, 0, v6
	s_wait_dscnt 0x0
	v_dual_add_f32 v0, v1, v2 :: v_dual_lshlrev_b32 v3, 2, v0
	ds_bpermute_b32 v1, v3, v0
	s_and_b32 exec_lo, exec_lo, vcc_lo
	s_cbranch_execz .LBB254_12
; %bb.11:
	s_load_b64 s[0:1], s[0:1], 0x38
	s_wait_kmcnt 0x0
	s_mul_i32 s2, s6, s15
	s_mul_i32 s3, s14, s16
	s_wait_alu 0xfffe
	s_add_co_i32 s2, s2, ttmp9
	s_wait_dscnt 0x0
	v_dual_add_f32 v0, v0, v1 :: v_dual_mov_b32 v1, 0
	s_wait_alu 0xfffe
	s_add_co_i32 s2, s2, s3
	s_mov_b32 s3, 0
	s_wait_alu 0xfffe
	s_lshl_b64 s[2:3], s[2:3], 2
	s_wait_alu 0xfffe
	s_add_nc_u64 s[0:1], s[0:1], s[2:3]
	global_store_b32 v1, v0, s[0:1]
.LBB254_12:
	s_endpgm
.LBB254_13:
                                        ; implicit-def: $sgpr19
	s_clause 0x1
	s_load_b128 s[4:7], s[0:1], 0x68
	s_load_b32 s20, s[0:1], 0x50
	s_branch .LBB254_2
	.section	.rodata,"a",@progbits
	.p2align	6, 0x0
	.amdhsa_kernel _ZL13mul_mat_vec_qIL9ggml_type21ELi1ELb0ELb1EEvPKvS2_PKi31ggml_cuda_mm_fusion_args_devicePfj15HIP_vector_typeIjLj3EEjjjS8_jjjS8_jjjj
		.amdhsa_group_segment_fixed_size 0
		.amdhsa_private_segment_fixed_size 0
		.amdhsa_kernarg_size 144
		.amdhsa_user_sgpr_count 2
		.amdhsa_user_sgpr_dispatch_ptr 0
		.amdhsa_user_sgpr_queue_ptr 0
		.amdhsa_user_sgpr_kernarg_segment_ptr 1
		.amdhsa_user_sgpr_dispatch_id 0
		.amdhsa_user_sgpr_private_segment_size 0
		.amdhsa_wavefront_size32 1
		.amdhsa_uses_dynamic_stack 0
		.amdhsa_enable_private_segment 0
		.amdhsa_system_sgpr_workgroup_id_x 1
		.amdhsa_system_sgpr_workgroup_id_y 1
		.amdhsa_system_sgpr_workgroup_id_z 1
		.amdhsa_system_sgpr_workgroup_info 0
		.amdhsa_system_vgpr_workitem_id 1
		.amdhsa_next_free_vgpr 78
		.amdhsa_next_free_sgpr 22
		.amdhsa_reserve_vcc 1
		.amdhsa_float_round_mode_32 0
		.amdhsa_float_round_mode_16_64 0
		.amdhsa_float_denorm_mode_32 3
		.amdhsa_float_denorm_mode_16_64 3
		.amdhsa_fp16_overflow 0
		.amdhsa_workgroup_processor_mode 1
		.amdhsa_memory_ordered 1
		.amdhsa_forward_progress 1
		.amdhsa_inst_pref_size 29
		.amdhsa_round_robin_scheduling 0
		.amdhsa_exception_fp_ieee_invalid_op 0
		.amdhsa_exception_fp_denorm_src 0
		.amdhsa_exception_fp_ieee_div_zero 0
		.amdhsa_exception_fp_ieee_overflow 0
		.amdhsa_exception_fp_ieee_underflow 0
		.amdhsa_exception_fp_ieee_inexact 0
		.amdhsa_exception_int_div_zero 0
	.end_amdhsa_kernel
	.section	.text._ZL13mul_mat_vec_qIL9ggml_type21ELi1ELb0ELb1EEvPKvS2_PKi31ggml_cuda_mm_fusion_args_devicePfj15HIP_vector_typeIjLj3EEjjjS8_jjjS8_jjjj,"axG",@progbits,_ZL13mul_mat_vec_qIL9ggml_type21ELi1ELb0ELb1EEvPKvS2_PKi31ggml_cuda_mm_fusion_args_devicePfj15HIP_vector_typeIjLj3EEjjjS8_jjjS8_jjjj,comdat
.Lfunc_end254:
	.size	_ZL13mul_mat_vec_qIL9ggml_type21ELi1ELb0ELb1EEvPKvS2_PKi31ggml_cuda_mm_fusion_args_devicePfj15HIP_vector_typeIjLj3EEjjjS8_jjjS8_jjjj, .Lfunc_end254-_ZL13mul_mat_vec_qIL9ggml_type21ELi1ELb0ELb1EEvPKvS2_PKi31ggml_cuda_mm_fusion_args_devicePfj15HIP_vector_typeIjLj3EEjjjS8_jjjS8_jjjj
                                        ; -- End function
	.set _ZL13mul_mat_vec_qIL9ggml_type21ELi1ELb0ELb1EEvPKvS2_PKi31ggml_cuda_mm_fusion_args_devicePfj15HIP_vector_typeIjLj3EEjjjS8_jjjS8_jjjj.num_vgpr, 78
	.set _ZL13mul_mat_vec_qIL9ggml_type21ELi1ELb0ELb1EEvPKvS2_PKi31ggml_cuda_mm_fusion_args_devicePfj15HIP_vector_typeIjLj3EEjjjS8_jjjS8_jjjj.num_agpr, 0
	.set _ZL13mul_mat_vec_qIL9ggml_type21ELi1ELb0ELb1EEvPKvS2_PKi31ggml_cuda_mm_fusion_args_devicePfj15HIP_vector_typeIjLj3EEjjjS8_jjjS8_jjjj.numbered_sgpr, 22
	.set _ZL13mul_mat_vec_qIL9ggml_type21ELi1ELb0ELb1EEvPKvS2_PKi31ggml_cuda_mm_fusion_args_devicePfj15HIP_vector_typeIjLj3EEjjjS8_jjjS8_jjjj.num_named_barrier, 0
	.set _ZL13mul_mat_vec_qIL9ggml_type21ELi1ELb0ELb1EEvPKvS2_PKi31ggml_cuda_mm_fusion_args_devicePfj15HIP_vector_typeIjLj3EEjjjS8_jjjS8_jjjj.private_seg_size, 0
	.set _ZL13mul_mat_vec_qIL9ggml_type21ELi1ELb0ELb1EEvPKvS2_PKi31ggml_cuda_mm_fusion_args_devicePfj15HIP_vector_typeIjLj3EEjjjS8_jjjS8_jjjj.uses_vcc, 1
	.set _ZL13mul_mat_vec_qIL9ggml_type21ELi1ELb0ELb1EEvPKvS2_PKi31ggml_cuda_mm_fusion_args_devicePfj15HIP_vector_typeIjLj3EEjjjS8_jjjS8_jjjj.uses_flat_scratch, 0
	.set _ZL13mul_mat_vec_qIL9ggml_type21ELi1ELb0ELb1EEvPKvS2_PKi31ggml_cuda_mm_fusion_args_devicePfj15HIP_vector_typeIjLj3EEjjjS8_jjjS8_jjjj.has_dyn_sized_stack, 0
	.set _ZL13mul_mat_vec_qIL9ggml_type21ELi1ELb0ELb1EEvPKvS2_PKi31ggml_cuda_mm_fusion_args_devicePfj15HIP_vector_typeIjLj3EEjjjS8_jjjS8_jjjj.has_recursion, 0
	.set _ZL13mul_mat_vec_qIL9ggml_type21ELi1ELb0ELb1EEvPKvS2_PKi31ggml_cuda_mm_fusion_args_devicePfj15HIP_vector_typeIjLj3EEjjjS8_jjjS8_jjjj.has_indirect_call, 0
	.section	.AMDGPU.csdata,"",@progbits
; Kernel info:
; codeLenInByte = 3692
; TotalNumSgprs: 24
; NumVgprs: 78
; ScratchSize: 0
; MemoryBound: 0
; FloatMode: 240
; IeeeMode: 1
; LDSByteSize: 0 bytes/workgroup (compile time only)
; SGPRBlocks: 0
; VGPRBlocks: 9
; NumSGPRsForWavesPerEU: 24
; NumVGPRsForWavesPerEU: 78
; Occupancy: 16
; WaveLimiterHint : 0
; COMPUTE_PGM_RSRC2:SCRATCH_EN: 0
; COMPUTE_PGM_RSRC2:USER_SGPR: 2
; COMPUTE_PGM_RSRC2:TRAP_HANDLER: 0
; COMPUTE_PGM_RSRC2:TGID_X_EN: 1
; COMPUTE_PGM_RSRC2:TGID_Y_EN: 1
; COMPUTE_PGM_RSRC2:TGID_Z_EN: 1
; COMPUTE_PGM_RSRC2:TIDIG_COMP_CNT: 1
	.section	.text._ZL13mul_mat_vec_qIL9ggml_type21ELi1ELb1ELb0EEvPKvS2_PKi31ggml_cuda_mm_fusion_args_devicePfj15HIP_vector_typeIjLj3EEjjjS8_jjjS8_jjjj,"axG",@progbits,_ZL13mul_mat_vec_qIL9ggml_type21ELi1ELb1ELb0EEvPKvS2_PKi31ggml_cuda_mm_fusion_args_devicePfj15HIP_vector_typeIjLj3EEjjjS8_jjjS8_jjjj,comdat
	.globl	_ZL13mul_mat_vec_qIL9ggml_type21ELi1ELb1ELb0EEvPKvS2_PKi31ggml_cuda_mm_fusion_args_devicePfj15HIP_vector_typeIjLj3EEjjjS8_jjjS8_jjjj ; -- Begin function _ZL13mul_mat_vec_qIL9ggml_type21ELi1ELb1ELb0EEvPKvS2_PKi31ggml_cuda_mm_fusion_args_devicePfj15HIP_vector_typeIjLj3EEjjjS8_jjjS8_jjjj
	.p2align	8
	.type	_ZL13mul_mat_vec_qIL9ggml_type21ELi1ELb1ELb0EEvPKvS2_PKi31ggml_cuda_mm_fusion_args_devicePfj15HIP_vector_typeIjLj3EEjjjS8_jjjS8_jjjj,@function
_ZL13mul_mat_vec_qIL9ggml_type21ELi1ELb1ELb0EEvPKvS2_PKi31ggml_cuda_mm_fusion_args_devicePfj15HIP_vector_typeIjLj3EEjjjS8_jjjS8_jjjj: ; @_ZL13mul_mat_vec_qIL9ggml_type21ELi1ELb1ELb0EEvPKvS2_PKi31ggml_cuda_mm_fusion_args_devicePfj15HIP_vector_typeIjLj3EEjjjS8_jjjS8_jjjj
; %bb.0:
	s_clause 0x3
	s_load_b256 s[8:15], s[0:1], 0x0
	s_load_b128 s[16:19], s[0:1], 0x20
	s_load_b128 s[20:23], s[0:1], 0x40
	;; [unrolled: 1-line block ×3, first 2 shown]
	s_and_b32 s27, ttmp7, 0xffff
	s_wait_kmcnt 0x0
	s_cmp_lg_u64 s[12:13], 0
	s_cselect_b32 s2, -1, 0
	s_cmp_eq_u64 s[12:13], 0
	s_cbranch_scc1 .LBB255_24
; %bb.1:
	s_lshl_b32 s3, s27, 2
	s_load_b32 s29, s[12:13], s3 offset:0x0
	s_clause 0x1
	s_load_b32 s30, s[0:1], 0x50
	s_load_b32 s28, s[0:1], 0x78
	s_cbranch_execnz .LBB255_3
.LBB255_2:
	s_load_b64 s[12:13], s[0:1], 0x5c
	s_wait_kmcnt 0x0
	s_mul_hi_u32 s3, s12, s27
	s_delay_alu instid0(SALU_CYCLE_1) | instskip(NEXT) | instid1(SALU_CYCLE_1)
	s_add_co_i32 s3, s27, s3
	s_lshr_b32 s29, s3, s13
.LBB255_3:
	s_and_not1_b32 vcc_lo, exec_lo, s2
	s_mov_b32 s3, s27
	s_mov_b32 s31, s27
	s_cbranch_vccnz .LBB255_5
; %bb.4:
	s_mul_hi_u32 s2, s21, s27
	s_wait_kmcnt 0x0
	s_mov_b32 s3, s29
	s_add_co_i32 s2, s27, s2
	s_delay_alu instid0(SALU_CYCLE_1) | instskip(NEXT) | instid1(SALU_CYCLE_1)
	s_lshr_b32 s2, s2, s22
	s_mul_i32 s2, s2, s23
	s_delay_alu instid0(SALU_CYCLE_1)
	s_sub_co_i32 s31, s27, s2
.LBB255_5:
	s_load_b96 s[24:26], s[0:1], 0x80
	v_bfe_u32 v13, v0, 10, 10
	v_dual_mov_b32 v11, 0 :: v_dual_and_b32 v10, 0x3ff, v0
	s_lshr_b32 s21, ttmp7, 16
	s_cmp_lg_u64 s[14:15], 0
	v_mov_b32_e32 v12, 0
	s_delay_alu instid0(VALU_DEP_2) | instskip(SKIP_3) | instid1(VALU_DEP_1)
	v_or_b32_e32 v0, v10, v13
	s_cselect_b32 s2, -1, 0
	s_mov_b32 s23, 0
	s_mul_i32 s12, s3, s6
	v_cmp_eq_u32_e32 vcc_lo, 0, v0
	s_and_b32 s13, s2, vcc_lo
	s_delay_alu instid0(SALU_CYCLE_1)
	s_and_saveexec_b32 s3, s13
	s_cbranch_execz .LBB255_7
; %bb.6:
	s_wait_kmcnt 0x0
	s_mul_i32 s22, s26, s21
	s_mov_b32 s13, s23
	s_lshl_b64 s[22:23], s[22:23], 2
	s_mov_b32 s34, ttmp9
	s_lshl_b64 s[36:37], s[12:13], 2
	s_add_nc_u64 s[14:15], s[14:15], s[22:23]
	s_ashr_i32 s35, ttmp9, 31
	v_lshlrev_b32_e32 v0, 2, v10
	s_add_nc_u64 s[14:15], s[14:15], s[36:37]
	s_lshl_b64 s[22:23], s[34:35], 2
	s_delay_alu instid0(SALU_CYCLE_1)
	s_add_nc_u64 s[14:15], s[14:15], s[22:23]
	global_load_b32 v12, v0, s[14:15]
.LBB255_7:
	s_or_b32 exec_lo, exec_lo, s3
	s_cmp_lg_u64 s[16:17], 0
	s_cselect_b32 s14, -1, 0
	s_cmp_lg_u64 s[18:19], 0
	s_cselect_b32 s3, -1, 0
	s_delay_alu instid0(SALU_CYCLE_1) | instskip(NEXT) | instid1(SALU_CYCLE_1)
	s_and_b32 s13, s3, s14
	s_and_b32 s13, s13, vcc_lo
	s_delay_alu instid0(SALU_CYCLE_1)
	s_and_saveexec_b32 s15, s13
	s_cbranch_execz .LBB255_9
; %bb.8:
	s_wait_kmcnt 0x0
	s_mul_i32 s34, s26, s21
	s_mov_b32 s35, 0
	s_mov_b32 s22, ttmp9
	s_lshl_b64 s[36:37], s[34:35], 2
	s_mov_b32 s13, s35
	s_add_nc_u64 s[18:19], s[18:19], s[36:37]
	s_lshl_b64 s[12:13], s[12:13], 2
	s_ashr_i32 s23, ttmp9, 31
	v_lshlrev_b32_e32 v0, 2, v10
	s_add_nc_u64 s[12:13], s[18:19], s[12:13]
	s_lshl_b64 s[18:19], s[22:23], 2
	s_delay_alu instid0(SALU_CYCLE_1)
	s_add_nc_u64 s[12:13], s[12:13], s[18:19]
	global_load_b32 v11, v0, s[12:13]
.LBB255_9:
	s_or_b32 exec_lo, exec_lo, s15
	v_lshl_add_u32 v0, v13, 5, v10
	v_dual_mov_b32 v16, 0 :: v_dual_mov_b32 v15, 0
	v_cndmask_b32_e64 v14, 0, 1, s14
	s_lshr_b32 s15, s20, 8
	s_delay_alu instid0(VALU_DEP_3) | instskip(SKIP_2) | instid1(VALU_DEP_1)
	v_lshrrev_b32_e32 v17, 3, v0
	s_mov_b32 s18, exec_lo
	s_wait_alu 0xfffe
	v_cmpx_gt_u32_e64 s15, v17
	s_cbranch_execz .LBB255_15
; %bb.10:
	v_lshrrev_b32_e32 v0, 3, v0
	s_mul_i32 s12, s31, s5
	s_mov_b32 s13, 0
	s_mul_hi_u32 s5, s7, s21
	s_mul_u64 s[22:23], s[12:13], 36
	s_wait_kmcnt 0x0
	s_mul_i32 s7, s25, s21
	v_mad_co_u64_u32 v[0:1], null, 0x120, v0, s[22:23]
	v_and_b32_e32 v18, 7, v10
	v_dual_mov_b32 v15, 0 :: v_dual_lshlrev_b32 v2, 1, v10
	v_mov_b32_e32 v16, 0
	s_mul_i32 s30, s30, ttmp9
	s_delay_alu instid0(VALU_DEP_4) | instskip(NEXT) | instid1(VALU_DEP_3)
	v_mad_co_u64_u32 v[0:1], null, s7, 36, v[0:1]
	v_and_b32_e32 v3, 14, v2
	s_mul_i32 s7, s29, s4
	s_add_co_i32 s4, s21, s5
	v_bfe_u32 v19, v2, 2, 2
	s_lshr_b32 s4, s4, s28
	v_lshlrev_b32_e32 v4, 1, v3
	s_delay_alu instid0(VALU_DEP_4)
	v_mad_co_u64_u32 v[0:1], null, v18, 36, v[0:1]
	s_mul_i32 s4, s4, s24
	v_lshlrev_b32_e32 v20, 1, v3
	v_and_b32_e32 v21, 4, v4
	v_lshlrev_b32_e32 v22, 1, v4
	s_add_co_i32 s4, s4, s30
	v_add_co_u32 v0, vcc_lo, s10, v0
	s_delay_alu instid0(VALU_DEP_1) | instskip(SKIP_2) | instid1(VALU_DEP_2)
	v_add_co_ci_u32_e64 v1, null, s11, v1, vcc_lo
	s_wait_alu 0xfffe
	s_add_co_i32 s7, s7, s4
	v_add_co_u32 v8, vcc_lo, v0, 32
	s_wait_alu 0xfffd
	v_add_co_ci_u32_e64 v9, null, 0, v1, vcc_lo
	s_branch .LBB255_12
.LBB255_11:                             ;   in Loop: Header=BB255_12 Depth=1
	s_wait_loadcnt 0xa
	v_and_b32_e32 v35, 0xff, v27
	v_lshlrev_b32_e32 v36, 21, v27
	v_lshlrev_b32_e32 v38, 17, v27
	v_lshrrev_b32_e32 v37, 2, v27
	v_lshrrev_b32_e32 v39, 6, v27
	;; [unrolled: 1-line block ×3, first 2 shown]
	v_lshl_or_b32 v36, v35, 7, v36
	v_lshl_or_b32 v35, v35, 3, v38
	v_bfe_i32 v37, v37, 0, 1
	v_bfe_i32 v39, v39, 0, 1
	;; [unrolled: 1-line block ×3, first 2 shown]
	v_and_b32_e32 v38, 0x1800180, v36
	v_bfe_u32 v36, v36, 24, 1
	v_and_b32_e32 v41, 0x1800180, v35
	v_bfe_u32 v35, v35, 24, 1
	v_and_b32_e32 v40, 0xff, v37
	v_lshrrev_b16 v42, 7, v38
	v_lshrrev_b16 v38, 8, v38
	v_cmp_ne_u16_e32 vcc_lo, 0, v36
	v_lshrrev_b16 v43, 8, v41
	v_lshrrev_b16 v41, 7, v41
	v_bfe_i32 v42, v42, 0, 1
	v_and_b32_e32 v46, 0xff, v39
	s_wait_alu 0xfffd
	v_cndmask_b32_e64 v36, 0, -1, vcc_lo
	v_cmp_ne_u16_e32 vcc_lo, 0, v38
	v_bfe_i32 v41, v41, 0, 1
	v_and_b32_e32 v44, 0xff, v42
	v_lshlrev_b16 v37, 8, v37
	v_lshlrev_b16 v36, 8, v36
	s_wait_alu 0xfffd
	v_cndmask_b32_e64 v38, 0, -1, vcc_lo
	v_cmp_ne_u16_e32 vcc_lo, 0, v35
	v_and_b32_e32 v45, 0xff, v41
	v_lshlrev_b16 v42, 8, v42
	v_or_b32_e32 v40, v40, v36
	v_lshlrev_b16 v38, 8, v38
	s_wait_alu 0xfffd
	v_cndmask_b32_e64 v35, 0, -1, vcc_lo
	v_cmp_ne_u16_e32 vcc_lo, 0, v43
	v_lshlrev_b16 v39, 8, v39
	v_lshlrev_b32_e32 v40, 16, v40
	v_or_b32_e32 v44, v44, v38
	v_lshlrev_b16 v35, 8, v35
	s_wait_alu 0xfffd
	v_cndmask_b32_e64 v43, 0, -1, vcc_lo
	v_and_b32_e32 v50, 0xff, v49
	v_lshrrev_b32_e32 v47, 16, v27
	v_and_b32_e32 v44, 0xffff, v44
	s_wait_loadcnt 0x9
	v_and_b32_e32 v25, 0xff, v25
	v_lshlrev_b16 v43, 8, v43
	v_add_nc_u32_e32 v17, 4, v17
	v_add_co_u32 v8, s4, 0x480, v8
	v_or_b32_e32 v40, v44, v40
	v_or_b32_e32 v44, v46, v35
	;; [unrolled: 1-line block ×3, first 2 shown]
	v_lshrrev_b32_e32 v46, 1, v27
	s_wait_alu 0xf1ff
	v_add_co_ci_u32_e64 v9, null, 0, v9, s4
	s_wait_loadcnt 0x7
	v_xor_b32_e32 v34, v34, v40
	v_lshlrev_b32_e32 v40, 16, v44
	v_and_b32_e32 v44, 0xffff, v45
	v_and_b32_e32 v45, 0x180, v46
	s_delay_alu instid0(VALU_DEP_4) | instskip(NEXT) | instid1(VALU_DEP_3)
	v_lshrrev_b32_e32 v46, 16, v34
	v_or_b32_e32 v40, v44, v40
	v_and_b32_e32 v44, 0xffffff00, v34
	v_lshlrev_b16 v34, 8, v34
	s_delay_alu instid0(VALU_DEP_4)
	v_and_b32_e32 v48, 0xffffff00, v46
	v_lshlrev_b16 v46, 8, v46
	s_wait_loadcnt 0x6
	v_xor_b32_e32 v33, v33, v40
	v_lshlrev_b16 v40, 8, v41
	v_sub_nc_i16 v38, v44, v38 clamp
	v_sub_nc_i16 v36, v48, v36 clamp
	;; [unrolled: 1-line block ×3, first 2 shown]
	v_and_b32_e32 v41, 0xffffff00, v33
	v_sub_nc_i16 v34, v34, v42 clamp
	v_lshlrev_b16 v42, 8, v33
	v_lshrrev_b32_e32 v44, 10, v27
	v_perm_b32 v36, v37, v36, 0xc0c0105
	v_sub_nc_i16 v37, v41, v43 clamp
	v_lshrrev_b16 v41, 8, v45
	v_perm_b32 v34, v34, v38, 0xc0c0105
	v_sub_nc_i16 v38, v42, v40 clamp
	v_lshrrev_b16 v40, 7, v45
	v_lshrrev_b32_e32 v43, 11, v27
	v_cmp_ne_u16_e32 vcc_lo, 0, v41
	v_lshrrev_b32_e32 v33, 16, v33
	v_bfe_i32 v44, v44, 0, 1
	v_bfe_i32 v40, v40, 0, 1
	;; [unrolled: 1-line block ×3, first 2 shown]
	s_wait_alu 0xfffd
	v_cndmask_b32_e64 v41, 0, -1, vcc_lo
	v_lshrrev_b32_e32 v46, 5, v27
	v_and_b32_e32 v42, 0xffffff00, v33
	v_and_b32_e32 v45, 0xff, v40
	v_lshlrev_b16 v33, 8, v33
	v_lshlrev_b16 v41, 8, v41
	;; [unrolled: 1-line block ×3, first 2 shown]
	v_and_b32_e32 v48, 0xff, v44
	v_and_b32_e32 v46, 0x180, v46
	v_sub_nc_i16 v35, v42, v35 clamp
	v_or_b32_e32 v45, v45, v41
	v_sub_nc_i16 v33, v33, v39 clamp
	v_or_b32_e32 v42, v48, v43
	v_lshrrev_b32_e32 v48, 15, v27
	v_perm_b32 v37, v38, v37, 0xc0c0105
	v_and_b32_e32 v39, 0xffff, v45
	v_lshrrev_b16 v45, 7, v46
	v_lshrrev_b16 v46, 8, v46
	v_lshlrev_b32_e32 v42, 16, v42
	v_bfe_i32 v48, v48, 0, 1
	v_perm_b32 v33, v33, v35, 0xc0c0105
	v_bfe_i32 v45, v45, 0, 1
	v_cmp_ne_u16_e32 vcc_lo, 0, v46
	v_or_b32_e32 v39, v39, v42
	v_lshlrev_b16 v48, 8, v48
	v_lshl_or_b32 v34, v36, 16, v34
	v_and_b32_e32 v42, 0xff, v45
	s_wait_alu 0xfffd
	v_cndmask_b32_e64 v46, 0, -1, vcc_lo
	s_wait_loadcnt 0x5
	v_xor_b32_e32 v32, v32, v39
	v_or_b32_e32 v38, v50, v48
	v_lshl_or_b32 v33, v33, 16, v37
	v_lshlrev_b16 v39, 8, v40
	v_lshlrev_b16 v46, 8, v46
	v_lshrrev_b32_e32 v36, 16, v32
	v_lshlrev_b32_e32 v37, 16, v38
	v_and_b32_e32 v38, 0xffffff00, v32
	v_lshlrev_b16 v32, 8, v32
	v_or_b32_e32 v35, v42, v46
	v_and_b32_e32 v40, 0xffffff00, v36
	v_lshlrev_b16 v36, 8, v36
	v_lshlrev_b16 v42, 8, v44
	v_sub_nc_i16 v32, v32, v39 clamp
	v_and_b32_e32 v35, 0xffff, v35
	v_lshrrev_b32_e32 v39, 9, v27
	v_sub_nc_i16 v38, v38, v41 clamp
	v_sub_nc_i16 v40, v40, v43 clamp
	;; [unrolled: 1-line block ×3, first 2 shown]
	v_or_b32_e32 v35, v35, v37
	v_dot4_i32_iu8 v5, v34, v5, 0 neg_lo:[1,1,0]
	v_lshl_or_b32 v34, v47, 21, v39
	v_perm_b32 v32, v32, v38, 0xc0c0105
	v_perm_b32 v36, v36, v40, 0xc0c0105
	s_wait_loadcnt 0x4
	v_xor_b32_e32 v31, v31, v35
	v_lshrrev_b32_e32 v38, 13, v27
	v_and_b32_e32 v35, 0x1800180, v34
	v_dot4_i32_iu8 v5, v33, v6, v5 neg_lo:[1,1,0]
	v_lshl_or_b32 v6, v36, 16, v32
	v_bfe_u32 v34, v34, 24, 1
	v_lshl_or_b32 v38, v47, 17, v38
	v_lshrrev_b16 v36, 7, v35
	v_lshrrev_b16 v35, 8, v35
	v_lshrrev_b32_e32 v40, 18, v27
	v_lshlrev_b16 v37, 8, v45
	v_and_b32_e32 v41, 0x1800180, v38
	v_bfe_u32 v38, v38, 24, 1
	v_cmp_ne_u16_e32 vcc_lo, 0, v35
	v_bfe_i32 v36, v36, 0, 1
	v_bfe_i32 v40, v40, 0, 1
	v_lshrrev_b16 v43, 7, v41
	v_lshrrev_b16 v41, 8, v41
	s_wait_alu 0xfffd
	v_cndmask_b32_e64 v35, 0, -1, vcc_lo
	v_cmp_ne_u16_e32 vcc_lo, 0, v34
	v_lshrrev_b32_e32 v45, 22, v27
	v_lshrrev_b32_e32 v32, 16, v31
	v_and_b32_e32 v33, 0xffffff00, v31
	v_lshlrev_b16 v31, 8, v31
	s_wait_alu 0xfffd
	v_cndmask_b32_e64 v34, 0, -1, vcc_lo
	v_cmp_ne_u16_e32 vcc_lo, 0, v41
	v_and_b32_e32 v39, 0xff, v36
	v_lshlrev_b16 v35, 8, v35
	v_and_b32_e32 v44, 0xff, v40
	v_lshlrev_b16 v34, 8, v34
	s_wait_alu 0xfffd
	v_cndmask_b32_e64 v41, 0, -1, vcc_lo
	v_cmp_ne_u16_e32 vcc_lo, 0, v38
	v_bfe_i32 v43, v43, 0, 1
	v_bfe_i32 v45, v45, 0, 1
	v_sub_nc_i16 v33, v33, v46 clamp
	v_sub_nc_i16 v31, v31, v37 clamp
	s_wait_alu 0xfffd
	v_cndmask_b32_e64 v38, 0, -1, vcc_lo
	v_and_b32_e32 v37, 0xffffff00, v32
	v_lshlrev_b16 v32, 8, v32
	v_or_b32_e32 v39, v39, v35
	v_lshlrev_b16 v42, 8, v49
	v_or_b32_e32 v44, v44, v34
	v_and_b32_e32 v46, 0xff, v43
	v_lshlrev_b16 v41, 8, v41
	v_lshlrev_b16 v38, 8, v38
	v_and_b32_e32 v47, 0xff, v45
	v_and_b32_e32 v39, 0xffff, v39
	v_lshlrev_b32_e32 v44, 16, v44
	v_sub_nc_i16 v37, v37, v48 clamp
	v_sub_nc_i16 v32, v32, v42 clamp
	v_or_b32_e32 v42, v46, v41
	v_or_b32_e32 v46, v47, v38
	;; [unrolled: 1-line block ×3, first 2 shown]
	v_perm_b32 v31, v31, v33, 0xc0c0105
	v_perm_b32 v32, v32, v37, 0xc0c0105
	v_and_b32_e32 v33, 0xffff, v42
	v_lshlrev_b32_e32 v37, 16, v46
	s_wait_loadcnt 0x3
	v_xor_b32_e32 v30, v30, v39
	v_dot4_i32_iu8 v5, v6, v7, v5 neg_lo:[1,1,0]
	v_lshl_or_b32 v31, v32, 16, v31
	v_lshlrev_b16 v36, 8, v36
	v_or_b32_e32 v6, v33, v37
	v_lshrrev_b32_e32 v33, 17, v27
	v_lshrrev_b32_e32 v37, 3, v27
	;; [unrolled: 1-line block ×3, first 2 shown]
	v_and_b32_e32 v32, 0xffffff00, v30
	v_lshlrev_b16 v30, 8, v30
	v_lshlrev_b16 v40, 8, v40
	v_and_or_b32 v33, 0x1fe00000, v37, v33
	v_and_b32_e32 v39, 0xffffff00, v7
	v_sub_nc_i16 v32, v32, v35 clamp
	v_sub_nc_i16 v30, v30, v36 clamp
	v_lshlrev_b16 v7, 8, v7
	v_and_b32_e32 v35, 0x1800180, v33
	v_dot4_i32_iu8 v0, v31, v0, v5 neg_lo:[1,1,0]
	s_wait_loadcnt 0x2
	v_xor_b32_e32 v5, v29, v6
	v_perm_b32 v6, v30, v32, 0xc0c0105
	v_sub_nc_i16 v34, v39, v34 clamp
	v_lshrrev_b16 v30, 8, v35
	v_sub_nc_i16 v7, v7, v40 clamp
	v_lshrrev_b16 v29, 7, v35
	v_and_b32_e32 v31, 0xffffff00, v5
	v_lshlrev_b16 v32, 8, v5
	v_cmp_ne_u16_e32 vcc_lo, 0, v30
	v_perm_b32 v7, v7, v34, 0xc0c0105
	v_lshlrev_b16 v34, 8, v43
	v_bfe_i32 v29, v29, 0, 1
	v_bfe_u32 v33, v33, 24, 1
	s_wait_alu 0xfffd
	v_cndmask_b32_e64 v30, 0, -1, vcc_lo
	v_lshl_or_b32 v6, v7, 16, v6
	v_sub_nc_i16 v7, v31, v41 clamp
	v_sub_nc_i16 v31, v32, v34 clamp
	v_and_b32_e32 v32, 0xff, v29
	v_lshlrev_b16 v30, 8, v30
	v_lshrrev_b32_e32 v34, 26, v27
	v_cmp_ne_u16_e32 vcc_lo, 0, v33
	v_perm_b32 v7, v31, v7, 0xc0c0105
	v_lshrrev_b32_e32 v39, 30, v27
	v_or_b32_e32 v31, v32, v30
	v_bfe_i32 v33, v34, 0, 1
	s_wait_alu 0xfffd
	v_cndmask_b32_e64 v32, 0, -1, vcc_lo
	v_lshrrev_b32_e32 v34, 21, v27
	v_lshrrev_b32_e32 v27, 31, v27
	v_bfe_i32 v39, v39, 0, 1
	v_and_b32_e32 v36, 0xff, v33
	v_lshlrev_b16 v32, 8, v32
	v_lshrrev_b16 v37, 8, v34
	v_lshrrev_b16 v34, 7, v34
	v_cmp_ne_u16_e32 vcc_lo, 0, v27
	v_lshrrev_b32_e32 v5, 16, v5
	v_or_b32_e32 v36, v36, v32
	v_bfe_i32 v37, v37, 0, 1
	v_bfe_i32 v34, v34, 0, 1
	s_wait_alu 0xfffd
	v_cndmask_b32_e64 v27, 0, -1, vcc_lo
	v_and_b32_e32 v31, 0xffff, v31
	v_lshlrev_b32_e32 v36, 16, v36
	v_lshlrev_b16 v37, 8, v37
	v_and_b32_e32 v40, 0xff, v34
	v_and_b32_e32 v41, 0xff, v39
	v_lshlrev_b16 v27, 8, v27
	v_and_b32_e32 v35, 0xffffff00, v5
	v_or_b32_e32 v31, v31, v36
	v_lshlrev_b16 v5, 8, v5
	v_lshlrev_b16 v36, 8, v45
	v_or_b32_e32 v40, v40, v37
	v_or_b32_e32 v41, v41, v27
	s_wait_loadcnt 0x1
	v_xor_b32_e32 v28, v28, v31
	v_sub_nc_i16 v31, v35, v38 clamp
	v_sub_nc_i16 v5, v5, v36 clamp
	v_and_b32_e32 v35, 0xffff, v40
	v_lshlrev_b32_e32 v36, 16, v41
	v_and_b32_e32 v38, 0xffffff00, v28
	v_lshlrev_b16 v40, 8, v28
	v_lshlrev_b16 v29, 8, v29
	v_perm_b32 v5, v5, v31, 0xc0c0105
	v_or_b32_e32 v31, v35, v36
	v_lshrrev_b32_e32 v28, 16, v28
	v_sub_nc_i16 v30, v38, v30 clamp
	v_sub_nc_i16 v29, v40, v29 clamp
	v_lshl_or_b32 v5, v5, 16, v7
	s_wait_loadcnt 0x0
	v_xor_b32_e32 v7, v26, v31
	v_and_b32_e32 v35, 0xffffff00, v28
	v_dot4_i32_iu8 v0, v6, v1, v0 neg_lo:[1,1,0]
	v_perm_b32 v1, v29, v30, 0xc0c0105
	v_lshlrev_b16 v26, 8, v28
	v_lshrrev_b32_e32 v28, 16, v7
	v_lshlrev_b16 v29, 8, v33
	v_sub_nc_i16 v6, v35, v32 clamp
	v_and_b32_e32 v30, 0xffffff00, v7
	v_lshlrev_b16 v7, 8, v7
	v_lshlrev_b16 v31, 8, v34
	v_and_b32_e32 v32, 0xffffff00, v28
	v_lshlrev_b16 v28, 8, v28
	v_lshlrev_b16 v33, 8, v39
	v_sub_nc_i16 v26, v26, v29 clamp
	v_sub_nc_i16 v29, v30, v37 clamp
	;; [unrolled: 1-line block ×5, first 2 shown]
	v_perm_b32 v6, v26, v6, 0xc0c0105
	v_dot4_i32_iu8 v0, v5, v2, v0 neg_lo:[1,1,0]
	v_perm_b32 v2, v7, v29, 0xc0c0105
	v_cmp_le_u32_e32 vcc_lo, s15, v17
	v_perm_b32 v5, v28, v27, 0xc0c0105
	v_lshl_or_b32 v1, v6, 16, v1
	v_lshrrev_b32_e32 v6, v21, v25
	s_or_b32 s13, vcc_lo, s13
	s_delay_alu instid0(VALU_DEP_3) | instskip(NEXT) | instid1(VALU_DEP_3)
	v_lshl_or_b32 v2, v5, 16, v2
	v_dot4_i32_iu8 v0, v1, v3, v0 neg_lo:[1,1,0]
	s_delay_alu instid0(VALU_DEP_3) | instskip(NEXT) | instid1(VALU_DEP_2)
	v_lshlrev_b32_e32 v1, 1, v6
	v_dot4_i32_iu8 v0, v2, v23, v0 neg_lo:[1,1,0]
	s_delay_alu instid0(VALU_DEP_2) | instskip(NEXT) | instid1(VALU_DEP_1)
	v_and_or_b32 v1, v1, 30, 1
	v_mul_lo_u32 v0, v0, v1
	v_cvt_f32_f16_e32 v1, v24
	s_delay_alu instid0(VALU_DEP_1) | instskip(NEXT) | instid1(VALU_DEP_3)
	v_mul_f32_e32 v1, v1, v4
	v_cvt_f32_i32_e32 v0, v0
	s_delay_alu instid0(VALU_DEP_1)
	v_fmac_f32_e32 v16, v1, v0
	s_and_not1_b32 exec_lo, exec_lo, s13
	s_cbranch_execz .LBB255_14
.LBB255_12:                             ; =>This Inner Loop Header: Depth=1
	s_wait_alu 0xfffe
	v_add_nc_u32_e32 v35, s7, v17
	s_getpc_b64 s[4:5]
	s_wait_alu 0xfffe
	s_sext_i32_i16 s5, s5
	s_add_co_u32 s4, s4, _ZL9iq3s_grid@rel32@lo+12
	s_wait_alu 0xfffe
	s_add_co_ci_u32 s5, s5, _ZL9iq3s_grid@rel32@hi+24
	v_mad_co_i64_i32 v[28:29], null, 0x6e, v35, s[8:9]
	s_delay_alu instid0(VALU_DEP_1) | instskip(SKIP_1) | instid1(VALU_DEP_2)
	v_add_co_u32 v0, vcc_lo, v28, v22
	s_wait_alu 0xfffd
	v_add_co_ci_u32_e64 v1, null, 0, v29, vcc_lo
	v_add_co_u32 v2, vcc_lo, v28, v18
	s_wait_alu 0xfffd
	v_add_co_ci_u32_e64 v3, null, 0, v29, vcc_lo
	s_clause 0x1
	global_load_b64 v[30:31], v[0:1], off offset:2
	global_load_u8 v26, v[2:3], off offset:66
	v_add_co_u32 v24, vcc_lo, v28, v20
	s_wait_alu 0xfffd
	v_add_co_ci_u32_e64 v25, null, 0, v29, vcc_lo
	v_add_co_u32 v32, vcc_lo, v28, v19
	s_wait_alu 0xfffd
	v_add_co_ci_u32_e64 v33, null, 0, v29, vcc_lo
	s_clause 0x2
	global_load_b128 v[4:7], v[8:9], off offset:-32
	global_load_b128 v[0:3], v[8:9], off offset:-16
	global_load_b32 v23, v[8:9], off
	s_clause 0x2
	global_load_b32 v27, v[24:25], off offset:74
	global_load_u8 v25, v[32:33], off offset:106
	global_load_u16 v24, v[28:29], off
	s_and_not1_b32 vcc_lo, exec_lo, s14
	s_wait_loadcnt 0x7
	v_and_b32_e32 v28, 0xff, v30
	s_wait_loadcnt 0x6
	v_lshlrev_b32_e32 v29, 8, v26
	v_bfe_u32 v32, v30, 8, 8
	v_lshlrev_b32_e32 v33, 7, v26
	v_bfe_u32 v34, v30, 16, 8
	v_lshlrev_b32_e32 v36, 6, v26
	v_lshrrev_b32_e32 v30, 24, v30
	v_lshlrev_b32_e32 v37, 5, v26
	v_and_b32_e32 v38, 0xff, v31
	v_lshlrev_b32_e32 v39, 4, v26
	v_bfe_u32 v40, v31, 8, 8
	v_lshlrev_b32_e32 v41, 3, v26
	v_bfe_u32 v42, v31, 16, 8
	v_lshlrev_b32_e32 v43, 2, v26
	v_lshrrev_b32_e32 v31, 24, v31
	v_lshlrev_b32_e32 v26, 1, v26
	v_and_or_b32 v28, 0x100, v29, v28
	v_and_or_b32 v29, 0x100, v33, v32
	;; [unrolled: 1-line block ×8, first 2 shown]
	v_lshlrev_b32_e32 v28, 2, v28
	v_lshlrev_b32_e32 v29, 2, v29
	;; [unrolled: 1-line block ×8, first 2 shown]
	s_clause 0x7
	global_load_b32 v34, v28, s[4:5]
	global_load_b32 v33, v29, s[4:5]
	;; [unrolled: 1-line block ×8, first 2 shown]
	s_wait_loadcnt 0xd
	v_cvt_f32_f16_e32 v4, v4
	s_wait_alu 0xfffe
	s_cbranch_vccnz .LBB255_11
; %bb.13:                               ;   in Loop: Header=BB255_12 Depth=1
	v_mad_co_i64_i32 v[35:36], null, 0x6e, v35, s[16:17]
	s_delay_alu instid0(VALU_DEP_1) | instskip(SKIP_1) | instid1(VALU_DEP_2)
	v_add_co_u32 v37, vcc_lo, v35, v22
	s_wait_alu 0xfffd
	v_add_co_ci_u32_e64 v38, null, 0, v36, vcc_lo
	v_add_co_u32 v39, vcc_lo, v35, v18
	s_wait_alu 0xfffd
	v_add_co_ci_u32_e64 v40, null, 0, v36, vcc_lo
	s_clause 0x1
	global_load_b64 v[37:38], v[37:38], off offset:2
	global_load_u8 v41, v[39:40], off offset:66
	v_add_co_u32 v39, vcc_lo, v35, v20
	s_wait_alu 0xfffd
	v_add_co_ci_u32_e64 v40, null, 0, v36, vcc_lo
	global_load_b32 v39, v[39:40], off offset:74
	s_wait_loadcnt 0x2
	v_and_b32_e32 v40, 0xff, v37
	s_wait_loadcnt 0x1
	v_lshlrev_b32_e32 v42, 8, v41
	v_bfe_u32 v43, v37, 8, 8
	v_lshlrev_b32_e32 v44, 7, v41
	v_bfe_u32 v45, v37, 16, 8
	v_lshlrev_b32_e32 v46, 6, v41
	v_lshrrev_b32_e32 v37, 24, v37
	v_lshlrev_b32_e32 v47, 5, v41
	v_and_b32_e32 v48, 0xff, v38
	v_lshlrev_b32_e32 v49, 4, v41
	v_bfe_u32 v50, v38, 8, 8
	v_lshlrev_b32_e32 v51, 3, v41
	v_bfe_u32 v52, v38, 16, 8
	v_lshlrev_b32_e32 v53, 2, v41
	v_lshrrev_b32_e32 v38, 24, v38
	v_lshlrev_b32_e32 v41, 1, v41
	v_and_or_b32 v40, 0x100, v42, v40
	v_and_or_b32 v42, 0x100, v44, v43
	;; [unrolled: 1-line block ×8, first 2 shown]
	v_lshlrev_b32_e32 v40, 2, v40
	v_lshlrev_b32_e32 v41, 2, v42
	;; [unrolled: 1-line block ×8, first 2 shown]
	s_clause 0x7
	global_load_b32 v40, v40, s[4:5]
	global_load_b32 v41, v41, s[4:5]
	;; [unrolled: 1-line block ×8, first 2 shown]
	v_add_co_u32 v37, vcc_lo, v35, v19
	s_wait_alu 0xfffd
	v_add_co_ci_u32_e64 v38, null, 0, v36, vcc_lo
	s_clause 0x1
	global_load_u8 v37, v[37:38], off offset:106
	global_load_u16 v35, v[35:36], off
	s_wait_loadcnt 0xa
	v_and_b32_e32 v38, 0xff, v39
	v_lshlrev_b32_e32 v48, 21, v39
	v_lshrrev_b32_e32 v36, 16, v39
	v_lshlrev_b32_e32 v50, 17, v39
	v_lshrrev_b32_e32 v51, 6, v39
	v_lshrrev_b32_e32 v52, 1, v39
	;; [unrolled: 1-line block ×13, first 2 shown]
	v_lshl_or_b32 v48, v38, 7, v48
	v_lshrrev_b32_e32 v59, 18, v39
	v_lshrrev_b32_e32 v61, 22, v39
	;; [unrolled: 1-line block ×3, first 2 shown]
	v_lshl_or_b32 v38, v38, 3, v50
	v_bfe_i32 v50, v51, 0, 1
	v_and_b32_e32 v51, 0x180, v52
	v_bfe_i32 v52, v53, 0, 1
	v_bfe_i32 v53, v54, 0, 1
	v_and_b32_e32 v54, 0x180, v55
	v_bfe_i32 v55, v56, 0, 1
	v_bfe_i32 v56, v57, 0, 1
	v_lshl_or_b32 v57, v36, 21, v58
	v_lshl_or_b32 v36, v36, 17, v60
	v_and_or_b32 v60, 0x1fe00000, v63, v62
	v_lshrrev_b16 v62, 8, v65
	v_lshrrev_b16 v63, 7, v65
	v_cmp_ne_u16_e32 vcc_lo, 0, v66
	v_and_b32_e32 v65, 0x1800180, v48
	v_bfe_u32 v48, v48, 24, 1
	v_bfe_i32 v58, v59, 0, 1
	v_bfe_i32 v59, v61, 0, 1
	;; [unrolled: 1-line block ×3, first 2 shown]
	s_wait_alu 0xfffd
	v_cndmask_b32_e64 v64, 0, -1, vcc_lo
	v_and_b32_e32 v67, 0x1800180, v38
	v_bfe_u32 v38, v38, 24, 1
	v_cmp_ne_u16_e32 vcc_lo, 0, v48
	v_lshrrev_b16 v69, 8, v51
	v_lshrrev_b16 v71, 8, v54
	v_and_b32_e32 v73, 0x1800180, v57
	v_bfe_u32 v57, v57, 24, 1
	s_wait_alu 0xfffd
	v_cndmask_b32_e64 v48, 0, -1, vcc_lo
	v_cmp_ne_u16_e32 vcc_lo, 0, v38
	v_and_b32_e32 v75, 0x1800180, v36
	v_bfe_u32 v36, v36, 24, 1
	v_and_b32_e32 v77, 0x1800180, v60
	v_bfe_u32 v60, v60, 24, 1
	s_wait_alu 0xfffd
	v_cndmask_b32_e64 v38, 0, -1, vcc_lo
	v_cmp_ne_u16_e32 vcc_lo, 0, v69
	v_lshrrev_b32_e32 v49, 2, v39
	v_lshrrev_b32_e32 v39, 30, v39
	v_lshrrev_b16 v80, 8, v65
	v_bfe_i32 v62, v62, 0, 1
	s_wait_alu 0xfffd
	v_cndmask_b32_e64 v69, 0, -1, vcc_lo
	v_cmp_ne_u16_e32 vcc_lo, 0, v71
	v_bfe_i32 v39, v39, 0, 1
	v_bfe_i32 v63, v63, 0, 1
	v_lshrrev_b16 v65, 7, v65
	v_lshrrev_b16 v81, 8, v67
	s_wait_alu 0xfffd
	v_cndmask_b32_e64 v71, 0, -1, vcc_lo
	v_cmp_ne_u16_e32 vcc_lo, 0, v57
	v_bfe_i32 v49, v49, 0, 1
	v_and_b32_e32 v79, 0xff, v39
	v_lshlrev_b16 v64, 8, v64
	v_lshrrev_b16 v67, 7, v67
	s_wait_alu 0xfffd
	v_cndmask_b32_e64 v57, 0, -1, vcc_lo
	v_cmp_ne_u16_e32 vcc_lo, 0, v36
	v_lshrrev_b16 v82, 8, v73
	v_lshlrev_b16 v62, 8, v62
	v_and_b32_e32 v85, 0xff, v63
	v_bfe_i32 v65, v65, 0, 1
	s_wait_alu 0xfffd
	v_cndmask_b32_e64 v36, 0, -1, vcc_lo
	v_cmp_ne_u16_e32 vcc_lo, 0, v60
	v_and_b32_e32 v66, 0xff, v49
	v_lshrrev_b16 v51, 7, v51
	v_lshrrev_b16 v54, 7, v54
	;; [unrolled: 1-line block ×3, first 2 shown]
	s_wait_alu 0xfffd
	v_cndmask_b32_e64 v60, 0, -1, vcc_lo
	v_cmp_ne_u16_e32 vcc_lo, 0, v80
	v_or_b32_e32 v79, v79, v64
	v_lshlrev_b16 v48, 8, v48
	v_bfe_i32 v67, v67, 0, 1
	v_or_b32_e32 v85, v85, v62
	s_wait_alu 0xfffd
	v_cndmask_b32_e64 v80, 0, -1, vcc_lo
	v_cmp_ne_u16_e32 vcc_lo, 0, v81
	v_and_b32_e32 v88, 0xff, v65
	v_and_b32_e32 v68, 0xff, v50
	v_bfe_i32 v51, v51, 0, 1
	v_lshlrev_b16 v80, 8, v80
	s_wait_alu 0xfffd
	v_cndmask_b32_e64 v81, 0, -1, vcc_lo
	v_cmp_ne_u16_e32 vcc_lo, 0, v82
	v_bfe_i32 v54, v54, 0, 1
	v_lshrrev_b16 v73, 7, v73
	v_lshrrev_b16 v75, 7, v75
	;; [unrolled: 1-line block ×3, first 2 shown]
	v_lshlrev_b16 v38, 8, v38
	s_wait_alu 0xfffd
	v_cndmask_b32_e64 v82, 0, -1, vcc_lo
	v_cmp_ne_u16_e32 vcc_lo, 0, v83
	v_lshlrev_b32_e32 v79, 16, v79
	v_or_b32_e32 v66, v66, v48
	v_and_b32_e32 v89, 0xff, v67
	v_lshlrev_b16 v81, 8, v81
	v_and_b32_e32 v85, 0xffff, v85
	v_or_b32_e32 v88, v88, v80
	v_lshlrev_b16 v52, 8, v52
	v_and_b32_e32 v70, 0xff, v53
	v_lshlrev_b16 v55, 8, v55
	v_and_b32_e32 v72, 0xff, v56
	v_lshrrev_b16 v77, 7, v77
	v_and_b32_e32 v86, 0xff, v51
	v_lshlrev_b16 v69, 8, v69
	v_and_b32_e32 v87, 0xff, v54
	v_lshlrev_b16 v71, 8, v71
	v_bfe_i32 v73, v73, 0, 1
	v_bfe_i32 v75, v75, 0, 1
	s_wait_alu 0xfffd
	v_cndmask_b32_e64 v83, 0, -1, vcc_lo
	v_cmp_ne_u16_e32 vcc_lo, 0, v84
	v_or_b32_e32 v68, v68, v38
	v_lshlrev_b32_e32 v66, 16, v66
	v_or_b32_e32 v89, v89, v81
	v_or_b32_e32 v79, v85, v79
	v_and_b32_e32 v85, 0xffff, v88
	v_and_b32_e32 v74, 0xff, v58
	;; [unrolled: 1-line block ×3, first 2 shown]
	v_or_b32_e32 v70, v70, v52
	v_or_b32_e32 v72, v72, v55
	v_lshlrev_b16 v57, 8, v57
	v_lshlrev_b16 v36, 8, v36
	v_bfe_i32 v77, v77, 0, 1
	s_wait_alu 0xfffd
	v_cndmask_b32_e64 v84, 0, -1, vcc_lo
	v_or_b32_e32 v86, v86, v69
	v_or_b32_e32 v87, v87, v71
	v_and_b32_e32 v90, 0xff, v73
	v_lshlrev_b16 v82, 8, v82
	v_and_b32_e32 v91, 0xff, v75
	v_lshlrev_b16 v83, 8, v83
	v_lshlrev_b32_e32 v68, 16, v68
	v_and_b32_e32 v88, 0xffff, v89
	v_or_b32_e32 v66, v85, v66
	v_and_b32_e32 v78, 0xff, v61
	v_lshlrev_b32_e32 v70, 16, v70
	v_lshlrev_b32_e32 v72, 16, v72
	v_lshlrev_b16 v60, 8, v60
	v_or_b32_e32 v74, v74, v57
	v_or_b32_e32 v76, v76, v36
	v_and_b32_e32 v92, 0xff, v77
	v_lshlrev_b16 v84, 8, v84
	v_and_b32_e32 v86, 0xffff, v86
	v_and_b32_e32 v87, 0xffff, v87
	v_or_b32_e32 v90, v90, v82
	v_or_b32_e32 v91, v91, v83
	;; [unrolled: 1-line block ×3, first 2 shown]
	v_lshlrev_b16 v65, 8, v65
	v_or_b32_e32 v78, v78, v60
	v_lshlrev_b32_e32 v74, 16, v74
	v_lshlrev_b32_e32 v76, 16, v76
	v_or_b32_e32 v92, v92, v84
	v_or_b32_e32 v70, v86, v70
	v_or_b32_e32 v72, v87, v72
	v_and_b32_e32 v86, 0xffff, v90
	v_and_b32_e32 v87, 0xffff, v91
	v_lshlrev_b16 v49, 8, v49
	v_lshlrev_b16 v67, 8, v67
	v_lshlrev_b32_e32 v78, 16, v78
	v_and_b32_e32 v89, 0xffff, v92
	v_or_b32_e32 v74, v86, v74
	v_or_b32_e32 v76, v87, v76
	v_lshlrev_b16 v50, 8, v50
	v_lshlrev_b16 v51, 8, v51
	v_or_b32_e32 v78, v89, v78
	v_lshlrev_b16 v53, 8, v53
	v_lshlrev_b16 v54, 8, v54
	;; [unrolled: 1-line block ×11, first 2 shown]
	s_wait_loadcnt 0x9
	v_xor_b32_e32 v40, v40, v66
	s_wait_loadcnt 0x8
	v_xor_b32_e32 v41, v41, v68
	;; [unrolled: 2-line block ×5, first 2 shown]
	v_lshrrev_b32_e32 v66, 16, v40
	v_and_b32_e32 v68, 0xffffff00, v40
	v_lshlrev_b16 v40, 8, v40
	v_lshrrev_b32_e32 v70, 16, v41
	v_and_b32_e32 v72, 0xffffff00, v41
	v_lshlrev_b16 v41, 8, v41
	s_wait_loadcnt 0x4
	v_xor_b32_e32 v44, v44, v76
	v_sub_nc_i16 v40, v40, v65 clamp
	v_and_b32_e32 v65, 0xffffff00, v66
	v_lshlrev_b16 v66, 8, v66
	v_lshrrev_b32_e32 v74, 16, v42
	v_and_b32_e32 v76, 0xffffff00, v42
	v_lshlrev_b16 v42, 8, v42
	v_sub_nc_i16 v68, v68, v80 clamp
	v_sub_nc_i16 v41, v41, v67 clamp
	v_and_b32_e32 v67, 0xffffff00, v70
	v_lshlrev_b16 v70, 8, v70
	v_sub_nc_i16 v48, v65, v48 clamp
	v_sub_nc_i16 v49, v66, v49 clamp
	s_wait_loadcnt 0x3
	v_xor_b32_e32 v45, v45, v78
	s_wait_loadcnt 0x2
	v_xor_b32_e32 v47, v47, v79
	v_lshrrev_b32_e32 v78, 16, v46
	v_and_b32_e32 v79, 0xffffff00, v46
	v_lshlrev_b16 v46, 8, v46
	v_sub_nc_i16 v72, v72, v81 clamp
	v_sub_nc_i16 v42, v42, v51 clamp
	v_and_b32_e32 v51, 0xffffff00, v74
	v_lshlrev_b16 v74, 8, v74
	v_perm_b32 v40, v40, v68, 0xc0c0105
	v_sub_nc_i16 v38, v67, v38 clamp
	v_sub_nc_i16 v50, v70, v50 clamp
	v_perm_b32 v48, v49, v48, 0xc0c0105
	v_lshrrev_b32_e32 v85, 16, v43
	v_and_b32_e32 v86, 0xffffff00, v43
	v_lshlrev_b16 v43, 8, v43
	v_lshrrev_b32_e32 v87, 16, v44
	v_and_b32_e32 v88, 0xffffff00, v44
	v_lshlrev_b16 v44, 8, v44
	v_sub_nc_i16 v69, v76, v69 clamp
	v_sub_nc_i16 v46, v46, v54 clamp
	v_and_b32_e32 v54, 0xffffff00, v78
	v_lshlrev_b16 v76, 8, v78
	v_perm_b32 v41, v41, v72, 0xc0c0105
	v_sub_nc_i16 v51, v51, v52 clamp
	v_sub_nc_i16 v52, v74, v53 clamp
	v_perm_b32 v38, v50, v38, 0xc0c0105
	v_lshl_or_b32 v40, v48, 16, v40
	v_sub_nc_i16 v71, v79, v71 clamp
	v_sub_nc_i16 v43, v43, v73 clamp
	v_and_b32_e32 v73, 0xffffff00, v85
	v_lshlrev_b16 v79, 8, v85
	v_sub_nc_i16 v80, v88, v83 clamp
	v_sub_nc_i16 v44, v44, v75 clamp
	v_perm_b32 v42, v42, v69, 0xc0c0105
	v_sub_nc_i16 v49, v54, v55 clamp
	v_sub_nc_i16 v53, v76, v56 clamp
	v_perm_b32 v51, v52, v51, 0xc0c0105
	v_lshl_or_b32 v38, v38, 16, v41
	v_dot4_i32_iu8 v40, v40, v5, 0 neg_lo:[1,1,0]
	v_lshrrev_b32_e32 v89, 16, v45
	v_and_b32_e32 v90, 0xffffff00, v45
	v_lshlrev_b16 v45, 8, v45
	v_sub_nc_i16 v78, v86, v82 clamp
	v_and_b32_e32 v75, 0xffffff00, v87
	v_lshlrev_b16 v81, 8, v87
	v_perm_b32 v46, v46, v71, 0xc0c0105
	v_sub_nc_i16 v48, v73, v57 clamp
	v_sub_nc_i16 v50, v79, v58 clamp
	v_perm_b32 v41, v44, v80, 0xc0c0105
	v_perm_b32 v44, v53, v49, 0xc0c0105
	v_lshl_or_b32 v42, v51, 16, v42
	v_dot4_i32_iu8 v38, v38, v6, v40 neg_lo:[1,1,0]
	v_lshrrev_b32_e32 v91, 16, v47
	v_and_b32_e32 v92, 0xffffff00, v47
	v_lshlrev_b16 v47, 8, v47
	v_sub_nc_i16 v45, v45, v77 clamp
	v_and_b32_e32 v77, 0xffffff00, v89
	v_lshlrev_b16 v83, 8, v89
	v_perm_b32 v43, v43, v78, 0xc0c0105
	v_sub_nc_i16 v36, v75, v36 clamp
	v_sub_nc_i16 v40, v81, v59 clamp
	v_perm_b32 v48, v50, v48, 0xc0c0105
	v_lshl_or_b32 v44, v44, 16, v46
	v_dot4_i32_iu8 v38, v42, v7, v38 neg_lo:[1,1,0]
	v_sub_nc_i16 v82, v90, v84 clamp
	v_sub_nc_i16 v47, v47, v63 clamp
	v_and_b32_e32 v63, 0xffffff00, v91
	v_lshlrev_b16 v84, 8, v91
	v_sub_nc_i16 v42, v77, v60 clamp
	v_sub_nc_i16 v46, v83, v61 clamp
	v_perm_b32 v36, v40, v36, 0xc0c0105
	v_lshl_or_b32 v40, v48, 16, v43
	v_dot4_i32_iu8 v38, v44, v0, v38 neg_lo:[1,1,0]
	v_sub_nc_i16 v62, v92, v62 clamp
	v_perm_b32 v45, v45, v82, 0xc0c0105
	v_sub_nc_i16 v43, v63, v64 clamp
	v_sub_nc_i16 v39, v84, v39 clamp
	v_perm_b32 v42, v46, v42, 0xc0c0105
	v_lshl_or_b32 v36, v36, 16, v41
	v_dot4_i32_iu8 v38, v40, v1, v38 neg_lo:[1,1,0]
	v_perm_b32 v40, v47, v62, 0xc0c0105
	v_perm_b32 v39, v39, v43, 0xc0c0105
	v_lshl_or_b32 v41, v42, 16, v45
	s_wait_loadcnt 0x1
	v_lshrrev_b32_e32 v37, v21, v37
	v_dot4_i32_iu8 v36, v36, v2, v38 neg_lo:[1,1,0]
	s_wait_loadcnt 0x0
	v_cvt_f32_f16_e32 v35, v35
	v_lshl_or_b32 v38, v39, 16, v40
	v_lshlrev_b32_e32 v37, 1, v37
	v_dot4_i32_iu8 v36, v41, v3, v36 neg_lo:[1,1,0]
	s_delay_alu instid0(VALU_DEP_4) | instskip(NEXT) | instid1(VALU_DEP_3)
	v_mul_f32_e32 v35, v4, v35
	v_and_or_b32 v37, v37, 30, 1
	s_delay_alu instid0(VALU_DEP_3) | instskip(NEXT) | instid1(VALU_DEP_1)
	v_dot4_i32_iu8 v36, v38, v23, v36 neg_lo:[1,1,0]
	v_mul_lo_u32 v36, v36, v37
	s_delay_alu instid0(VALU_DEP_1) | instskip(NEXT) | instid1(VALU_DEP_1)
	v_cvt_f32_i32_e32 v36, v36
	v_fmac_f32_e32 v15, v35, v36
	s_branch .LBB255_11
.LBB255_14:
	s_or_b32 exec_lo, exec_lo, s13
.LBB255_15:
	s_delay_alu instid0(SALU_CYCLE_1)
	s_or_b32 exec_lo, exec_lo, s18
	s_load_b32 s4, s[0:1], 0x30
	s_wait_loadcnt 0x0
	; wave barrier
	global_inv scope:SCOPE_SE
	s_mov_b32 s5, exec_lo
	v_cmpx_eq_u32_e32 0, v13
	s_cbranch_execz .LBB255_43
; %bb.16:
	v_mbcnt_lo_u32_b32 v1, -1, 0
	s_delay_alu instid0(VALU_DEP_1) | instskip(SKIP_2) | instid1(VALU_DEP_3)
	v_xor_b32_e32 v0, 16, v1
	v_xor_b32_e32 v3, 8, v1
	;; [unrolled: 1-line block ×3, first 2 shown]
	v_cmp_gt_i32_e32 vcc_lo, 32, v0
	s_wait_alu 0xfffd
	v_cndmask_b32_e32 v0, v1, v0, vcc_lo
	v_cmp_gt_i32_e32 vcc_lo, 32, v3
	s_wait_alu 0xfffd
	v_cndmask_b32_e32 v3, v1, v3, vcc_lo
	v_cmp_gt_i32_e32 vcc_lo, 32, v4
	s_delay_alu instid0(VALU_DEP_2)
	v_lshlrev_b32_e32 v3, 2, v3
	v_lshlrev_b32_e32 v0, 2, v0
	s_wait_alu 0xfffd
	v_cndmask_b32_e32 v4, v1, v4, vcc_lo
	ds_bpermute_b32 v2, v0, v16
	s_wait_dscnt 0x0
	v_add_f32_e32 v2, v16, v2
	ds_bpermute_b32 v5, v3, v2
	s_wait_dscnt 0x0
	v_add_f32_e32 v2, v2, v5
	v_xor_b32_e32 v5, 2, v1
	s_delay_alu instid0(VALU_DEP_1) | instskip(SKIP_2) | instid1(VALU_DEP_1)
	v_cmp_gt_i32_e32 vcc_lo, 32, v5
	s_wait_alu 0xfffd
	v_cndmask_b32_e32 v5, v1, v5, vcc_lo
	v_lshlrev_b32_e32 v5, 2, v5
	v_lshlrev_b32_e32 v4, 2, v4
	ds_bpermute_b32 v6, v4, v2
	s_wait_dscnt 0x0
	v_add_f32_e32 v2, v2, v6
	v_xor_b32_e32 v6, 1, v1
	ds_bpermute_b32 v7, v5, v2
	v_cmp_gt_i32_e32 vcc_lo, 32, v6
	s_wait_alu 0xfffd
	v_cndmask_b32_e32 v1, v1, v6, vcc_lo
	v_cmp_ne_u32_e32 vcc_lo, 1, v14
	s_delay_alu instid0(VALU_DEP_2)
	v_lshlrev_b32_e32 v6, 2, v1
	s_wait_dscnt 0x0
	v_add_f32_e32 v1, v2, v7
	ds_bpermute_b32 v2, v6, v1
	s_cbranch_vccnz .LBB255_18
; %bb.17:
	ds_bpermute_b32 v0, v0, v15
	s_wait_dscnt 0x0
	v_add_f32_e32 v0, v15, v0
	ds_bpermute_b32 v3, v3, v0
	s_wait_dscnt 0x0
	v_add_f32_e32 v0, v0, v3
	;; [unrolled: 3-line block ×5, first 2 shown]
.LBB255_18:
	v_cmp_eq_u32_e32 vcc_lo, 0, v10
	s_and_b32 exec_lo, exec_lo, vcc_lo
	s_cbranch_execz .LBB255_43
; %bb.19:
	s_wait_dscnt 0x0
	v_add_f32_e32 v0, v1, v2
	v_cmp_ne_u32_e32 vcc_lo, 1, v14
	s_delay_alu instid0(VALU_DEP_2) | instskip(NEXT) | instid1(VALU_DEP_1)
	v_add_f32_e32 v1, v12, v0
	v_cndmask_b32_e64 v0, v0, v1, s2
	s_cbranch_vccnz .LBB255_42
; %bb.20:
	v_add_f32_e32 v1, v11, v15
	s_wait_kmcnt 0x0
	s_cmp_lt_i32 s4, 2
	s_mov_b32 s2, 0
	s_delay_alu instid0(VALU_DEP_1)
	v_cndmask_b32_e64 v1, v15, v1, s3
	s_cbranch_scc1 .LBB255_25
; %bb.21:
	s_cmp_gt_i32 s4, 2
	s_cbranch_scc0 .LBB255_26
; %bb.22:
	s_cmp_eq_u32 s4, 3
	s_cbranch_scc0 .LBB255_27
; %bb.23:
	v_max_num_f32_e32 v2, v1, v1
	s_mov_b32 s3, 0xc0e00000
	s_delay_alu instid0(VALU_DEP_1) | instskip(NEXT) | instid1(VALU_DEP_1)
	v_min_num_f32_e32 v2, 0x40e00000, v2
	v_mul_f32_e32 v3, 0xbfd9db23, v2
	s_delay_alu instid0(VALU_DEP_1) | instskip(NEXT) | instid1(VALU_DEP_1)
	v_mul_f32_e32 v4, 0x3fb8aa3b, v3
	v_fma_f32 v5, 0x3fb8aa3b, v3, -v4
	v_rndne_f32_e32 v6, v4
	s_delay_alu instid0(VALU_DEP_1) | instskip(NEXT) | instid1(VALU_DEP_1)
	v_dual_fmamk_f32 v5, v3, 0x32a5705f, v5 :: v_dual_sub_f32 v4, v4, v6
	v_add_f32_e32 v4, v4, v5
	v_cvt_i32_f32_e32 v5, v6
	v_cmp_ngt_f32_e32 vcc_lo, 0xc2ce8ed0, v3
	s_delay_alu instid0(VALU_DEP_3) | instskip(NEXT) | instid1(TRANS32_DEP_1)
	v_exp_f32_e32 v4, v4
	v_ldexp_f32 v4, v4, v5
	s_wait_alu 0xfffd
	s_delay_alu instid0(VALU_DEP_1) | instskip(SKIP_2) | instid1(VALU_DEP_2)
	v_cndmask_b32_e32 v4, 0, v4, vcc_lo
	v_cmp_nlt_f32_e32 vcc_lo, 0x42b17218, v3
	s_wait_alu 0xfffd
	v_cndmask_b32_e32 v3, 0x7f800000, v4, vcc_lo
	s_delay_alu instid0(VALU_DEP_1) | instskip(NEXT) | instid1(VALU_DEP_1)
	v_add_f32_e32 v3, 1.0, v3
	v_div_scale_f32 v4, null, v3, v3, v2
	v_div_scale_f32 v7, vcc_lo, v2, v3, v2
	s_delay_alu instid0(VALU_DEP_2) | instskip(NEXT) | instid1(TRANS32_DEP_1)
	v_rcp_f32_e32 v5, v4
	v_fma_f32 v6, -v4, v5, 1.0
	s_delay_alu instid0(VALU_DEP_1) | instskip(NEXT) | instid1(VALU_DEP_1)
	v_fmac_f32_e32 v5, v6, v5
	v_mul_f32_e32 v6, v7, v5
	s_delay_alu instid0(VALU_DEP_1) | instskip(NEXT) | instid1(VALU_DEP_1)
	v_fma_f32 v8, -v4, v6, v7
	v_fmac_f32_e32 v6, v8, v5
	s_delay_alu instid0(VALU_DEP_1) | instskip(SKIP_1) | instid1(VALU_DEP_1)
	v_fma_f32 v4, -v4, v6, v7
	s_wait_alu 0xfffd
	v_div_fmas_f32 v4, v4, v5, v6
	s_delay_alu instid0(VALU_DEP_1) | instskip(SKIP_2) | instid1(VALU_DEP_1)
	v_div_fixup_f32 v2, v4, v3, v2
	v_max_num_f32_e32 v7, v0, v0
	s_wait_alu 0xfffe
	v_minmax_num_f32 v5, v7, 0x40e00000, s3
	s_mov_b32 s3, 0
	s_delay_alu instid0(VALU_DEP_1) | instskip(NEXT) | instid1(VALU_DEP_1)
	v_add_f32_e32 v3, 1.0, v5
	v_mul_f32_e32 v2, v3, v2
	s_branch .LBB255_28
.LBB255_24:
                                        ; implicit-def: $sgpr29
	s_clause 0x1
	s_load_b32 s30, s[0:1], 0x50
	s_load_b32 s28, s[0:1], 0x78
	s_branch .LBB255_2
.LBB255_25:
	s_mov_b32 s3, 0
                                        ; implicit-def: $vgpr2
	s_cbranch_execnz .LBB255_32
	s_branch .LBB255_33
.LBB255_26:
	s_mov_b32 s5, -1
	s_mov_b32 s3, 0
                                        ; implicit-def: $vgpr2
	s_branch .LBB255_29
.LBB255_27:
	s_mov_b32 s3, -1
                                        ; implicit-def: $vgpr2
.LBB255_28:
	s_mov_b32 s5, 0
.LBB255_29:
	s_wait_alu 0xfffe
	s_and_b32 vcc_lo, exec_lo, s5
	s_wait_alu 0xfffe
	s_cbranch_vccz .LBB255_31
; %bb.30:
	v_mul_f32_e32 v2, 0xbfb8aa3b, v1
	v_cmp_nlt_f32_e32 vcc_lo, 0x42ce8ed0, v1
	s_delay_alu instid0(VALU_DEP_2) | instskip(SKIP_1) | instid1(VALU_DEP_2)
	v_rndne_f32_e32 v3, v2
	v_fma_f32 v4, 0xbfb8aa3b, v1, -v2
	v_sub_f32_e32 v2, v2, v3
	s_delay_alu instid0(VALU_DEP_2) | instskip(SKIP_1) | instid1(VALU_DEP_2)
	v_fmamk_f32 v4, v1, 0xb2a5705f, v4
	v_cvt_i32_f32_e32 v3, v3
	v_add_f32_e32 v2, v2, v4
	s_delay_alu instid0(VALU_DEP_1) | instskip(NEXT) | instid1(TRANS32_DEP_1)
	v_exp_f32_e32 v2, v2
	v_ldexp_f32 v2, v2, v3
	s_wait_alu 0xfffd
	s_delay_alu instid0(VALU_DEP_1) | instskip(SKIP_2) | instid1(VALU_DEP_2)
	v_cndmask_b32_e32 v2, 0, v2, vcc_lo
	v_cmp_ngt_f32_e32 vcc_lo, 0xc2b17218, v1
	s_wait_alu 0xfffd
	v_cndmask_b32_e32 v2, 0x7f800000, v2, vcc_lo
	s_delay_alu instid0(VALU_DEP_1) | instskip(NEXT) | instid1(VALU_DEP_1)
	v_add_f32_e32 v2, 1.0, v2
	v_div_scale_f32 v3, null, v2, v2, v1
	s_delay_alu instid0(VALU_DEP_1) | instskip(NEXT) | instid1(TRANS32_DEP_1)
	v_rcp_f32_e32 v4, v3
	v_fma_f32 v5, -v3, v4, 1.0
	s_delay_alu instid0(VALU_DEP_1) | instskip(SKIP_1) | instid1(VALU_DEP_1)
	v_fmac_f32_e32 v4, v5, v4
	v_div_scale_f32 v5, vcc_lo, v1, v2, v1
	v_mul_f32_e32 v6, v5, v4
	s_delay_alu instid0(VALU_DEP_1) | instskip(NEXT) | instid1(VALU_DEP_1)
	v_fma_f32 v7, -v3, v6, v5
	v_fmac_f32_e32 v6, v7, v4
	s_delay_alu instid0(VALU_DEP_1) | instskip(SKIP_1) | instid1(VALU_DEP_1)
	v_fma_f32 v3, -v3, v6, v5
	s_wait_alu 0xfffd
	v_div_fmas_f32 v3, v3, v4, v6
	s_delay_alu instid0(VALU_DEP_1) | instskip(NEXT) | instid1(VALU_DEP_1)
	v_div_fixup_f32 v2, v3, v2, v1
	v_mul_f32_e32 v2, v0, v2
.LBB255_31:
	s_branch .LBB255_33
.LBB255_32:
	s_cmp_lg_u32 s4, 1
	s_mov_b32 s2, -1
	s_cselect_b32 s3, -1, 0
.LBB255_33:
	s_wait_alu 0xfffe
	s_and_not1_b32 vcc_lo, exec_lo, s3
	s_wait_alu 0xfffe
	s_cbranch_vccz .LBB255_35
; %bb.34:
	s_and_not1_b32 vcc_lo, exec_lo, s2
	s_wait_alu 0xfffe
	s_cbranch_vccz .LBB255_36
	s_branch .LBB255_41
.LBB255_35:
	v_mul_f32_e32 v2, v1, v0
	s_cbranch_execnz .LBB255_41
.LBB255_36:
	v_mul_f32_e32 v2, 0x3d372713, v1
	v_mul_f32_e32 v3, 0x3f4c422a, v1
	s_delay_alu instid0(VALU_DEP_2) | instskip(NEXT) | instid1(VALU_DEP_1)
	v_fma_f32 v2, v1, v2, 1.0
	v_mul_f32_e32 v2, v3, v2
                                        ; implicit-def: $vgpr3
	s_delay_alu instid0(VALU_DEP_1)
	v_cmp_ngt_f32_e64 s2, 0x3f200000, |v2|
	s_and_saveexec_b32 s3, s2
	s_wait_alu 0xfffe
	s_xor_b32 s2, exec_lo, s3
	s_cbranch_execz .LBB255_38
; %bb.37:
	v_add_f32_e64 v3, |v2|, |v2|
	s_delay_alu instid0(VALU_DEP_1) | instskip(SKIP_1) | instid1(VALU_DEP_2)
	v_mul_f32_e32 v4, 0x3fb8aa3b, v3
	v_cmp_ngt_f32_e32 vcc_lo, 0xc2ce8ed0, v3
	v_rndne_f32_e32 v5, v4
	v_fma_f32 v6, 0x3fb8aa3b, v3, -v4
	s_delay_alu instid0(VALU_DEP_2) | instskip(NEXT) | instid1(VALU_DEP_2)
	v_sub_f32_e32 v4, v4, v5
	v_fmamk_f32 v6, v3, 0x32a5705f, v6
	v_cvt_i32_f32_e32 v5, v5
	s_delay_alu instid0(VALU_DEP_2) | instskip(NEXT) | instid1(VALU_DEP_1)
	v_add_f32_e32 v4, v4, v6
	v_exp_f32_e32 v4, v4
	s_delay_alu instid0(TRANS32_DEP_1) | instskip(SKIP_1) | instid1(VALU_DEP_1)
	v_ldexp_f32 v4, v4, v5
	s_wait_alu 0xfffd
	v_cndmask_b32_e32 v4, 0, v4, vcc_lo
	v_cmp_nlt_f32_e32 vcc_lo, 0x42b17218, v3
	s_wait_alu 0xfffd
	s_delay_alu instid0(VALU_DEP_2) | instskip(NEXT) | instid1(VALU_DEP_1)
	v_cndmask_b32_e32 v3, 0x7f800000, v4, vcc_lo
	v_add_f32_e32 v3, 1.0, v3
	s_delay_alu instid0(VALU_DEP_1) | instskip(NEXT) | instid1(TRANS32_DEP_1)
	v_rcp_f32_e32 v3, v3
	v_fma_f32 v3, v3, -2.0, 1.0
.LBB255_38:
	s_wait_alu 0xfffe
	s_and_not1_saveexec_b32 s2, s2
	s_cbranch_execz .LBB255_40
; %bb.39:
	v_mul_f32_e32 v3, v2, v2
	s_mov_b32 s3, 0xbbbac73d
	s_wait_alu 0xfffe
	s_delay_alu instid0(VALU_DEP_1) | instskip(NEXT) | instid1(VALU_DEP_1)
	v_fmaak_f32 v4, s3, v3, 0x3ca908c9
	v_fmaak_f32 v4, v3, v4, 0xbd5c1c4e
	s_delay_alu instid0(VALU_DEP_1) | instskip(NEXT) | instid1(VALU_DEP_1)
	v_fmaak_f32 v4, v3, v4, 0x3e088382
	v_fmaak_f32 v4, v3, v4, 0xbeaaaa99
	s_delay_alu instid0(VALU_DEP_1) | instskip(NEXT) | instid1(VALU_DEP_1)
	v_mul_f32_e64 v4, |v2|, v4
	v_fma_f32 v3, v3, v4, |v2|
.LBB255_40:
	s_wait_alu 0xfffe
	s_or_b32 exec_lo, exec_lo, s2
	s_delay_alu instid0(VALU_DEP_1) | instskip(NEXT) | instid1(VALU_DEP_1)
	v_bfi_b32 v2, 0x7fffffff, v3, v2
	v_dual_mul_f32 v1, 0.5, v1 :: v_dual_add_f32 v2, 1.0, v2
	s_delay_alu instid0(VALU_DEP_1) | instskip(NEXT) | instid1(VALU_DEP_1)
	v_mul_f32_e32 v1, v1, v2
	v_mul_f32_e32 v2, v0, v1
.LBB255_41:
	s_delay_alu instid0(VALU_DEP_1)
	v_mov_b32_e32 v0, v2
.LBB255_42:
	s_load_b64 s[0:1], s[0:1], 0x38
	s_mul_i32 s2, s6, s27
	s_wait_kmcnt 0x0
	s_mul_i32 s3, s26, s21
	s_wait_alu 0xfffe
	s_add_co_i32 s2, s2, ttmp9
	v_lshlrev_b32_e32 v1, 2, v10
	s_wait_alu 0xfffe
	s_add_co_i32 s2, s2, s3
	s_mov_b32 s3, 0
	s_wait_alu 0xfffe
	s_lshl_b64 s[2:3], s[2:3], 2
	s_wait_alu 0xfffe
	s_add_nc_u64 s[0:1], s[0:1], s[2:3]
	global_store_b32 v1, v0, s[0:1]
.LBB255_43:
	s_endpgm
	.section	.rodata,"a",@progbits
	.p2align	6, 0x0
	.amdhsa_kernel _ZL13mul_mat_vec_qIL9ggml_type21ELi1ELb1ELb0EEvPKvS2_PKi31ggml_cuda_mm_fusion_args_devicePfj15HIP_vector_typeIjLj3EEjjjS8_jjjS8_jjjj
		.amdhsa_group_segment_fixed_size 0
		.amdhsa_private_segment_fixed_size 0
		.amdhsa_kernarg_size 144
		.amdhsa_user_sgpr_count 2
		.amdhsa_user_sgpr_dispatch_ptr 0
		.amdhsa_user_sgpr_queue_ptr 0
		.amdhsa_user_sgpr_kernarg_segment_ptr 1
		.amdhsa_user_sgpr_dispatch_id 0
		.amdhsa_user_sgpr_private_segment_size 0
		.amdhsa_wavefront_size32 1
		.amdhsa_uses_dynamic_stack 0
		.amdhsa_enable_private_segment 0
		.amdhsa_system_sgpr_workgroup_id_x 1
		.amdhsa_system_sgpr_workgroup_id_y 1
		.amdhsa_system_sgpr_workgroup_id_z 1
		.amdhsa_system_sgpr_workgroup_info 0
		.amdhsa_system_vgpr_workitem_id 1
		.amdhsa_next_free_vgpr 93
		.amdhsa_next_free_sgpr 38
		.amdhsa_reserve_vcc 1
		.amdhsa_float_round_mode_32 0
		.amdhsa_float_round_mode_16_64 0
		.amdhsa_float_denorm_mode_32 3
		.amdhsa_float_denorm_mode_16_64 3
		.amdhsa_fp16_overflow 0
		.amdhsa_workgroup_processor_mode 1
		.amdhsa_memory_ordered 1
		.amdhsa_forward_progress 1
		.amdhsa_inst_pref_size 62
		.amdhsa_round_robin_scheduling 0
		.amdhsa_exception_fp_ieee_invalid_op 0
		.amdhsa_exception_fp_denorm_src 0
		.amdhsa_exception_fp_ieee_div_zero 0
		.amdhsa_exception_fp_ieee_overflow 0
		.amdhsa_exception_fp_ieee_underflow 0
		.amdhsa_exception_fp_ieee_inexact 0
		.amdhsa_exception_int_div_zero 0
	.end_amdhsa_kernel
	.section	.text._ZL13mul_mat_vec_qIL9ggml_type21ELi1ELb1ELb0EEvPKvS2_PKi31ggml_cuda_mm_fusion_args_devicePfj15HIP_vector_typeIjLj3EEjjjS8_jjjS8_jjjj,"axG",@progbits,_ZL13mul_mat_vec_qIL9ggml_type21ELi1ELb1ELb0EEvPKvS2_PKi31ggml_cuda_mm_fusion_args_devicePfj15HIP_vector_typeIjLj3EEjjjS8_jjjS8_jjjj,comdat
.Lfunc_end255:
	.size	_ZL13mul_mat_vec_qIL9ggml_type21ELi1ELb1ELb0EEvPKvS2_PKi31ggml_cuda_mm_fusion_args_devicePfj15HIP_vector_typeIjLj3EEjjjS8_jjjS8_jjjj, .Lfunc_end255-_ZL13mul_mat_vec_qIL9ggml_type21ELi1ELb1ELb0EEvPKvS2_PKi31ggml_cuda_mm_fusion_args_devicePfj15HIP_vector_typeIjLj3EEjjjS8_jjjS8_jjjj
                                        ; -- End function
	.set _ZL13mul_mat_vec_qIL9ggml_type21ELi1ELb1ELb0EEvPKvS2_PKi31ggml_cuda_mm_fusion_args_devicePfj15HIP_vector_typeIjLj3EEjjjS8_jjjS8_jjjj.num_vgpr, 93
	.set _ZL13mul_mat_vec_qIL9ggml_type21ELi1ELb1ELb0EEvPKvS2_PKi31ggml_cuda_mm_fusion_args_devicePfj15HIP_vector_typeIjLj3EEjjjS8_jjjS8_jjjj.num_agpr, 0
	.set _ZL13mul_mat_vec_qIL9ggml_type21ELi1ELb1ELb0EEvPKvS2_PKi31ggml_cuda_mm_fusion_args_devicePfj15HIP_vector_typeIjLj3EEjjjS8_jjjS8_jjjj.numbered_sgpr, 38
	.set _ZL13mul_mat_vec_qIL9ggml_type21ELi1ELb1ELb0EEvPKvS2_PKi31ggml_cuda_mm_fusion_args_devicePfj15HIP_vector_typeIjLj3EEjjjS8_jjjS8_jjjj.num_named_barrier, 0
	.set _ZL13mul_mat_vec_qIL9ggml_type21ELi1ELb1ELb0EEvPKvS2_PKi31ggml_cuda_mm_fusion_args_devicePfj15HIP_vector_typeIjLj3EEjjjS8_jjjS8_jjjj.private_seg_size, 0
	.set _ZL13mul_mat_vec_qIL9ggml_type21ELi1ELb1ELb0EEvPKvS2_PKi31ggml_cuda_mm_fusion_args_devicePfj15HIP_vector_typeIjLj3EEjjjS8_jjjS8_jjjj.uses_vcc, 1
	.set _ZL13mul_mat_vec_qIL9ggml_type21ELi1ELb1ELb0EEvPKvS2_PKi31ggml_cuda_mm_fusion_args_devicePfj15HIP_vector_typeIjLj3EEjjjS8_jjjS8_jjjj.uses_flat_scratch, 0
	.set _ZL13mul_mat_vec_qIL9ggml_type21ELi1ELb1ELb0EEvPKvS2_PKi31ggml_cuda_mm_fusion_args_devicePfj15HIP_vector_typeIjLj3EEjjjS8_jjjS8_jjjj.has_dyn_sized_stack, 0
	.set _ZL13mul_mat_vec_qIL9ggml_type21ELi1ELb1ELb0EEvPKvS2_PKi31ggml_cuda_mm_fusion_args_devicePfj15HIP_vector_typeIjLj3EEjjjS8_jjjS8_jjjj.has_recursion, 0
	.set _ZL13mul_mat_vec_qIL9ggml_type21ELi1ELb1ELb0EEvPKvS2_PKi31ggml_cuda_mm_fusion_args_devicePfj15HIP_vector_typeIjLj3EEjjjS8_jjjS8_jjjj.has_indirect_call, 0
	.section	.AMDGPU.csdata,"",@progbits
; Kernel info:
; codeLenInByte = 7872
; TotalNumSgprs: 40
; NumVgprs: 93
; ScratchSize: 0
; MemoryBound: 0
; FloatMode: 240
; IeeeMode: 1
; LDSByteSize: 0 bytes/workgroup (compile time only)
; SGPRBlocks: 0
; VGPRBlocks: 11
; NumSGPRsForWavesPerEU: 40
; NumVGPRsForWavesPerEU: 93
; Occupancy: 16
; WaveLimiterHint : 0
; COMPUTE_PGM_RSRC2:SCRATCH_EN: 0
; COMPUTE_PGM_RSRC2:USER_SGPR: 2
; COMPUTE_PGM_RSRC2:TRAP_HANDLER: 0
; COMPUTE_PGM_RSRC2:TGID_X_EN: 1
; COMPUTE_PGM_RSRC2:TGID_Y_EN: 1
; COMPUTE_PGM_RSRC2:TGID_Z_EN: 1
; COMPUTE_PGM_RSRC2:TIDIG_COMP_CNT: 1
	.section	.text._ZL13mul_mat_vec_qIL9ggml_type21ELi1ELb0ELb0EEvPKvS2_PKi31ggml_cuda_mm_fusion_args_devicePfj15HIP_vector_typeIjLj3EEjjjS8_jjjS8_jjjj,"axG",@progbits,_ZL13mul_mat_vec_qIL9ggml_type21ELi1ELb0ELb0EEvPKvS2_PKi31ggml_cuda_mm_fusion_args_devicePfj15HIP_vector_typeIjLj3EEjjjS8_jjjS8_jjjj,comdat
	.globl	_ZL13mul_mat_vec_qIL9ggml_type21ELi1ELb0ELb0EEvPKvS2_PKi31ggml_cuda_mm_fusion_args_devicePfj15HIP_vector_typeIjLj3EEjjjS8_jjjS8_jjjj ; -- Begin function _ZL13mul_mat_vec_qIL9ggml_type21ELi1ELb0ELb0EEvPKvS2_PKi31ggml_cuda_mm_fusion_args_devicePfj15HIP_vector_typeIjLj3EEjjjS8_jjjS8_jjjj
	.p2align	8
	.type	_ZL13mul_mat_vec_qIL9ggml_type21ELi1ELb0ELb0EEvPKvS2_PKi31ggml_cuda_mm_fusion_args_devicePfj15HIP_vector_typeIjLj3EEjjjS8_jjjS8_jjjj,@function
_ZL13mul_mat_vec_qIL9ggml_type21ELi1ELb0ELb0EEvPKvS2_PKi31ggml_cuda_mm_fusion_args_devicePfj15HIP_vector_typeIjLj3EEjjjS8_jjjS8_jjjj: ; @_ZL13mul_mat_vec_qIL9ggml_type21ELi1ELb0ELb0EEvPKvS2_PKi31ggml_cuda_mm_fusion_args_devicePfj15HIP_vector_typeIjLj3EEjjjS8_jjjS8_jjjj
; %bb.0:
	s_clause 0x1
	s_load_b64 s[2:3], s[0:1], 0x10
	s_load_b128 s[8:11], s[0:1], 0x40
	s_and_b32 s15, ttmp7, 0xffff
	s_wait_kmcnt 0x0
	s_cmp_lg_u64 s[2:3], 0
	s_cselect_b32 s12, -1, 0
	s_cmp_eq_u64 s[2:3], 0
	s_cbranch_scc1 .LBB256_13
; %bb.1:
	s_lshl_b32 s4, s15, 2
	s_load_b32 s19, s[2:3], s4 offset:0x0
	s_clause 0x1
	s_load_b128 s[4:7], s[0:1], 0x68
	s_load_b32 s20, s[0:1], 0x50
	s_cbranch_execnz .LBB256_3
.LBB256_2:
	s_load_b64 s[2:3], s[0:1], 0x5c
	s_wait_kmcnt 0x0
	s_mul_hi_u32 s2, s2, s15
	s_delay_alu instid0(SALU_CYCLE_1) | instskip(NEXT) | instid1(SALU_CYCLE_1)
	s_add_co_i32 s2, s15, s2
	s_lshr_b32 s19, s2, s3
.LBB256_3:
	s_load_b32 s21, s[0:1], 0x78
	s_and_not1_b32 vcc_lo, exec_lo, s12
	s_mov_b32 s2, s15
	s_cbranch_vccnz .LBB256_5
; %bb.4:
	s_mul_hi_u32 s2, s9, s15
	s_delay_alu instid0(SALU_CYCLE_1) | instskip(NEXT) | instid1(SALU_CYCLE_1)
	s_add_co_i32 s2, s15, s2
	s_lshr_b32 s2, s2, s10
	s_delay_alu instid0(SALU_CYCLE_1) | instskip(NEXT) | instid1(SALU_CYCLE_1)
	s_mul_i32 s2, s2, s11
	s_sub_co_i32 s2, s15, s2
.LBB256_5:
	s_load_b96 s[12:14], s[0:1], 0x80
	v_bfe_u32 v7, v0, 10, 10
	v_and_b32_e32 v6, 0x3ff, v0
	v_mov_b32_e32 v8, 0
	s_lshr_b32 s18, s8, 8
	s_lshr_b32 s16, ttmp7, 16
	s_mov_b32 s17, exec_lo
	v_lshl_or_b32 v0, v7, 5, v6
	s_delay_alu instid0(VALU_DEP_1) | instskip(NEXT) | instid1(VALU_DEP_1)
	v_lshrrev_b32_e32 v9, 3, v0
	v_cmpx_gt_u32_e64 s18, v9
	s_cbranch_execz .LBB256_9
; %bb.6:
	v_lshrrev_b32_e32 v0, 3, v0
	s_wait_kmcnt 0x0
	s_mul_i32 s2, s2, s5
	s_mov_b32 s3, 0
	v_and_b32_e32 v10, 7, v6
	s_mul_u64 s[8:9], s[2:3], 36
	s_mul_i32 s2, s13, s16
	v_mad_co_u64_u32 v[0:1], null, 0x120, v0, s[8:9]
	s_load_b128 s[8:11], s[0:1], 0x0
	v_lshlrev_b32_e32 v2, 1, v6
	v_mov_b32_e32 v8, 0
	s_mul_i32 s20, s20, ttmp9
	s_delay_alu instid0(VALU_DEP_2)
	v_and_b32_e32 v3, 14, v2
	v_mad_co_u64_u32 v[0:1], null, s2, 36, v[0:1]
	s_mul_hi_u32 s2, s7, s16
	v_bfe_u32 v11, v2, 2, 2
	v_lshlrev_b32_e32 v4, 1, v3
	s_wait_alu 0xfffe
	s_add_co_i32 s2, s16, s2
	v_lshlrev_b32_e32 v14, 1, v3
	s_wait_alu 0xfffe
	s_lshr_b32 s2, s2, s21
	v_mad_co_u64_u32 v[0:1], null, v10, 36, v[0:1]
	v_and_b32_e32 v12, 4, v4
	v_lshlrev_b32_e32 v13, 1, v4
	s_wait_alu 0xfffe
	s_mul_i32 s2, s2, s12
	s_mul_i32 s7, s19, s4
	s_wait_alu 0xfffe
	s_add_co_i32 s2, s2, s20
	s_wait_kmcnt 0x0
	v_add_co_u32 v0, vcc_lo, s10, v0
	s_delay_alu instid0(VALU_DEP_1) | instskip(SKIP_2) | instid1(VALU_DEP_2)
	v_add_co_ci_u32_e64 v1, null, s11, v1, vcc_lo
	s_wait_alu 0xfffe
	s_add_co_i32 s7, s7, s2
	v_add_co_u32 v4, vcc_lo, v0, 32
	s_wait_alu 0xfffd
	v_add_co_ci_u32_e64 v5, null, 0, v1, vcc_lo
.LBB256_7:                              ; =>This Inner Loop Header: Depth=1
	v_add_nc_u32_e32 v0, s7, v9
	s_getpc_b64 s[4:5]
	s_sext_i32_i16 s5, s5
	s_add_co_u32 s4, s4, _ZL9iq3s_grid@rel32@lo+8
	s_add_co_ci_u32 s5, s5, _ZL9iq3s_grid@rel32@hi+16
	v_add_nc_u32_e32 v9, 4, v9
	v_mad_co_i64_i32 v[15:16], null, 0x6e, v0, s[8:9]
	s_delay_alu instid0(VALU_DEP_2)
	v_cmp_le_u32_e64 s2, s18, v9
	s_or_b32 s3, s2, s3
	v_add_co_u32 v0, vcc_lo, v15, v13
	s_wait_alu 0xfffd
	v_add_co_ci_u32_e64 v1, null, 0, v16, vcc_lo
	v_add_co_u32 v2, vcc_lo, v15, v10
	s_wait_alu 0xfffd
	v_add_co_ci_u32_e64 v3, null, 0, v16, vcc_lo
	s_clause 0x1
	global_load_b64 v[17:18], v[0:1], off offset:2
	global_load_u8 v23, v[2:3], off offset:66
	global_load_b128 v[0:3], v[4:5], off offset:-32
	v_add_co_u32 v19, vcc_lo, v15, v14
	s_wait_alu 0xfffd
	v_add_co_ci_u32_e64 v20, null, 0, v16, vcc_lo
	v_add_co_u32 v21, vcc_lo, v15, v11
	s_wait_alu 0xfffd
	v_add_co_ci_u32_e64 v22, null, 0, v16, vcc_lo
	s_clause 0x2
	global_load_b32 v19, v[19:20], off offset:74
	global_load_u8 v20, v[21:22], off offset:106
	global_load_u16 v21, v[15:16], off
	s_wait_loadcnt 0x5
	v_bfe_u32 v22, v17, 8, 8
	s_wait_loadcnt 0x4
	v_lshlrev_b32_e32 v16, 8, v23
	s_wait_loadcnt 0x3
	v_cvt_f32_f16_e32 v0, v0
	v_and_b32_e32 v15, 0xff, v17
	v_lshlrev_b32_e32 v24, 7, v23
	v_bfe_u32 v25, v17, 16, 8
	v_lshlrev_b32_e32 v26, 6, v23
	v_lshrrev_b32_e32 v17, 24, v17
	v_lshlrev_b32_e32 v27, 5, v23
	v_and_b32_e32 v28, 0xff, v18
	v_lshlrev_b32_e32 v29, 4, v23
	v_bfe_u32 v30, v18, 8, 8
	v_lshlrev_b32_e32 v31, 3, v23
	v_bfe_u32 v32, v18, 16, 8
	v_lshlrev_b32_e32 v33, 2, v23
	v_lshrrev_b32_e32 v18, 24, v18
	v_lshlrev_b32_e32 v23, 1, v23
	v_and_or_b32 v15, 0x100, v16, v15
	v_and_or_b32 v16, 0x100, v24, v22
	;; [unrolled: 1-line block ×8, first 2 shown]
	v_lshlrev_b32_e32 v15, 2, v15
	v_lshlrev_b32_e32 v16, 2, v16
	;; [unrolled: 1-line block ×8, first 2 shown]
	s_clause 0x7
	global_load_b32 v26, v15, s[4:5]
	global_load_b32 v27, v16, s[4:5]
	;; [unrolled: 1-line block ×8, first 2 shown]
	s_clause 0x1
	global_load_b128 v[15:18], v[4:5], off offset:-16
	global_load_b32 v30, v[4:5], off
	s_wait_loadcnt 0xc
	v_and_b32_e32 v32, 0xff, v19
	v_lshlrev_b32_e32 v33, 21, v19
	v_lshrrev_b32_e32 v31, 16, v19
	v_lshlrev_b32_e32 v35, 17, v19
	v_lshrrev_b32_e32 v36, 6, v19
	v_lshrrev_b32_e32 v37, 1, v19
	;; [unrolled: 1-line block ×13, first 2 shown]
	v_lshl_or_b32 v33, v32, 7, v33
	v_lshrrev_b32_e32 v44, 18, v19
	v_lshrrev_b32_e32 v46, 22, v19
	;; [unrolled: 1-line block ×3, first 2 shown]
	v_lshl_or_b32 v32, v32, 3, v35
	v_bfe_i32 v35, v36, 0, 1
	v_and_b32_e32 v36, 0x180, v37
	v_bfe_i32 v37, v38, 0, 1
	v_bfe_i32 v38, v39, 0, 1
	v_and_b32_e32 v39, 0x180, v40
	v_bfe_i32 v40, v41, 0, 1
	v_bfe_i32 v41, v42, 0, 1
	v_lshl_or_b32 v42, v31, 21, v43
	v_lshl_or_b32 v31, v31, 17, v45
	v_and_or_b32 v45, 0x1fe00000, v48, v47
	v_lshrrev_b16 v47, 8, v50
	v_lshrrev_b16 v48, 7, v50
	v_cmp_ne_u16_e32 vcc_lo, 0, v51
	v_and_b32_e32 v50, 0x1800180, v33
	v_bfe_u32 v33, v33, 24, 1
	v_bfe_i32 v43, v44, 0, 1
	v_bfe_i32 v44, v46, 0, 1
	;; [unrolled: 1-line block ×3, first 2 shown]
	s_wait_alu 0xfffd
	v_cndmask_b32_e64 v49, 0, -1, vcc_lo
	v_and_b32_e32 v52, 0x1800180, v32
	v_bfe_u32 v32, v32, 24, 1
	v_cmp_ne_u16_e32 vcc_lo, 0, v33
	v_lshrrev_b16 v54, 8, v36
	v_lshrrev_b16 v56, 8, v39
	v_and_b32_e32 v58, 0x1800180, v42
	v_bfe_u32 v42, v42, 24, 1
	s_wait_alu 0xfffd
	v_cndmask_b32_e64 v33, 0, -1, vcc_lo
	v_cmp_ne_u16_e32 vcc_lo, 0, v32
	v_and_b32_e32 v60, 0x1800180, v31
	v_bfe_u32 v31, v31, 24, 1
	v_and_b32_e32 v62, 0x1800180, v45
	v_bfe_u32 v45, v45, 24, 1
	s_wait_alu 0xfffd
	v_cndmask_b32_e64 v32, 0, -1, vcc_lo
	v_cmp_ne_u16_e32 vcc_lo, 0, v54
	v_lshrrev_b32_e32 v34, 2, v19
	v_lshrrev_b32_e32 v19, 30, v19
	v_lshrrev_b16 v65, 8, v50
	v_bfe_i32 v47, v47, 0, 1
	s_wait_alu 0xfffd
	v_cndmask_b32_e64 v54, 0, -1, vcc_lo
	v_cmp_ne_u16_e32 vcc_lo, 0, v56
	v_bfe_i32 v19, v19, 0, 1
	v_bfe_i32 v48, v48, 0, 1
	v_lshrrev_b16 v50, 7, v50
	v_lshrrev_b16 v66, 8, v52
	s_wait_alu 0xfffd
	v_cndmask_b32_e64 v56, 0, -1, vcc_lo
	v_cmp_ne_u16_e32 vcc_lo, 0, v42
	v_bfe_i32 v34, v34, 0, 1
	v_and_b32_e32 v64, 0xff, v19
	v_lshlrev_b16 v49, 8, v49
	v_lshrrev_b16 v52, 7, v52
	s_wait_alu 0xfffd
	v_cndmask_b32_e64 v42, 0, -1, vcc_lo
	v_cmp_ne_u16_e32 vcc_lo, 0, v31
	v_lshrrev_b16 v67, 8, v58
	v_lshlrev_b16 v47, 8, v47
	v_and_b32_e32 v70, 0xff, v48
	v_bfe_i32 v50, v50, 0, 1
	s_wait_alu 0xfffd
	v_cndmask_b32_e64 v31, 0, -1, vcc_lo
	v_cmp_ne_u16_e32 vcc_lo, 0, v45
	v_and_b32_e32 v51, 0xff, v34
	v_lshrrev_b16 v36, 7, v36
	v_lshrrev_b16 v39, 7, v39
	;; [unrolled: 1-line block ×3, first 2 shown]
	s_wait_alu 0xfffd
	v_cndmask_b32_e64 v45, 0, -1, vcc_lo
	v_cmp_ne_u16_e32 vcc_lo, 0, v65
	v_or_b32_e32 v64, v64, v49
	v_lshlrev_b16 v33, 8, v33
	v_bfe_i32 v52, v52, 0, 1
	v_or_b32_e32 v70, v70, v47
	s_wait_alu 0xfffd
	v_cndmask_b32_e64 v65, 0, -1, vcc_lo
	v_cmp_ne_u16_e32 vcc_lo, 0, v66
	v_and_b32_e32 v73, 0xff, v50
	v_and_b32_e32 v53, 0xff, v35
	v_bfe_i32 v36, v36, 0, 1
	v_lshlrev_b16 v65, 8, v65
	s_wait_alu 0xfffd
	v_cndmask_b32_e64 v66, 0, -1, vcc_lo
	v_cmp_ne_u16_e32 vcc_lo, 0, v67
	v_bfe_i32 v39, v39, 0, 1
	v_lshrrev_b16 v58, 7, v58
	v_lshrrev_b16 v60, 7, v60
	;; [unrolled: 1-line block ×3, first 2 shown]
	v_lshlrev_b16 v32, 8, v32
	s_wait_alu 0xfffd
	v_cndmask_b32_e64 v67, 0, -1, vcc_lo
	v_cmp_ne_u16_e32 vcc_lo, 0, v68
	v_lshlrev_b32_e32 v64, 16, v64
	v_or_b32_e32 v51, v51, v33
	v_and_b32_e32 v74, 0xff, v52
	v_lshlrev_b16 v66, 8, v66
	v_and_b32_e32 v70, 0xffff, v70
	v_or_b32_e32 v73, v73, v65
	v_lshlrev_b16 v37, 8, v37
	v_and_b32_e32 v55, 0xff, v38
	v_lshlrev_b16 v40, 8, v40
	v_and_b32_e32 v57, 0xff, v41
	v_lshrrev_b16 v62, 7, v62
	v_and_b32_e32 v71, 0xff, v36
	v_lshlrev_b16 v54, 8, v54
	v_and_b32_e32 v72, 0xff, v39
	v_lshlrev_b16 v56, 8, v56
	v_bfe_i32 v58, v58, 0, 1
	v_bfe_i32 v60, v60, 0, 1
	s_wait_alu 0xfffd
	v_cndmask_b32_e64 v68, 0, -1, vcc_lo
	v_cmp_ne_u16_e32 vcc_lo, 0, v69
	v_or_b32_e32 v53, v53, v32
	v_lshlrev_b32_e32 v51, 16, v51
	v_or_b32_e32 v74, v74, v66
	v_or_b32_e32 v64, v70, v64
	v_and_b32_e32 v70, 0xffff, v73
	v_and_b32_e32 v59, 0xff, v43
	;; [unrolled: 1-line block ×3, first 2 shown]
	v_or_b32_e32 v55, v55, v37
	v_or_b32_e32 v57, v57, v40
	v_lshlrev_b16 v42, 8, v42
	v_lshlrev_b16 v31, 8, v31
	v_bfe_i32 v62, v62, 0, 1
	s_wait_alu 0xfffd
	v_cndmask_b32_e64 v69, 0, -1, vcc_lo
	v_or_b32_e32 v71, v71, v54
	v_or_b32_e32 v72, v72, v56
	v_and_b32_e32 v75, 0xff, v58
	v_lshlrev_b16 v67, 8, v67
	v_and_b32_e32 v76, 0xff, v60
	v_lshlrev_b16 v68, 8, v68
	v_lshlrev_b32_e32 v53, 16, v53
	v_and_b32_e32 v73, 0xffff, v74
	v_or_b32_e32 v51, v70, v51
	v_and_b32_e32 v63, 0xff, v46
	v_lshlrev_b32_e32 v55, 16, v55
	v_lshlrev_b32_e32 v57, 16, v57
	v_lshlrev_b16 v45, 8, v45
	v_or_b32_e32 v59, v59, v42
	v_or_b32_e32 v61, v61, v31
	v_and_b32_e32 v77, 0xff, v62
	v_lshlrev_b16 v69, 8, v69
	v_and_b32_e32 v71, 0xffff, v71
	v_and_b32_e32 v72, 0xffff, v72
	v_or_b32_e32 v75, v75, v67
	v_or_b32_e32 v76, v76, v68
	;; [unrolled: 1-line block ×3, first 2 shown]
	v_lshlrev_b16 v50, 8, v50
	v_or_b32_e32 v63, v63, v45
	v_lshlrev_b32_e32 v59, 16, v59
	v_lshlrev_b32_e32 v61, 16, v61
	v_or_b32_e32 v77, v77, v69
	v_or_b32_e32 v55, v71, v55
	;; [unrolled: 1-line block ×3, first 2 shown]
	v_and_b32_e32 v71, 0xffff, v75
	v_and_b32_e32 v72, 0xffff, v76
	v_lshlrev_b16 v34, 8, v34
	v_lshlrev_b16 v52, 8, v52
	v_lshlrev_b32_e32 v63, 16, v63
	v_and_b32_e32 v74, 0xffff, v77
	v_or_b32_e32 v59, v71, v59
	v_or_b32_e32 v61, v72, v61
	v_lshlrev_b16 v35, 8, v35
	v_lshlrev_b16 v36, 8, v36
	v_or_b32_e32 v63, v74, v63
	v_lshlrev_b16 v38, 8, v38
	v_lshlrev_b16 v39, 8, v39
	;; [unrolled: 1-line block ×11, first 2 shown]
	s_wait_loadcnt 0xb
	v_lshrrev_b32_e32 v20, v12, v20
	v_add_co_u32 v4, vcc_lo, 0x480, v4
	s_wait_alu 0xfffd
	v_add_co_ci_u32_e64 v5, null, 0, v5, vcc_lo
	s_wait_loadcnt 0x9
	v_xor_b32_e32 v26, v26, v51
	s_wait_loadcnt 0x8
	v_xor_b32_e32 v27, v27, v53
	s_wait_loadcnt 0x7
	v_xor_b32_e32 v22, v22, v55
	s_wait_loadcnt 0x6
	v_xor_b32_e32 v28, v28, v57
	s_wait_loadcnt 0x5
	v_xor_b32_e32 v23, v23, v59
	v_lshrrev_b32_e32 v51, 16, v26
	v_and_b32_e32 v53, 0xffffff00, v26
	v_lshlrev_b16 v26, 8, v26
	v_lshrrev_b32_e32 v55, 16, v27
	v_and_b32_e32 v57, 0xffffff00, v27
	v_lshlrev_b16 v27, 8, v27
	s_wait_loadcnt 0x4
	v_xor_b32_e32 v24, v24, v61
	v_sub_nc_i16 v26, v26, v50 clamp
	v_and_b32_e32 v50, 0xffffff00, v51
	v_lshlrev_b16 v51, 8, v51
	v_lshrrev_b32_e32 v59, 16, v22
	v_and_b32_e32 v61, 0xffffff00, v22
	v_lshlrev_b16 v22, 8, v22
	v_sub_nc_i16 v53, v53, v65 clamp
	v_sub_nc_i16 v27, v27, v52 clamp
	v_and_b32_e32 v52, 0xffffff00, v55
	v_lshlrev_b16 v55, 8, v55
	v_sub_nc_i16 v33, v50, v33 clamp
	v_sub_nc_i16 v34, v51, v34 clamp
	s_wait_loadcnt 0x3
	v_xor_b32_e32 v25, v25, v63
	s_wait_loadcnt 0x2
	v_xor_b32_e32 v29, v29, v64
	v_lshrrev_b32_e32 v63, 16, v28
	v_and_b32_e32 v64, 0xffffff00, v28
	v_lshlrev_b16 v28, 8, v28
	v_sub_nc_i16 v57, v57, v66 clamp
	v_sub_nc_i16 v22, v22, v36 clamp
	v_and_b32_e32 v36, 0xffffff00, v59
	v_lshlrev_b16 v59, 8, v59
	v_perm_b32 v26, v26, v53, 0xc0c0105
	v_sub_nc_i16 v32, v52, v32 clamp
	v_sub_nc_i16 v35, v55, v35 clamp
	v_perm_b32 v33, v34, v33, 0xc0c0105
	v_lshrrev_b32_e32 v70, 16, v23
	v_and_b32_e32 v71, 0xffffff00, v23
	v_lshlrev_b16 v23, 8, v23
	v_sub_nc_i16 v54, v61, v54 clamp
	v_sub_nc_i16 v28, v28, v39 clamp
	v_and_b32_e32 v39, 0xffffff00, v63
	v_lshlrev_b16 v61, 8, v63
	v_perm_b32 v27, v27, v57, 0xc0c0105
	v_sub_nc_i16 v36, v36, v37 clamp
	v_sub_nc_i16 v37, v59, v38 clamp
	v_perm_b32 v32, v35, v32, 0xc0c0105
	v_lshl_or_b32 v26, v33, 16, v26
	v_lshrrev_b32_e32 v72, 16, v24
	v_and_b32_e32 v73, 0xffffff00, v24
	v_lshlrev_b16 v24, 8, v24
	v_sub_nc_i16 v56, v64, v56 clamp
	v_sub_nc_i16 v23, v23, v58 clamp
	v_and_b32_e32 v58, 0xffffff00, v70
	v_lshlrev_b16 v64, 8, v70
	v_perm_b32 v22, v22, v54, 0xc0c0105
	v_sub_nc_i16 v38, v39, v40 clamp
	v_sub_nc_i16 v39, v61, v41 clamp
	v_perm_b32 v33, v37, v36, 0xc0c0105
	v_lshl_or_b32 v27, v32, 16, v27
	v_dot4_i32_iu8 v1, v26, v1, 0 neg_lo:[1,1,0]
	v_lshrrev_b32_e32 v74, 16, v25
	v_and_b32_e32 v75, 0xffffff00, v25
	v_lshlrev_b16 v25, 8, v25
	v_sub_nc_i16 v63, v71, v67 clamp
	v_sub_nc_i16 v24, v24, v60 clamp
	v_and_b32_e32 v60, 0xffffff00, v72
	v_lshlrev_b16 v66, 8, v72
	v_perm_b32 v28, v28, v56, 0xc0c0105
	v_sub_nc_i16 v40, v58, v42 clamp
	v_sub_nc_i16 v41, v64, v43 clamp
	v_perm_b32 v32, v39, v38, 0xc0c0105
	v_lshl_or_b32 v22, v33, 16, v22
	v_dot4_i32_iu8 v1, v27, v2, v1 neg_lo:[1,1,0]
	;; [unrolled: 13-line block ×3, first 2 shown]
	v_sub_nc_i16 v67, v75, v69 clamp
	v_sub_nc_i16 v29, v29, v48 clamp
	v_and_b32_e32 v48, 0xffffff00, v76
	v_lshlrev_b16 v69, 8, v76
	v_perm_b32 v24, v24, v65, 0xc0c0105
	v_sub_nc_i16 v26, v62, v45 clamp
	v_sub_nc_i16 v2, v68, v46 clamp
	v_perm_b32 v22, v34, v31, 0xc0c0105
	v_lshl_or_b32 v23, v27, 16, v23
	s_wait_loadcnt 0x1
	v_dot4_i32_iu8 v1, v28, v15, v1 neg_lo:[1,1,0]
	v_sub_nc_i16 v47, v77, v47 clamp
	v_perm_b32 v25, v25, v67, 0xc0c0105
	v_sub_nc_i16 v3, v48, v49 clamp
	v_sub_nc_i16 v15, v69, v19 clamp
	v_perm_b32 v2, v2, v26, 0xc0c0105
	v_lshl_or_b32 v19, v22, 16, v24
	v_dot4_i32_iu8 v1, v23, v16, v1 neg_lo:[1,1,0]
	v_perm_b32 v16, v29, v47, 0xc0c0105
	v_perm_b32 v3, v15, v3, 0xc0c0105
	v_lshl_or_b32 v2, v2, 16, v25
	v_lshlrev_b32_e32 v15, 1, v20
	v_dot4_i32_iu8 v1, v19, v17, v1 neg_lo:[1,1,0]
	s_delay_alu instid0(VALU_DEP_4) | instskip(NEXT) | instid1(VALU_DEP_2)
	v_lshl_or_b32 v3, v3, 16, v16
	v_dot4_i32_iu8 v1, v2, v18, v1 neg_lo:[1,1,0]
	s_delay_alu instid0(VALU_DEP_4) | instskip(SKIP_1) | instid1(VALU_DEP_2)
	v_and_or_b32 v2, v15, 30, 1
	s_wait_loadcnt 0x0
	v_dot4_i32_iu8 v1, v3, v30, v1 neg_lo:[1,1,0]
	s_delay_alu instid0(VALU_DEP_1) | instskip(SKIP_1) | instid1(VALU_DEP_1)
	v_mul_lo_u32 v1, v1, v2
	v_cvt_f32_f16_e32 v2, v21
	v_mul_f32_e32 v0, v2, v0
	s_delay_alu instid0(VALU_DEP_3) | instskip(NEXT) | instid1(VALU_DEP_1)
	v_cvt_f32_i32_e32 v1, v1
	v_fmac_f32_e32 v8, v0, v1
	s_wait_alu 0xfffe
	s_and_not1_b32 exec_lo, exec_lo, s3
	s_cbranch_execnz .LBB256_7
; %bb.8:
	s_or_b32 exec_lo, exec_lo, s3
.LBB256_9:
	s_delay_alu instid0(SALU_CYCLE_1)
	s_or_b32 exec_lo, exec_lo, s17
	; wave barrier
	global_inv scope:SCOPE_SE
	s_mov_b32 s2, exec_lo
	v_cmpx_eq_u32_e32 0, v7
	s_cbranch_execz .LBB256_12
; %bb.10:
	v_mbcnt_lo_u32_b32 v0, -1, 0
	s_delay_alu instid0(VALU_DEP_1) | instskip(SKIP_2) | instid1(VALU_DEP_3)
	v_xor_b32_e32 v1, 16, v0
	v_xor_b32_e32 v2, 8, v0
	;; [unrolled: 1-line block ×3, first 2 shown]
	v_cmp_gt_i32_e32 vcc_lo, 32, v1
	s_wait_alu 0xfffd
	v_cndmask_b32_e32 v1, v0, v1, vcc_lo
	v_cmp_gt_i32_e32 vcc_lo, 32, v2
	s_wait_alu 0xfffd
	v_cndmask_b32_e32 v2, v0, v2, vcc_lo
	;; [unrolled: 3-line block ×3, first 2 shown]
	s_delay_alu instid0(VALU_DEP_1)
	v_lshlrev_b32_e32 v3, 2, v3
	v_lshlrev_b32_e32 v2, 2, v2
	;; [unrolled: 1-line block ×3, first 2 shown]
	ds_bpermute_b32 v1, v1, v8
	s_wait_dscnt 0x0
	v_add_f32_e32 v1, v8, v1
	ds_bpermute_b32 v2, v2, v1
	s_wait_dscnt 0x0
	v_add_f32_e32 v1, v1, v2
	ds_bpermute_b32 v2, v3, v1
	v_xor_b32_e32 v3, 2, v0
	s_delay_alu instid0(VALU_DEP_1) | instskip(SKIP_2) | instid1(VALU_DEP_1)
	v_cmp_gt_i32_e32 vcc_lo, 32, v3
	s_wait_alu 0xfffd
	v_cndmask_b32_e32 v3, v0, v3, vcc_lo
	v_lshlrev_b32_e32 v3, 2, v3
	s_wait_dscnt 0x0
	v_add_f32_e32 v1, v1, v2
	ds_bpermute_b32 v2, v3, v1
	v_xor_b32_e32 v3, 1, v0
	s_delay_alu instid0(VALU_DEP_1) | instskip(SKIP_4) | instid1(VALU_DEP_2)
	v_cmp_gt_i32_e32 vcc_lo, 32, v3
	s_wait_alu 0xfffd
	v_cndmask_b32_e32 v0, v0, v3, vcc_lo
	v_cmp_eq_u32_e32 vcc_lo, 0, v6
	s_wait_dscnt 0x0
	v_dual_add_f32 v0, v1, v2 :: v_dual_lshlrev_b32 v3, 2, v0
	ds_bpermute_b32 v1, v3, v0
	s_and_b32 exec_lo, exec_lo, vcc_lo
	s_cbranch_execz .LBB256_12
; %bb.11:
	s_load_b64 s[0:1], s[0:1], 0x38
	s_wait_kmcnt 0x0
	s_mul_i32 s2, s6, s15
	s_mul_i32 s3, s14, s16
	s_wait_alu 0xfffe
	s_add_co_i32 s2, s2, ttmp9
	s_wait_dscnt 0x0
	v_dual_add_f32 v0, v0, v1 :: v_dual_mov_b32 v1, 0
	s_wait_alu 0xfffe
	s_add_co_i32 s2, s2, s3
	s_mov_b32 s3, 0
	s_wait_alu 0xfffe
	s_lshl_b64 s[2:3], s[2:3], 2
	s_wait_alu 0xfffe
	s_add_nc_u64 s[0:1], s[0:1], s[2:3]
	global_store_b32 v1, v0, s[0:1]
.LBB256_12:
	s_endpgm
.LBB256_13:
                                        ; implicit-def: $sgpr19
	s_clause 0x1
	s_load_b128 s[4:7], s[0:1], 0x68
	s_load_b32 s20, s[0:1], 0x50
	s_branch .LBB256_2
	.section	.rodata,"a",@progbits
	.p2align	6, 0x0
	.amdhsa_kernel _ZL13mul_mat_vec_qIL9ggml_type21ELi1ELb0ELb0EEvPKvS2_PKi31ggml_cuda_mm_fusion_args_devicePfj15HIP_vector_typeIjLj3EEjjjS8_jjjS8_jjjj
		.amdhsa_group_segment_fixed_size 0
		.amdhsa_private_segment_fixed_size 0
		.amdhsa_kernarg_size 144
		.amdhsa_user_sgpr_count 2
		.amdhsa_user_sgpr_dispatch_ptr 0
		.amdhsa_user_sgpr_queue_ptr 0
		.amdhsa_user_sgpr_kernarg_segment_ptr 1
		.amdhsa_user_sgpr_dispatch_id 0
		.amdhsa_user_sgpr_private_segment_size 0
		.amdhsa_wavefront_size32 1
		.amdhsa_uses_dynamic_stack 0
		.amdhsa_enable_private_segment 0
		.amdhsa_system_sgpr_workgroup_id_x 1
		.amdhsa_system_sgpr_workgroup_id_y 1
		.amdhsa_system_sgpr_workgroup_id_z 1
		.amdhsa_system_sgpr_workgroup_info 0
		.amdhsa_system_vgpr_workitem_id 1
		.amdhsa_next_free_vgpr 78
		.amdhsa_next_free_sgpr 22
		.amdhsa_reserve_vcc 1
		.amdhsa_float_round_mode_32 0
		.amdhsa_float_round_mode_16_64 0
		.amdhsa_float_denorm_mode_32 3
		.amdhsa_float_denorm_mode_16_64 3
		.amdhsa_fp16_overflow 0
		.amdhsa_workgroup_processor_mode 1
		.amdhsa_memory_ordered 1
		.amdhsa_forward_progress 1
		.amdhsa_inst_pref_size 29
		.amdhsa_round_robin_scheduling 0
		.amdhsa_exception_fp_ieee_invalid_op 0
		.amdhsa_exception_fp_denorm_src 0
		.amdhsa_exception_fp_ieee_div_zero 0
		.amdhsa_exception_fp_ieee_overflow 0
		.amdhsa_exception_fp_ieee_underflow 0
		.amdhsa_exception_fp_ieee_inexact 0
		.amdhsa_exception_int_div_zero 0
	.end_amdhsa_kernel
	.section	.text._ZL13mul_mat_vec_qIL9ggml_type21ELi1ELb0ELb0EEvPKvS2_PKi31ggml_cuda_mm_fusion_args_devicePfj15HIP_vector_typeIjLj3EEjjjS8_jjjS8_jjjj,"axG",@progbits,_ZL13mul_mat_vec_qIL9ggml_type21ELi1ELb0ELb0EEvPKvS2_PKi31ggml_cuda_mm_fusion_args_devicePfj15HIP_vector_typeIjLj3EEjjjS8_jjjS8_jjjj,comdat
.Lfunc_end256:
	.size	_ZL13mul_mat_vec_qIL9ggml_type21ELi1ELb0ELb0EEvPKvS2_PKi31ggml_cuda_mm_fusion_args_devicePfj15HIP_vector_typeIjLj3EEjjjS8_jjjS8_jjjj, .Lfunc_end256-_ZL13mul_mat_vec_qIL9ggml_type21ELi1ELb0ELb0EEvPKvS2_PKi31ggml_cuda_mm_fusion_args_devicePfj15HIP_vector_typeIjLj3EEjjjS8_jjjS8_jjjj
                                        ; -- End function
	.set _ZL13mul_mat_vec_qIL9ggml_type21ELi1ELb0ELb0EEvPKvS2_PKi31ggml_cuda_mm_fusion_args_devicePfj15HIP_vector_typeIjLj3EEjjjS8_jjjS8_jjjj.num_vgpr, 78
	.set _ZL13mul_mat_vec_qIL9ggml_type21ELi1ELb0ELb0EEvPKvS2_PKi31ggml_cuda_mm_fusion_args_devicePfj15HIP_vector_typeIjLj3EEjjjS8_jjjS8_jjjj.num_agpr, 0
	.set _ZL13mul_mat_vec_qIL9ggml_type21ELi1ELb0ELb0EEvPKvS2_PKi31ggml_cuda_mm_fusion_args_devicePfj15HIP_vector_typeIjLj3EEjjjS8_jjjS8_jjjj.numbered_sgpr, 22
	.set _ZL13mul_mat_vec_qIL9ggml_type21ELi1ELb0ELb0EEvPKvS2_PKi31ggml_cuda_mm_fusion_args_devicePfj15HIP_vector_typeIjLj3EEjjjS8_jjjS8_jjjj.num_named_barrier, 0
	.set _ZL13mul_mat_vec_qIL9ggml_type21ELi1ELb0ELb0EEvPKvS2_PKi31ggml_cuda_mm_fusion_args_devicePfj15HIP_vector_typeIjLj3EEjjjS8_jjjS8_jjjj.private_seg_size, 0
	.set _ZL13mul_mat_vec_qIL9ggml_type21ELi1ELb0ELb0EEvPKvS2_PKi31ggml_cuda_mm_fusion_args_devicePfj15HIP_vector_typeIjLj3EEjjjS8_jjjS8_jjjj.uses_vcc, 1
	.set _ZL13mul_mat_vec_qIL9ggml_type21ELi1ELb0ELb0EEvPKvS2_PKi31ggml_cuda_mm_fusion_args_devicePfj15HIP_vector_typeIjLj3EEjjjS8_jjjS8_jjjj.uses_flat_scratch, 0
	.set _ZL13mul_mat_vec_qIL9ggml_type21ELi1ELb0ELb0EEvPKvS2_PKi31ggml_cuda_mm_fusion_args_devicePfj15HIP_vector_typeIjLj3EEjjjS8_jjjS8_jjjj.has_dyn_sized_stack, 0
	.set _ZL13mul_mat_vec_qIL9ggml_type21ELi1ELb0ELb0EEvPKvS2_PKi31ggml_cuda_mm_fusion_args_devicePfj15HIP_vector_typeIjLj3EEjjjS8_jjjS8_jjjj.has_recursion, 0
	.set _ZL13mul_mat_vec_qIL9ggml_type21ELi1ELb0ELb0EEvPKvS2_PKi31ggml_cuda_mm_fusion_args_devicePfj15HIP_vector_typeIjLj3EEjjjS8_jjjS8_jjjj.has_indirect_call, 0
	.section	.AMDGPU.csdata,"",@progbits
; Kernel info:
; codeLenInByte = 3692
; TotalNumSgprs: 24
; NumVgprs: 78
; ScratchSize: 0
; MemoryBound: 0
; FloatMode: 240
; IeeeMode: 1
; LDSByteSize: 0 bytes/workgroup (compile time only)
; SGPRBlocks: 0
; VGPRBlocks: 9
; NumSGPRsForWavesPerEU: 24
; NumVGPRsForWavesPerEU: 78
; Occupancy: 16
; WaveLimiterHint : 0
; COMPUTE_PGM_RSRC2:SCRATCH_EN: 0
; COMPUTE_PGM_RSRC2:USER_SGPR: 2
; COMPUTE_PGM_RSRC2:TRAP_HANDLER: 0
; COMPUTE_PGM_RSRC2:TGID_X_EN: 1
; COMPUTE_PGM_RSRC2:TGID_Y_EN: 1
; COMPUTE_PGM_RSRC2:TGID_Z_EN: 1
; COMPUTE_PGM_RSRC2:TIDIG_COMP_CNT: 1
	.section	.text._ZL13mul_mat_vec_qIL9ggml_type21ELi2ELb0ELb0EEvPKvS2_PKi31ggml_cuda_mm_fusion_args_devicePfj15HIP_vector_typeIjLj3EEjjjS8_jjjS8_jjjj,"axG",@progbits,_ZL13mul_mat_vec_qIL9ggml_type21ELi2ELb0ELb0EEvPKvS2_PKi31ggml_cuda_mm_fusion_args_devicePfj15HIP_vector_typeIjLj3EEjjjS8_jjjS8_jjjj,comdat
	.globl	_ZL13mul_mat_vec_qIL9ggml_type21ELi2ELb0ELb0EEvPKvS2_PKi31ggml_cuda_mm_fusion_args_devicePfj15HIP_vector_typeIjLj3EEjjjS8_jjjS8_jjjj ; -- Begin function _ZL13mul_mat_vec_qIL9ggml_type21ELi2ELb0ELb0EEvPKvS2_PKi31ggml_cuda_mm_fusion_args_devicePfj15HIP_vector_typeIjLj3EEjjjS8_jjjS8_jjjj
	.p2align	8
	.type	_ZL13mul_mat_vec_qIL9ggml_type21ELi2ELb0ELb0EEvPKvS2_PKi31ggml_cuda_mm_fusion_args_devicePfj15HIP_vector_typeIjLj3EEjjjS8_jjjS8_jjjj,@function
_ZL13mul_mat_vec_qIL9ggml_type21ELi2ELb0ELb0EEvPKvS2_PKi31ggml_cuda_mm_fusion_args_devicePfj15HIP_vector_typeIjLj3EEjjjS8_jjjS8_jjjj: ; @_ZL13mul_mat_vec_qIL9ggml_type21ELi2ELb0ELb0EEvPKvS2_PKi31ggml_cuda_mm_fusion_args_devicePfj15HIP_vector_typeIjLj3EEjjjS8_jjjS8_jjjj
; %bb.0:
	s_clause 0x5
	s_load_b96 s[16:18], s[0:1], 0x80
	s_load_b32 s3, s[0:1], 0x40
	s_load_b128 s[4:7], s[0:1], 0x50
	s_load_b32 s2, s[0:1], 0x60
	s_load_b128 s[8:11], s[0:1], 0x68
	s_load_b32 s23, s[0:1], 0x78
	v_bfe_u32 v5, v0, 10, 10
	v_and_b32_e32 v4, 0x3ff, v0
	v_mov_b32_e32 v6, 0
	v_mov_b32_e32 v8, 0
	s_and_b32 s19, ttmp7, 0xffff
	s_lshr_b32 s20, ttmp7, 16
	v_lshl_or_b32 v0, v5, 5, v4
	s_mov_b32 s22, exec_lo
	s_delay_alu instid0(VALU_DEP_1)
	v_lshrrev_b32_e32 v7, 3, v0
	s_wait_kmcnt 0x0
	s_lshr_b32 s21, s3, 8
	s_delay_alu instid0(VALU_DEP_1) | instid1(SALU_CYCLE_1)
	v_cmpx_gt_u32_e64 s21, v7
	s_cbranch_execz .LBB257_4
; %bb.1:
	v_lshl_add_u32 v0, v5, 5, v4
	s_mov_b32 s3, 0
	s_mul_i32 s24, s9, s19
	s_mov_b32 s25, s3
	s_mul_hi_u32 s7, s7, s19
	v_lshrrev_b32_e32 v0, 3, v0
	s_mul_u64 s[24:25], s[24:25], 36
	s_add_co_i32 s7, s19, s7
	s_load_b128 s[12:15], s[0:1], 0x0
	s_lshr_b32 s2, s7, s2
	v_mad_co_u64_u32 v[0:1], null, 0x120, v0, s[24:25]
	s_mul_i32 s7, s2, s8
	s_mul_i32 s2, s17, s20
	v_dual_mov_b32 v8, 0 :: v_dual_and_b32 v9, 7, v4
	v_lshlrev_b32_e32 v6, 1, v4
	s_mul_hi_u32 s8, s11, s20
	v_mad_co_u64_u32 v[0:1], null, s2, 36, v[0:1]
	s_add_co_i32 s11, s20, s8
	v_and_b32_e32 v14, 14, v6
	s_mul_u64 s[8:9], s[2:3], 36
	s_mul_i32 s4, s4, ttmp9
	s_lshr_b32 s2, s11, s23
	v_bfe_u32 v10, v6, 2, 2
	v_mad_co_u64_u32 v[2:3], null, v9, 36, v[0:1]
	s_wait_kmcnt 0x0
	s_add_nc_u64 s[8:9], s[14:15], s[8:9]
	v_dual_mov_b32 v6, 0 :: v_dual_lshlrev_b32 v13, 1, v14
	s_add_nc_u64 s[8:9], s[8:9], s[24:25]
	v_lshl_add_u32 v12, v7, 3, s5
	v_mad_co_u64_u32 v[0:1], null, v9, 36, s[8:9]
	s_delay_alu instid0(VALU_DEP_4) | instskip(NEXT) | instid1(VALU_DEP_1)
	v_add_co_u32 v2, vcc_lo, s14, v2
	v_add_co_ci_u32_e64 v3, null, s15, v3, vcc_lo
	v_and_b32_e32 v11, 4, v13
	s_delay_alu instid0(VALU_DEP_3) | instskip(SKIP_1) | instid1(VALU_DEP_3)
	v_add_co_u32 v2, vcc_lo, v2, 32
	s_wait_alu 0xfffd
	v_add_co_ci_u32_e64 v3, null, 0, v3, vcc_lo
	v_lshlrev_b32_e32 v13, 1, v13
	v_lshlrev_b32_e32 v14, 1, v14
	s_wait_alu 0xfffe
	s_mul_i32 s2, s2, s16
	s_add_co_i32 s7, s7, s4
	s_wait_alu 0xfffe
	s_add_co_i32 s4, s2, s7
.LBB257_2:                              ; =>This Inner Loop Header: Depth=1
	s_wait_alu 0xfffe
	v_add_nc_u32_e32 v15, s4, v7
	v_mad_co_u64_u32 v[31:32], null, v12, 36, v[0:1]
	s_getpc_b64 s[8:9]
	s_wait_alu 0xfffe
	s_sext_i32_i16 s9, s9
	s_add_co_u32 s8, s8, _ZL9iq3s_grid@rel32@lo+12
	s_wait_alu 0xfffe
	s_add_co_ci_u32 s9, s9, _ZL9iq3s_grid@rel32@hi+24
	v_add_nc_u32_e32 v7, 4, v7
	v_mad_co_i64_i32 v[23:24], null, 0x6e, v15, s[12:13]
	v_add_nc_u32_e32 v12, 32, v12
	s_delay_alu instid0(VALU_DEP_3) | instskip(NEXT) | instid1(VALU_DEP_3)
	v_cmp_le_u32_e64 s2, s21, v7
	v_add_co_u32 v15, vcc_lo, v23, v13
	s_wait_alu 0xfffd
	s_delay_alu instid0(VALU_DEP_4)
	v_add_co_ci_u32_e64 v16, null, 0, v24, vcc_lo
	v_add_co_u32 v17, vcc_lo, v23, v9
	s_wait_alu 0xfffd
	v_add_co_ci_u32_e64 v18, null, 0, v24, vcc_lo
	s_clause 0x1
	global_load_b64 v[25:26], v[15:16], off offset:2
	global_load_u8 v33, v[17:18], off offset:66
	global_load_b128 v[15:18], v[2:3], off offset:-32
	global_load_b128 v[19:22], v[31:32], off
	v_add_co_u32 v27, vcc_lo, v23, v14
	s_wait_alu 0xfffd
	v_add_co_ci_u32_e64 v28, null, 0, v24, vcc_lo
	v_add_co_u32 v29, vcc_lo, v23, v10
	s_wait_alu 0xfffd
	v_add_co_ci_u32_e64 v30, null, 0, v24, vcc_lo
	s_clause 0x2
	global_load_b32 v34, v[27:28], off offset:74
	global_load_u8 v35, v[29:30], off offset:106
	global_load_u16 v36, v[23:24], off
	s_or_b32 s3, s2, s3
	s_wait_loadcnt 0x6
	v_and_b32_e32 v23, 0xff, v25
	v_bfe_u32 v27, v25, 8, 8
	s_wait_loadcnt 0x3
	v_cvt_f32_f16_e32 v19, v19
	v_lshlrev_b32_e32 v24, 8, v33
	v_cvt_f32_f16_e32 v15, v15
	v_lshlrev_b32_e32 v28, 7, v33
	v_bfe_u32 v29, v25, 16, 8
	v_lshlrev_b32_e32 v30, 6, v33
	v_lshrrev_b32_e32 v25, 24, v25
	v_lshlrev_b32_e32 v37, 5, v33
	v_and_b32_e32 v38, 0xff, v26
	v_lshlrev_b32_e32 v39, 4, v33
	v_bfe_u32 v40, v26, 8, 8
	v_lshlrev_b32_e32 v41, 3, v33
	v_bfe_u32 v42, v26, 16, 8
	v_lshlrev_b32_e32 v43, 2, v33
	v_lshrrev_b32_e32 v26, 24, v26
	v_lshlrev_b32_e32 v33, 1, v33
	v_and_or_b32 v23, 0x100, v24, v23
	v_and_or_b32 v24, 0x100, v28, v27
	v_and_or_b32 v27, 0x100, v30, v29
	v_and_or_b32 v25, 0x100, v37, v25
	v_and_or_b32 v28, 0x100, v39, v38
	v_and_or_b32 v29, 0x100, v41, v40
	v_and_or_b32 v30, 0x100, v43, v42
	v_and_or_b32 v26, 0x100, v33, v26
	v_lshlrev_b32_e32 v23, 2, v23
	v_lshlrev_b32_e32 v24, 2, v24
	;; [unrolled: 1-line block ×8, first 2 shown]
	s_clause 0x7
	global_load_b32 v33, v23, s[8:9]
	global_load_b32 v37, v24, s[8:9]
	global_load_b32 v38, v27, s[8:9]
	global_load_b32 v39, v25, s[8:9]
	global_load_b32 v40, v28, s[8:9]
	global_load_b32 v41, v29, s[8:9]
	global_load_b32 v42, v30, s[8:9]
	global_load_b32 v43, v26, s[8:9]
	global_load_b128 v[23:26], v[2:3], off offset:-16
	global_load_b128 v[27:30], v[31:32], off offset:16
	global_load_b32 v44, v[2:3], off
	global_load_b32 v31, v[31:32], off offset:32
	s_wait_loadcnt 0xe
	v_lshrrev_b32_e32 v32, 16, v34
	v_and_b32_e32 v45, 0xff, v34
	v_lshlrev_b32_e32 v46, 21, v34
	v_lshlrev_b32_e32 v48, 17, v34
	v_lshrrev_b32_e32 v49, 6, v34
	v_lshrrev_b32_e32 v50, 1, v34
	;; [unrolled: 1-line block ×16, first 2 shown]
	v_lshl_or_b32 v46, v45, 7, v46
	v_lshl_or_b32 v45, v45, 3, v48
	v_bfe_i32 v48, v49, 0, 1
	v_and_b32_e32 v49, 0x180, v50
	v_bfe_i32 v50, v51, 0, 1
	v_bfe_i32 v51, v52, 0, 1
	v_and_b32_e32 v52, 0x180, v53
	v_bfe_i32 v53, v54, 0, 1
	v_bfe_i32 v54, v55, 0, 1
	v_lshl_or_b32 v55, v32, 21, v56
	v_bfe_i32 v56, v57, 0, 1
	v_bfe_i32 v57, v59, 0, 1
	v_bfe_u32 v59, v61, 24, 1
	v_cmp_ne_u16_e32 vcc_lo, 0, v64
	v_lshl_or_b32 v32, v32, 17, v58
	v_and_b32_e32 v58, 0x180, v60
	v_bfe_i32 v60, v62, 0, 1
	v_lshrrev_b16 v61, 8, v63
	v_lshrrev_b16 v62, 7, v63
	s_wait_alu 0xfffd
	v_cndmask_b32_e64 v63, 0, -1, vcc_lo
	v_and_b32_e32 v64, 0x1800180, v46
	v_bfe_u32 v46, v46, 24, 1
	v_cmp_ne_u16_e32 vcc_lo, 0, v59
	v_and_b32_e32 v66, 0x1800180, v45
	v_bfe_u32 v45, v45, 24, 1
	v_lshrrev_b16 v68, 8, v49
	v_lshrrev_b16 v70, 8, v52
	s_wait_alu 0xfffd
	v_cndmask_b32_e64 v59, 0, -1, vcc_lo
	v_cmp_ne_u16_e32 vcc_lo, 0, v46
	v_and_b32_e32 v72, 0x1800180, v55
	v_bfe_u32 v55, v55, 24, 1
	v_and_b32_e32 v74, 0x1800180, v32
	v_bfe_u32 v32, v32, 24, 1
	s_wait_alu 0xfffd
	v_cndmask_b32_e64 v46, 0, -1, vcc_lo
	v_cmp_ne_u16_e32 vcc_lo, 0, v45
	v_lshrrev_b16 v76, 8, v58
	v_lshrrev_b32_e32 v47, 2, v34
	v_lshrrev_b32_e32 v34, 30, v34
	v_lshrrev_b16 v79, 8, v64
	s_wait_alu 0xfffd
	v_cndmask_b32_e64 v45, 0, -1, vcc_lo
	v_cmp_ne_u16_e32 vcc_lo, 0, v68
	v_bfe_i32 v61, v61, 0, 1
	v_bfe_i32 v34, v34, 0, 1
	;; [unrolled: 1-line block ×3, first 2 shown]
	v_lshrrev_b16 v64, 7, v64
	s_wait_alu 0xfffd
	v_cndmask_b32_e64 v68, 0, -1, vcc_lo
	v_cmp_ne_u16_e32 vcc_lo, 0, v70
	v_lshrrev_b16 v80, 8, v66
	v_bfe_i32 v47, v47, 0, 1
	v_and_b32_e32 v78, 0xff, v34
	v_lshlrev_b16 v63, 8, v63
	s_wait_alu 0xfffd
	v_cndmask_b32_e64 v70, 0, -1, vcc_lo
	v_cmp_ne_u16_e32 vcc_lo, 0, v55
	v_lshrrev_b16 v66, 7, v66
	v_lshrrev_b16 v81, 8, v72
	v_lshlrev_b16 v61, 8, v61
	v_and_b32_e32 v83, 0xff, v62
	s_wait_alu 0xfffd
	v_cndmask_b32_e64 v55, 0, -1, vcc_lo
	v_cmp_ne_u16_e32 vcc_lo, 0, v32
	v_bfe_i32 v64, v64, 0, 1
	v_and_b32_e32 v65, 0xff, v47
	v_lshrrev_b16 v49, 7, v49
	v_lshrrev_b16 v52, 7, v52
	s_wait_alu 0xfffd
	v_cndmask_b32_e64 v32, 0, -1, vcc_lo
	v_cmp_ne_u16_e32 vcc_lo, 0, v76
	v_lshrrev_b16 v82, 8, v74
	v_or_b32_e32 v78, v78, v63
	v_lshlrev_b16 v46, 8, v46
	v_bfe_i32 v66, v66, 0, 1
	s_wait_alu 0xfffd
	v_cndmask_b32_e64 v76, 0, -1, vcc_lo
	v_cmp_ne_u16_e32 vcc_lo, 0, v79
	v_or_b32_e32 v83, v83, v61
	v_and_b32_e32 v87, 0xff, v64
	v_and_b32_e32 v67, 0xff, v48
	v_bfe_i32 v49, v49, 0, 1
	s_wait_alu 0xfffd
	v_cndmask_b32_e64 v79, 0, -1, vcc_lo
	v_cmp_ne_u16_e32 vcc_lo, 0, v80
	v_bfe_i32 v52, v52, 0, 1
	v_lshrrev_b16 v72, 7, v72
	v_lshrrev_b16 v74, 7, v74
	v_lshlrev_b16 v79, 8, v79
	s_wait_alu 0xfffd
	v_cndmask_b32_e64 v80, 0, -1, vcc_lo
	v_cmp_ne_u16_e32 vcc_lo, 0, v81
	v_lshlrev_b16 v45, 8, v45
	v_lshlrev_b32_e32 v78, 16, v78
	v_or_b32_e32 v65, v65, v46
	v_and_b32_e32 v88, 0xff, v66
	s_wait_alu 0xfffd
	v_cndmask_b32_e64 v81, 0, -1, vcc_lo
	v_cmp_ne_u16_e32 vcc_lo, 0, v82
	v_lshlrev_b16 v80, 8, v80
	v_and_b32_e32 v83, 0xffff, v83
	v_or_b32_e32 v87, v87, v79
	v_lshlrev_b16 v50, 8, v50
	v_and_b32_e32 v69, 0xff, v51
	v_lshlrev_b16 v53, 8, v53
	v_and_b32_e32 v71, 0xff, v54
	v_lshrrev_b16 v58, 7, v58
	v_and_b32_e32 v84, 0xff, v49
	v_lshlrev_b16 v68, 8, v68
	v_and_b32_e32 v85, 0xff, v52
	v_lshlrev_b16 v70, 8, v70
	v_bfe_i32 v72, v72, 0, 1
	v_bfe_i32 v74, v74, 0, 1
	s_wait_alu 0xfffd
	v_cndmask_b32_e64 v82, 0, -1, vcc_lo
	v_or_b32_e32 v67, v67, v45
	v_lshlrev_b32_e32 v65, 16, v65
	v_or_b32_e32 v88, v88, v80
	v_or_b32_e32 v78, v83, v78
	v_and_b32_e32 v83, 0xffff, v87
	v_and_b32_e32 v73, 0xff, v56
	;; [unrolled: 1-line block ×3, first 2 shown]
	v_or_b32_e32 v69, v69, v50
	v_or_b32_e32 v71, v71, v53
	v_bfe_i32 v58, v58, 0, 1
	v_lshlrev_b16 v55, 8, v55
	v_lshlrev_b16 v32, 8, v32
	v_or_b32_e32 v84, v84, v68
	v_or_b32_e32 v85, v85, v70
	v_and_b32_e32 v89, 0xff, v72
	v_lshlrev_b16 v81, 8, v81
	v_and_b32_e32 v90, 0xff, v74
	v_lshlrev_b16 v82, 8, v82
	v_lshlrev_b32_e32 v67, 16, v67
	v_and_b32_e32 v87, 0xffff, v88
	v_or_b32_e32 v65, v83, v65
	v_and_b32_e32 v77, 0xff, v60
	v_lshlrev_b16 v59, 8, v59
	v_lshlrev_b32_e32 v69, 16, v69
	v_lshlrev_b32_e32 v71, 16, v71
	v_and_b32_e32 v86, 0xff, v58
	v_lshlrev_b16 v76, 8, v76
	v_or_b32_e32 v73, v73, v55
	v_or_b32_e32 v75, v75, v32
	v_and_b32_e32 v84, 0xffff, v84
	v_and_b32_e32 v85, 0xffff, v85
	v_or_b32_e32 v89, v89, v81
	v_or_b32_e32 v90, v90, v82
	;; [unrolled: 1-line block ×4, first 2 shown]
	v_lshlrev_b16 v64, 8, v64
	v_or_b32_e32 v86, v86, v76
	v_lshlrev_b32_e32 v73, 16, v73
	v_lshlrev_b32_e32 v75, 16, v75
	v_or_b32_e32 v69, v84, v69
	v_or_b32_e32 v71, v85, v71
	v_and_b32_e32 v84, 0xffff, v89
	v_and_b32_e32 v85, 0xffff, v90
	v_lshlrev_b16 v47, 8, v47
	v_lshlrev_b16 v66, 8, v66
	v_lshlrev_b32_e32 v77, 16, v77
	v_and_b32_e32 v86, 0xffff, v86
	v_or_b32_e32 v73, v84, v73
	v_or_b32_e32 v75, v85, v75
	v_lshlrev_b16 v48, 8, v48
	v_lshlrev_b16 v49, 8, v49
	v_or_b32_e32 v77, v86, v77
	v_lshlrev_b16 v51, 8, v51
	v_lshlrev_b16 v52, 8, v52
	;; [unrolled: 1-line block ×11, first 2 shown]
	s_wait_loadcnt 0xd
	v_lshrrev_b32_e32 v35, v11, v35
	v_add_co_u32 v2, vcc_lo, 0x480, v2
	s_wait_alu 0xfffd
	v_add_co_ci_u32_e64 v3, null, 0, v3, vcc_lo
	s_wait_loadcnt 0xb
	v_xor_b32_e32 v33, v33, v65
	s_wait_loadcnt 0xa
	v_xor_b32_e32 v37, v37, v67
	;; [unrolled: 2-line block ×5, first 2 shown]
	v_lshrrev_b32_e32 v65, 16, v33
	v_and_b32_e32 v67, 0xffffff00, v33
	v_lshlrev_b16 v33, 8, v33
	v_lshrrev_b32_e32 v69, 16, v37
	v_and_b32_e32 v71, 0xffffff00, v37
	v_lshlrev_b16 v37, 8, v37
	s_wait_loadcnt 0x6
	v_xor_b32_e32 v41, v41, v75
	v_sub_nc_i16 v33, v33, v64 clamp
	v_and_b32_e32 v64, 0xffffff00, v65
	v_lshlrev_b16 v65, 8, v65
	v_lshrrev_b32_e32 v73, 16, v38
	v_and_b32_e32 v75, 0xffffff00, v38
	v_lshlrev_b16 v38, 8, v38
	v_sub_nc_i16 v67, v67, v79 clamp
	v_sub_nc_i16 v37, v37, v66 clamp
	v_and_b32_e32 v66, 0xffffff00, v69
	v_lshlrev_b16 v69, 8, v69
	v_sub_nc_i16 v46, v64, v46 clamp
	v_sub_nc_i16 v47, v65, v47 clamp
	s_wait_loadcnt 0x5
	v_xor_b32_e32 v42, v42, v77
	s_wait_loadcnt 0x4
	v_xor_b32_e32 v43, v43, v78
	v_lshrrev_b32_e32 v77, 16, v39
	v_and_b32_e32 v78, 0xffffff00, v39
	v_lshlrev_b16 v39, 8, v39
	v_sub_nc_i16 v71, v71, v80 clamp
	v_sub_nc_i16 v38, v38, v49 clamp
	v_and_b32_e32 v49, 0xffffff00, v73
	v_lshlrev_b16 v73, 8, v73
	v_perm_b32 v33, v33, v67, 0xc0c0105
	v_sub_nc_i16 v45, v66, v45 clamp
	v_sub_nc_i16 v48, v69, v48 clamp
	v_perm_b32 v46, v47, v46, 0xc0c0105
	v_lshrrev_b32_e32 v83, 16, v40
	v_and_b32_e32 v84, 0xffffff00, v40
	v_lshlrev_b16 v40, 8, v40
	v_sub_nc_i16 v68, v75, v68 clamp
	v_sub_nc_i16 v39, v39, v52 clamp
	v_and_b32_e32 v52, 0xffffff00, v77
	v_lshlrev_b16 v75, 8, v77
	v_perm_b32 v37, v37, v71, 0xc0c0105
	v_sub_nc_i16 v49, v49, v50 clamp
	v_sub_nc_i16 v50, v73, v51 clamp
	v_perm_b32 v45, v48, v45, 0xc0c0105
	v_lshl_or_b32 v33, v46, 16, v33
	v_lshrrev_b32_e32 v85, 16, v41
	v_and_b32_e32 v86, 0xffffff00, v41
	v_lshlrev_b16 v41, 8, v41
	v_sub_nc_i16 v70, v78, v70 clamp
	v_sub_nc_i16 v40, v40, v72 clamp
	v_and_b32_e32 v72, 0xffffff00, v83
	v_lshlrev_b16 v78, 8, v83
	v_perm_b32 v38, v38, v68, 0xc0c0105
	v_sub_nc_i16 v51, v52, v53 clamp
	v_sub_nc_i16 v52, v75, v54 clamp
	v_perm_b32 v46, v50, v49, 0xc0c0105
	v_lshl_or_b32 v37, v45, 16, v37
	v_dot4_i32_iu8 v16, v33, v16, 0 neg_lo:[1,1,0]
	v_dot4_i32_iu8 v20, v33, v20, 0 neg_lo:[1,1,0]
	v_lshrrev_b32_e32 v87, 16, v42
	v_and_b32_e32 v88, 0xffffff00, v42
	v_lshlrev_b16 v42, 8, v42
	v_sub_nc_i16 v77, v84, v81 clamp
	v_sub_nc_i16 v41, v41, v74 clamp
	v_and_b32_e32 v74, 0xffffff00, v85
	v_lshlrev_b16 v80, 8, v85
	v_perm_b32 v39, v39, v70, 0xc0c0105
	v_sub_nc_i16 v53, v72, v55 clamp
	v_sub_nc_i16 v54, v78, v56 clamp
	v_perm_b32 v33, v52, v51, 0xc0c0105
	v_lshl_or_b32 v38, v46, 16, v38
	v_dot4_i32_iu8 v16, v37, v17, v16 neg_lo:[1,1,0]
	v_dot4_i32_iu8 v17, v37, v21, v20 neg_lo:[1,1,0]
	;; [unrolled: 14-line block ×3, first 2 shown]
	v_sub_nc_i16 v76, v88, v76 clamp
	v_sub_nc_i16 v43, v43, v62 clamp
	v_and_b32_e32 v62, 0xffffff00, v89
	v_lshlrev_b16 v82, 8, v89
	v_perm_b32 v41, v41, v79, 0xc0c0105
	v_sub_nc_i16 v56, v58, v59 clamp
	v_sub_nc_i16 v57, v81, v60 clamp
	v_perm_b32 v18, v55, v32, 0xc0c0105
	v_lshl_or_b32 v20, v20, 16, v40
	s_wait_loadcnt 0x3
	v_dot4_i32_iu8 v16, v21, v23, v16 neg_lo:[1,1,0]
	s_wait_loadcnt 0x2
	v_dot4_i32_iu8 v17, v21, v27, v17 neg_lo:[1,1,0]
	v_sub_nc_i16 v61, v90, v61 clamp
	v_perm_b32 v42, v42, v76, 0xc0c0105
	v_sub_nc_i16 v58, v62, v63 clamp
	v_sub_nc_i16 v34, v82, v34 clamp
	v_perm_b32 v21, v57, v56, 0xc0c0105
	v_lshl_or_b32 v18, v18, 16, v41
	v_dot4_i32_iu8 v16, v20, v24, v16 neg_lo:[1,1,0]
	v_dot4_i32_iu8 v17, v20, v28, v17 neg_lo:[1,1,0]
	v_perm_b32 v43, v43, v61, 0xc0c0105
	v_perm_b32 v20, v34, v58, 0xc0c0105
	v_lshl_or_b32 v21, v21, 16, v42
	v_dot4_i32_iu8 v16, v18, v25, v16 neg_lo:[1,1,0]
	v_dot4_i32_iu8 v17, v18, v29, v17 neg_lo:[1,1,0]
	v_lshlrev_b32_e32 v18, 1, v35
	v_lshl_or_b32 v20, v20, 16, v43
	s_delay_alu instid0(VALU_DEP_4) | instskip(NEXT) | instid1(VALU_DEP_4)
	v_dot4_i32_iu8 v16, v21, v26, v16 neg_lo:[1,1,0]
	v_dot4_i32_iu8 v17, v21, v30, v17 neg_lo:[1,1,0]
	s_delay_alu instid0(VALU_DEP_4) | instskip(SKIP_1) | instid1(VALU_DEP_3)
	v_and_or_b32 v18, v18, 30, 1
	s_wait_loadcnt 0x1
	v_dot4_i32_iu8 v16, v20, v44, v16 neg_lo:[1,1,0]
	s_wait_loadcnt 0x0
	v_dot4_i32_iu8 v17, v20, v31, v17 neg_lo:[1,1,0]
	s_delay_alu instid0(VALU_DEP_2) | instskip(NEXT) | instid1(VALU_DEP_2)
	v_mul_lo_u32 v16, v16, v18
	v_mul_lo_u32 v17, v17, v18
	v_cvt_f32_f16_e32 v18, v36
	s_delay_alu instid0(VALU_DEP_1) | instskip(SKIP_3) | instid1(VALU_DEP_2)
	v_mul_f32_e32 v19, v18, v19
	v_mul_f32_e32 v15, v18, v15
	v_cvt_f32_i32_e32 v16, v16
	v_cvt_f32_i32_e32 v17, v17
	v_fmac_f32_e32 v8, v15, v16
	s_delay_alu instid0(VALU_DEP_2)
	v_fmac_f32_e32 v6, v19, v17
	s_wait_alu 0xfffe
	s_and_not1_b32 exec_lo, exec_lo, s3
	s_cbranch_execnz .LBB257_2
; %bb.3:
	s_or_b32 exec_lo, exec_lo, s3
.LBB257_4:
	s_delay_alu instid0(SALU_CYCLE_1)
	s_or_b32 exec_lo, exec_lo, s22
	s_mov_b32 s3, 0
	; wave barrier
	global_inv scope:SCOPE_SE
	s_mov_b32 s2, exec_lo
	v_cmpx_eq_u32_e32 0, v5
	s_cbranch_execz .LBB257_9
; %bb.5:
	v_mbcnt_lo_u32_b32 v5, -1, 0
	s_load_b64 s[0:1], s[0:1], 0x38
	s_mul_i32 s2, s10, s19
	s_mul_i32 s4, s18, s20
	s_wait_alu 0xfffe
	s_add_co_i32 s2, s2, ttmp9
	v_xor_b32_e32 v0, 16, v5
	v_xor_b32_e32 v1, 8, v5
	;; [unrolled: 1-line block ×3, first 2 shown]
	s_wait_alu 0xfffe
	s_add_co_i32 s2, s2, s4
	s_wait_alu 0xfffe
	s_lshl_b64 s[2:3], s[2:3], 2
	v_cmp_gt_i32_e32 vcc_lo, 32, v0
	s_wait_alu 0xfffd
	v_cndmask_b32_e32 v0, v5, v0, vcc_lo
	v_cmp_gt_i32_e32 vcc_lo, 32, v1
	s_wait_kmcnt 0x0
	s_wait_alu 0xfffe
	s_add_nc_u64 s[0:1], s[0:1], s[2:3]
	s_wait_alu 0xfffd
	v_cndmask_b32_e32 v1, v5, v1, vcc_lo
	s_delay_alu instid0(VALU_DEP_1)
	v_lshlrev_b32_e32 v1, 2, v1
	v_lshlrev_b32_e32 v0, 2, v0
	ds_bpermute_b32 v2, v0, v8
	s_wait_dscnt 0x0
	v_add_f32_e32 v3, v8, v2
	v_xor_b32_e32 v2, 4, v5
	ds_bpermute_b32 v7, v1, v3
	v_cmp_gt_i32_e32 vcc_lo, 32, v2
	s_wait_dscnt 0x0
	s_wait_alu 0xfffd
	v_dual_cndmask_b32 v2, v5, v2 :: v_dual_add_f32 v7, v3, v7
	s_delay_alu instid0(VALU_DEP_1)
	v_lshlrev_b32_e32 v2, 2, v2
	v_xor_b32_e32 v3, 2, v5
	ds_bpermute_b32 v8, v2, v7
	v_cmp_gt_i32_e32 vcc_lo, 32, v3
	s_wait_alu 0xfffd
	v_cndmask_b32_e32 v3, v5, v3, vcc_lo
	v_cmp_gt_i32_e32 vcc_lo, 32, v9
	s_delay_alu instid0(VALU_DEP_2) | instskip(SKIP_3) | instid1(VALU_DEP_2)
	v_lshlrev_b32_e32 v3, 2, v3
	s_wait_alu 0xfffd
	v_cndmask_b32_e32 v5, v5, v9, vcc_lo
	v_cmp_eq_u32_e32 vcc_lo, 0, v4
	v_lshlrev_b32_e32 v5, 2, v5
	s_wait_dscnt 0x0
	v_add_f32_e32 v7, v7, v8
	ds_bpermute_b32 v8, v3, v7
	s_wait_dscnt 0x0
	v_add_f32_e32 v7, v7, v8
	ds_bpermute_b32 v8, v5, v7
	s_and_saveexec_b32 s2, vcc_lo
	s_cbranch_execz .LBB257_7
; %bb.6:
	s_wait_dscnt 0x0
	v_dual_add_f32 v4, v7, v8 :: v_dual_mov_b32 v7, 0
	global_store_b32 v7, v4, s[0:1]
.LBB257_7:
	s_wait_alu 0xfffe
	s_or_b32 exec_lo, exec_lo, s2
	ds_bpermute_b32 v0, v0, v6
	s_wait_dscnt 0x0
	v_add_f32_e32 v0, v6, v0
	ds_bpermute_b32 v1, v1, v0
	s_wait_dscnt 0x0
	v_add_f32_e32 v0, v0, v1
	;; [unrolled: 3-line block ×4, first 2 shown]
	ds_bpermute_b32 v1, v5, v0
	s_and_b32 exec_lo, exec_lo, vcc_lo
	s_cbranch_execz .LBB257_9
; %bb.8:
	s_mov_b32 s7, 0
	s_wait_dscnt 0x0
	v_dual_add_f32 v0, v0, v1 :: v_dual_mov_b32 v1, 0
	s_lshl_b64 s[2:3], s[6:7], 2
	s_wait_alu 0xfffe
	s_add_nc_u64 s[0:1], s[0:1], s[2:3]
	global_store_b32 v1, v0, s[0:1]
.LBB257_9:
	s_endpgm
	.section	.rodata,"a",@progbits
	.p2align	6, 0x0
	.amdhsa_kernel _ZL13mul_mat_vec_qIL9ggml_type21ELi2ELb0ELb0EEvPKvS2_PKi31ggml_cuda_mm_fusion_args_devicePfj15HIP_vector_typeIjLj3EEjjjS8_jjjS8_jjjj
		.amdhsa_group_segment_fixed_size 0
		.amdhsa_private_segment_fixed_size 0
		.amdhsa_kernarg_size 144
		.amdhsa_user_sgpr_count 2
		.amdhsa_user_sgpr_dispatch_ptr 0
		.amdhsa_user_sgpr_queue_ptr 0
		.amdhsa_user_sgpr_kernarg_segment_ptr 1
		.amdhsa_user_sgpr_dispatch_id 0
		.amdhsa_user_sgpr_private_segment_size 0
		.amdhsa_wavefront_size32 1
		.amdhsa_uses_dynamic_stack 0
		.amdhsa_enable_private_segment 0
		.amdhsa_system_sgpr_workgroup_id_x 1
		.amdhsa_system_sgpr_workgroup_id_y 1
		.amdhsa_system_sgpr_workgroup_id_z 1
		.amdhsa_system_sgpr_workgroup_info 0
		.amdhsa_system_vgpr_workitem_id 1
		.amdhsa_next_free_vgpr 91
		.amdhsa_next_free_sgpr 26
		.amdhsa_reserve_vcc 1
		.amdhsa_float_round_mode_32 0
		.amdhsa_float_round_mode_16_64 0
		.amdhsa_float_denorm_mode_32 3
		.amdhsa_float_denorm_mode_16_64 3
		.amdhsa_fp16_overflow 0
		.amdhsa_workgroup_processor_mode 1
		.amdhsa_memory_ordered 1
		.amdhsa_forward_progress 1
		.amdhsa_inst_pref_size 31
		.amdhsa_round_robin_scheduling 0
		.amdhsa_exception_fp_ieee_invalid_op 0
		.amdhsa_exception_fp_denorm_src 0
		.amdhsa_exception_fp_ieee_div_zero 0
		.amdhsa_exception_fp_ieee_overflow 0
		.amdhsa_exception_fp_ieee_underflow 0
		.amdhsa_exception_fp_ieee_inexact 0
		.amdhsa_exception_int_div_zero 0
	.end_amdhsa_kernel
	.section	.text._ZL13mul_mat_vec_qIL9ggml_type21ELi2ELb0ELb0EEvPKvS2_PKi31ggml_cuda_mm_fusion_args_devicePfj15HIP_vector_typeIjLj3EEjjjS8_jjjS8_jjjj,"axG",@progbits,_ZL13mul_mat_vec_qIL9ggml_type21ELi2ELb0ELb0EEvPKvS2_PKi31ggml_cuda_mm_fusion_args_devicePfj15HIP_vector_typeIjLj3EEjjjS8_jjjS8_jjjj,comdat
.Lfunc_end257:
	.size	_ZL13mul_mat_vec_qIL9ggml_type21ELi2ELb0ELb0EEvPKvS2_PKi31ggml_cuda_mm_fusion_args_devicePfj15HIP_vector_typeIjLj3EEjjjS8_jjjS8_jjjj, .Lfunc_end257-_ZL13mul_mat_vec_qIL9ggml_type21ELi2ELb0ELb0EEvPKvS2_PKi31ggml_cuda_mm_fusion_args_devicePfj15HIP_vector_typeIjLj3EEjjjS8_jjjS8_jjjj
                                        ; -- End function
	.set _ZL13mul_mat_vec_qIL9ggml_type21ELi2ELb0ELb0EEvPKvS2_PKi31ggml_cuda_mm_fusion_args_devicePfj15HIP_vector_typeIjLj3EEjjjS8_jjjS8_jjjj.num_vgpr, 91
	.set _ZL13mul_mat_vec_qIL9ggml_type21ELi2ELb0ELb0EEvPKvS2_PKi31ggml_cuda_mm_fusion_args_devicePfj15HIP_vector_typeIjLj3EEjjjS8_jjjS8_jjjj.num_agpr, 0
	.set _ZL13mul_mat_vec_qIL9ggml_type21ELi2ELb0ELb0EEvPKvS2_PKi31ggml_cuda_mm_fusion_args_devicePfj15HIP_vector_typeIjLj3EEjjjS8_jjjS8_jjjj.numbered_sgpr, 26
	.set _ZL13mul_mat_vec_qIL9ggml_type21ELi2ELb0ELb0EEvPKvS2_PKi31ggml_cuda_mm_fusion_args_devicePfj15HIP_vector_typeIjLj3EEjjjS8_jjjS8_jjjj.num_named_barrier, 0
	.set _ZL13mul_mat_vec_qIL9ggml_type21ELi2ELb0ELb0EEvPKvS2_PKi31ggml_cuda_mm_fusion_args_devicePfj15HIP_vector_typeIjLj3EEjjjS8_jjjS8_jjjj.private_seg_size, 0
	.set _ZL13mul_mat_vec_qIL9ggml_type21ELi2ELb0ELb0EEvPKvS2_PKi31ggml_cuda_mm_fusion_args_devicePfj15HIP_vector_typeIjLj3EEjjjS8_jjjS8_jjjj.uses_vcc, 1
	.set _ZL13mul_mat_vec_qIL9ggml_type21ELi2ELb0ELb0EEvPKvS2_PKi31ggml_cuda_mm_fusion_args_devicePfj15HIP_vector_typeIjLj3EEjjjS8_jjjS8_jjjj.uses_flat_scratch, 0
	.set _ZL13mul_mat_vec_qIL9ggml_type21ELi2ELb0ELb0EEvPKvS2_PKi31ggml_cuda_mm_fusion_args_devicePfj15HIP_vector_typeIjLj3EEjjjS8_jjjS8_jjjj.has_dyn_sized_stack, 0
	.set _ZL13mul_mat_vec_qIL9ggml_type21ELi2ELb0ELb0EEvPKvS2_PKi31ggml_cuda_mm_fusion_args_devicePfj15HIP_vector_typeIjLj3EEjjjS8_jjjS8_jjjj.has_recursion, 0
	.set _ZL13mul_mat_vec_qIL9ggml_type21ELi2ELb0ELb0EEvPKvS2_PKi31ggml_cuda_mm_fusion_args_devicePfj15HIP_vector_typeIjLj3EEjjjS8_jjjS8_jjjj.has_indirect_call, 0
	.section	.AMDGPU.csdata,"",@progbits
; Kernel info:
; codeLenInByte = 3880
; TotalNumSgprs: 28
; NumVgprs: 91
; ScratchSize: 0
; MemoryBound: 0
; FloatMode: 240
; IeeeMode: 1
; LDSByteSize: 0 bytes/workgroup (compile time only)
; SGPRBlocks: 0
; VGPRBlocks: 11
; NumSGPRsForWavesPerEU: 28
; NumVGPRsForWavesPerEU: 91
; Occupancy: 16
; WaveLimiterHint : 0
; COMPUTE_PGM_RSRC2:SCRATCH_EN: 0
; COMPUTE_PGM_RSRC2:USER_SGPR: 2
; COMPUTE_PGM_RSRC2:TRAP_HANDLER: 0
; COMPUTE_PGM_RSRC2:TGID_X_EN: 1
; COMPUTE_PGM_RSRC2:TGID_Y_EN: 1
; COMPUTE_PGM_RSRC2:TGID_Z_EN: 1
; COMPUTE_PGM_RSRC2:TIDIG_COMP_CNT: 1
	.section	.text._ZL13mul_mat_vec_qIL9ggml_type21ELi3ELb0ELb0EEvPKvS2_PKi31ggml_cuda_mm_fusion_args_devicePfj15HIP_vector_typeIjLj3EEjjjS8_jjjS8_jjjj,"axG",@progbits,_ZL13mul_mat_vec_qIL9ggml_type21ELi3ELb0ELb0EEvPKvS2_PKi31ggml_cuda_mm_fusion_args_devicePfj15HIP_vector_typeIjLj3EEjjjS8_jjjS8_jjjj,comdat
	.globl	_ZL13mul_mat_vec_qIL9ggml_type21ELi3ELb0ELb0EEvPKvS2_PKi31ggml_cuda_mm_fusion_args_devicePfj15HIP_vector_typeIjLj3EEjjjS8_jjjS8_jjjj ; -- Begin function _ZL13mul_mat_vec_qIL9ggml_type21ELi3ELb0ELb0EEvPKvS2_PKi31ggml_cuda_mm_fusion_args_devicePfj15HIP_vector_typeIjLj3EEjjjS8_jjjS8_jjjj
	.p2align	8
	.type	_ZL13mul_mat_vec_qIL9ggml_type21ELi3ELb0ELb0EEvPKvS2_PKi31ggml_cuda_mm_fusion_args_devicePfj15HIP_vector_typeIjLj3EEjjjS8_jjjS8_jjjj,@function
_ZL13mul_mat_vec_qIL9ggml_type21ELi3ELb0ELb0EEvPKvS2_PKi31ggml_cuda_mm_fusion_args_devicePfj15HIP_vector_typeIjLj3EEjjjS8_jjjS8_jjjj: ; @_ZL13mul_mat_vec_qIL9ggml_type21ELi3ELb0ELb0EEvPKvS2_PKi31ggml_cuda_mm_fusion_args_devicePfj15HIP_vector_typeIjLj3EEjjjS8_jjjS8_jjjj
; %bb.0:
	s_clause 0x5
	s_load_b96 s[16:18], s[0:1], 0x80
	s_load_b32 s3, s[0:1], 0x40
	s_load_b128 s[4:7], s[0:1], 0x50
	s_load_b32 s2, s[0:1], 0x60
	s_load_b128 s[8:11], s[0:1], 0x68
	s_load_b32 s23, s[0:1], 0x78
	v_bfe_u32 v6, v0, 10, 10
	v_dual_mov_b32 v5, 0 :: v_dual_and_b32 v4, 0x3ff, v0
	v_mov_b32_e32 v7, 0
	v_mov_b32_e32 v9, 0
	s_and_b32 s19, ttmp7, 0xffff
	s_delay_alu instid0(VALU_DEP_3) | instskip(SKIP_2) | instid1(VALU_DEP_1)
	v_lshl_or_b32 v0, v6, 5, v4
	s_lshr_b32 s20, ttmp7, 16
	s_mov_b32 s21, exec_lo
	v_lshrrev_b32_e32 v8, 3, v0
	s_wait_kmcnt 0x0
	s_lshr_b32 s22, s3, 8
	s_delay_alu instid0(VALU_DEP_1) | instid1(SALU_CYCLE_1)
	v_cmpx_gt_u32_e64 s22, v8
	s_cbranch_execz .LBB258_4
; %bb.1:
	v_lshl_add_u32 v0, v6, 5, v4
	s_mul_hi_u32 s3, s7, s19
	s_mul_i32 s24, s9, s19
	s_add_co_i32 s7, s19, s3
	s_mov_b32 s3, 0
	v_lshrrev_b32_e32 v0, 3, v0
	s_mov_b32 s25, s3
	s_lshr_b32 s2, s7, s2
	s_mul_u64 s[24:25], s[24:25], 36
	s_load_b128 s[12:15], s[0:1], 0x0
	v_mad_co_u64_u32 v[0:1], null, 0x120, v0, s[24:25]
	s_mul_i32 s7, s2, s8
	s_mul_hi_u32 s2, s11, s20
	v_dual_mov_b32 v5, 0 :: v_dual_and_b32 v10, 7, v4
	s_add_co_i32 s8, s20, s2
	s_mul_i32 s2, s17, s20
	v_lshlrev_b32_e32 v7, 1, v4
	v_mad_co_u64_u32 v[0:1], null, s2, 36, v[0:1]
	s_lshr_b32 s11, s8, s23
	s_mul_u64 s[8:9], s[2:3], 36
	v_and_b32_e32 v9, 14, v7
	v_lshlrev_b32_e32 v14, 3, v8
	s_mul_i32 s4, s4, ttmp9
	v_bfe_u32 v11, v7, 2, 2
	v_mad_co_u64_u32 v[2:3], null, v10, 36, v[0:1]
	s_wait_kmcnt 0x0
	s_add_nc_u64 s[8:9], s[14:15], s[8:9]
	v_lshlrev_b32_e32 v15, 1, v9
	s_add_nc_u64 s[8:9], s[8:9], s[24:25]
	v_lshlrev_b32_e32 v16, 1, v9
	v_mad_co_u64_u32 v[0:1], null, v10, 36, s[8:9]
	s_delay_alu instid0(VALU_DEP_4) | instskip(NEXT) | instid1(VALU_DEP_1)
	v_add_co_u32 v2, vcc_lo, s14, v2
	v_add_co_ci_u32_e64 v3, null, s15, v3, vcc_lo
	v_dual_mov_b32 v7, 0 :: v_dual_and_b32 v12, 4, v15
	s_delay_alu instid0(VALU_DEP_3) | instskip(SKIP_1) | instid1(VALU_DEP_3)
	v_add_co_u32 v2, vcc_lo, v2, 16
	s_wait_alu 0xfffd
	v_add_co_ci_u32_e64 v3, null, 0, v3, vcc_lo
	v_lshlrev_b32_e32 v15, 1, v15
	v_mov_b32_e32 v9, 0
	v_add_nc_u32_e32 v13, s5, v14
	v_lshl_add_u32 v14, s5, 1, v14
	s_mul_i32 s2, s11, s16
	s_add_co_i32 s7, s7, s4
	s_wait_alu 0xfffe
	s_add_co_i32 s7, s2, s7
.LBB258_2:                              ; =>This Inner Loop Header: Depth=1
	s_delay_alu instid0(SALU_CYCLE_1) | instskip(SKIP_2) | instid1(VALU_DEP_3)
	v_add_nc_u32_e32 v25, s7, v8
	v_mad_co_u64_u32 v[33:34], null, v13, 36, v[0:1]
	v_mad_co_u64_u32 v[37:38], null, v14, 36, v[0:1]
	v_mad_co_i64_i32 v[41:42], null, 0x6e, v25, s[12:13]
	s_clause 0x1
	global_load_b128 v[17:20], v[2:3], off offset:-16
	global_load_b128 v[21:24], v[2:3], off
	s_clause 0x5
	global_load_b128 v[25:28], v[33:34], off
	global_load_b128 v[29:32], v[33:34], off offset:16
	global_load_b32 v51, v[33:34], off offset:32
	global_load_b128 v[33:36], v[37:38], off
	global_load_b32 v52, v[37:38], off offset:32
	global_load_b128 v[37:40], v[37:38], off offset:16
	s_getpc_b64 s[4:5]
	s_wait_alu 0xfffe
	s_sext_i32_i16 s5, s5
	s_add_co_u32 s4, s4, _ZL9iq3s_grid@rel32@lo+12
	s_wait_alu 0xfffe
	s_add_co_ci_u32 s5, s5, _ZL9iq3s_grid@rel32@hi+24
	v_add_nc_u32_e32 v8, 4, v8
	v_add_nc_u32_e32 v13, 32, v13
	v_add_co_u32 v43, vcc_lo, v41, v15
	s_wait_alu 0xfffd
	v_add_co_ci_u32_e64 v44, null, 0, v42, vcc_lo
	v_add_co_u32 v45, vcc_lo, v41, v10
	s_wait_alu 0xfffd
	v_add_co_ci_u32_e64 v46, null, 0, v42, vcc_lo
	;; [unrolled: 3-line block ×4, first 2 shown]
	s_clause 0x4
	global_load_b64 v[43:44], v[43:44], off offset:2
	global_load_u8 v45, v[45:46], off offset:66
	global_load_b32 v46, v[47:48], off offset:74
	global_load_u8 v47, v[49:50], off offset:106
	global_load_u16 v41, v[41:42], off
	v_add_nc_u32_e32 v14, 32, v14
	s_wait_loadcnt 0xa
	v_cvt_f32_f16_e32 v25, v25
	v_cvt_f32_f16_e32 v17, v17
	s_wait_loadcnt 0x7
	v_cvt_f32_f16_e32 v33, v33
	s_wait_loadcnt 0x4
	v_and_b32_e32 v48, 0xff, v43
	s_wait_loadcnt 0x3
	v_lshlrev_b32_e32 v49, 8, v45
	v_bfe_u32 v50, v43, 8, 8
	v_lshlrev_b32_e32 v53, 7, v45
	s_wait_loadcnt 0x2
	v_and_b32_e32 v54, 0xff, v46
	v_lshlrev_b32_e32 v55, 21, v46
	v_lshrrev_b32_e32 v58, 6, v46
	v_lshrrev_b32_e32 v63, 11, v46
	v_and_b32_e32 v68, 0xff, v44
	v_lshlrev_b32_e32 v69, 4, v45
	v_lshrrev_b32_e32 v79, 3, v46
	v_lshrrev_b32_e32 v82, 31, v46
	;; [unrolled: 1-line block ×4, first 2 shown]
	v_lshlrev_b32_e32 v57, 17, v46
	v_bfe_u32 v59, v43, 16, 8
	v_lshlrev_b32_e32 v60, 6, v45
	v_lshrrev_b32_e32 v43, 24, v43
	v_lshlrev_b32_e32 v61, 5, v45
	v_lshrrev_b32_e32 v65, 5, v46
	v_lshrrev_b32_e32 v66, 15, v46
	;; [unrolled: 1-line block ×5, first 2 shown]
	v_and_or_b32 v48, 0x100, v49, v48
	v_and_or_b32 v49, 0x100, v53, v50
	v_lshl_or_b32 v50, v54, 7, v55
	v_bfe_i32 v55, v58, 0, 1
	v_bfe_i32 v58, v63, 0, 1
	v_and_or_b32 v63, 0x100, v69, v68
	v_bfe_u32 v69, v79, 24, 1
	v_cmp_ne_u16_e32 vcc_lo, 0, v82
	v_lshrrev_b32_e32 v62, 1, v46
	v_bfe_u32 v76, v44, 16, 8
	v_lshlrev_b32_e32 v77, 2, v45
	v_bfe_i32 v53, v56, 0, 1
	v_lshl_or_b32 v54, v54, 3, v57
	v_and_or_b32 v56, 0x100, v60, v59
	v_and_or_b32 v43, 0x100, v61, v43
	v_and_b32_e32 v60, 0x180, v65
	v_bfe_i32 v61, v66, 0, 1
	v_lshl_or_b32 v65, v42, 21, v72
	v_bfe_i32 v66, v73, 0, 1
	v_lshl_or_b32 v42, v42, 17, v74
	s_wait_alu 0xfffd
	v_cndmask_b32_e64 v73, 0, -1, vcc_lo
	v_and_b32_e32 v74, 0x1800180, v50
	v_bfe_u32 v50, v50, 24, 1
	v_cmp_ne_u16_e32 vcc_lo, 0, v69
	v_bfe_u32 v70, v44, 8, 8
	v_lshlrev_b32_e32 v71, 3, v45
	v_lshrrev_b32_e32 v44, 24, v44
	v_lshlrev_b32_e32 v45, 1, v45
	v_lshrrev_b32_e32 v78, 17, v46
	v_and_b32_e32 v57, 0x180, v62
	v_and_or_b32 v68, 0x100, v77, v76
	v_and_b32_e32 v76, 0x1800180, v54
	v_bfe_u32 v54, v54, 24, 1
	s_wait_alu 0xfffd
	v_cndmask_b32_e64 v69, 0, -1, vcc_lo
	v_cmp_ne_u16_e32 vcc_lo, 0, v50
	v_lshrrev_b32_e32 v64, 10, v46
	v_lshrrev_b32_e32 v80, 26, v46
	v_and_or_b32 v44, 0x100, v45, v44
	v_and_b32_e32 v45, 0x180, v78
	v_lshrrev_b16 v78, 8, v57
	s_wait_alu 0xfffd
	v_cndmask_b32_e64 v50, 0, -1, vcc_lo
	v_cmp_ne_u16_e32 vcc_lo, 0, v54
	v_bfe_i32 v59, v64, 0, 1
	v_and_or_b32 v64, 0x100, v71, v70
	v_bfe_i32 v70, v80, 0, 1
	v_lshrrev_b16 v80, 8, v60
	s_wait_alu 0xfffd
	v_cndmask_b32_e64 v54, 0, -1, vcc_lo
	v_cmp_ne_u16_e32 vcc_lo, 0, v78
	v_and_b32_e32 v82, 0x1800180, v65
	v_bfe_u32 v65, v65, 24, 1
	v_and_b32_e32 v84, 0x1800180, v42
	v_bfe_u32 v42, v42, 24, 1
	s_wait_alu 0xfffd
	v_cndmask_b32_e64 v78, 0, -1, vcc_lo
	v_cmp_ne_u16_e32 vcc_lo, 0, v80
	v_lshrrev_b16 v86, 8, v45
	v_lshrrev_b16 v89, 8, v74
	;; [unrolled: 1-line block ×4, first 2 shown]
	s_wait_alu 0xfffd
	v_cndmask_b32_e64 v80, 0, -1, vcc_lo
	v_cmp_ne_u16_e32 vcc_lo, 0, v65
	v_lshrrev_b16 v91, 8, v82
	v_bfe_i32 v57, v57, 0, 1
	v_lshlrev_b16 v58, 8, v58
	v_and_b32_e32 v79, 0xff, v59
	s_wait_alu 0xfffd
	v_cndmask_b32_e64 v65, 0, -1, vcc_lo
	v_cmp_ne_u16_e32 vcc_lo, 0, v42
	v_lshlrev_b16 v78, 8, v78
	v_lshrrev_b16 v45, 7, v45
	v_or_b32_e32 v79, v79, v58
	v_lshlrev_b32_e32 v48, 2, v48
	s_wait_alu 0xfffd
	v_cndmask_b32_e64 v42, 0, -1, vcc_lo
	v_cmp_ne_u16_e32 vcc_lo, 0, v86
	v_bfe_i32 v45, v45, 0, 1
	v_lshlrev_b32_e32 v79, 16, v79
	v_and_b32_e32 v87, 0xff, v70
	v_lshlrev_b16 v69, 8, v69
	s_wait_alu 0xfffd
	v_cndmask_b32_e64 v86, 0, -1, vcc_lo
	v_cmp_ne_u16_e32 vcc_lo, 0, v89
	v_lshlrev_b32_e32 v49, 2, v49
	v_lshlrev_b32_e32 v56, 2, v56
	;; [unrolled: 1-line block ×3, first 2 shown]
	v_lshlrev_b16 v86, 8, v86
	s_wait_alu 0xfffd
	v_cndmask_b32_e64 v89, 0, -1, vcc_lo
	v_cmp_ne_u16_e32 vcc_lo, 0, v90
	v_lshlrev_b32_e32 v63, 2, v63
	v_lshrrev_b16 v74, 7, v74
	s_clause 0x2
	global_load_b32 v48, v48, s[4:5]
	global_load_b32 v49, v49, s[4:5]
	;; [unrolled: 1-line block ×3, first 2 shown]
	v_or_b32_e32 v87, v87, v69
	s_wait_alu 0xfffd
	v_cndmask_b32_e64 v90, 0, -1, vcc_lo
	v_cmp_ne_u16_e32 vcc_lo, 0, v91
	v_and_b32_e32 v91, 0xff, v57
	v_lshlrev_b32_e32 v64, 2, v64
	v_lshlrev_b32_e32 v68, 2, v68
	;; [unrolled: 1-line block ×3, first 2 shown]
	s_clause 0x4
	global_load_b32 v43, v43, s[4:5]
	global_load_b32 v63, v63, s[4:5]
	;; [unrolled: 1-line block ×5, first 2 shown]
	v_or_b32_e32 v91, v91, v78
	v_lshrrev_b32_e32 v67, 14, v46
	v_lshrrev_b32_e32 v75, 22, v46
	;; [unrolled: 1-line block ×3, first 2 shown]
	v_bfe_i32 v74, v74, 0, 1
	v_and_b32_e32 v91, 0xffff, v91
	v_lshlrev_b32_e32 v87, 16, v87
	v_lshrrev_b32_e32 v46, 30, v46
	v_bfe_i32 v62, v67, 0, 1
	v_bfe_i32 v67, v75, 0, 1
	v_or_b32_e32 v79, v91, v79
	v_and_b32_e32 v91, 0xff, v45
	v_lshrrev_b16 v71, 8, v81
	v_lshrrev_b16 v72, 7, v81
	v_and_b32_e32 v75, 0xff, v53
	v_lshlrev_b16 v50, 8, v50
	v_or_b32_e32 v91, v91, v86
	v_lshlrev_b16 v89, 8, v89
	v_bfe_i32 v46, v46, 0, 1
	v_bfe_i32 v71, v71, 0, 1
	;; [unrolled: 1-line block ×3, first 2 shown]
	v_and_b32_e32 v91, 0xffff, v91
	v_lshrrev_b16 v76, 7, v76
	v_or_b32_e32 v75, v75, v50
	v_and_b32_e32 v88, 0xff, v46
	v_lshlrev_b16 v73, 8, v73
	v_or_b32_e32 v87, v91, v87
	v_and_b32_e32 v91, 0xff, v74
	v_lshlrev_b16 v71, 8, v71
	v_and_b32_e32 v93, 0xff, v72
	v_bfe_i32 v76, v76, 0, 1
	v_lshlrev_b32_e32 v75, 16, v75
	v_or_b32_e32 v91, v91, v89
	v_and_b32_e32 v77, 0xff, v55
	v_lshrrev_b16 v60, 7, v60
	v_or_b32_e32 v88, v88, v73
	v_lshlrev_b16 v54, 8, v54
	v_and_b32_e32 v91, 0xffff, v91
	v_or_b32_e32 v93, v93, v71
	v_lshlrev_b16 v90, 8, v90
	v_bfe_i32 v60, v60, 0, 1
	v_lshrrev_b16 v82, 7, v82
	v_or_b32_e32 v75, v91, v75
	v_and_b32_e32 v91, 0xff, v76
	v_lshrrev_b16 v92, 8, v84
	v_lshlrev_b32_e32 v88, 16, v88
	v_and_b32_e32 v93, 0xffff, v93
	v_or_b32_e32 v77, v77, v54
	v_or_b32_e32 v91, v91, v90
	v_lshlrev_b16 v61, 8, v61
	v_and_b32_e32 v81, 0xff, v62
	v_cmp_ne_u16_e64 s2, 0, v92
	v_and_b32_e32 v92, 0xff, v60
	v_lshlrev_b16 v80, 8, v80
	v_bfe_i32 v82, v82, 0, 1
	v_or_b32_e32 v88, v93, v88
	s_wait_alu 0xfffd
	v_cndmask_b32_e64 v93, 0, -1, vcc_lo
	v_lshlrev_b32_e32 v77, 16, v77
	v_and_b32_e32 v91, 0xffff, v91
	v_and_b32_e32 v83, 0xff, v66
	v_or_b32_e32 v81, v81, v61
	v_lshlrev_b16 v65, 8, v65
	v_or_b32_e32 v92, v92, v80
	v_or_b32_e32 v77, v91, v77
	v_and_b32_e32 v91, 0xff, v82
	v_lshlrev_b16 v93, 8, v93
	v_lshrrev_b16 v84, 7, v84
	v_lshlrev_b32_e32 v81, 16, v81
	v_and_b32_e32 v92, 0xffff, v92
	v_or_b32_e32 v83, v83, v65
	v_or_b32_e32 v91, v91, v93
	v_bfe_i32 v84, v84, 0, 1
	v_and_b32_e32 v85, 0xff, v67
	v_or_b32_e32 v81, v92, v81
	s_wait_alu 0xf1ff
	v_cndmask_b32_e64 v92, 0, -1, s2
	v_lshlrev_b32_e32 v83, 16, v83
	v_and_b32_e32 v91, 0xffff, v91
	v_lshlrev_b16 v42, 8, v42
	v_lshlrev_b16 v57, 8, v57
	;; [unrolled: 1-line block ×4, first 2 shown]
	v_or_b32_e32 v83, v91, v83
	v_and_b32_e32 v91, 0xff, v84
	v_or_b32_e32 v85, v85, v42
	v_lshlrev_b16 v53, 8, v53
	v_lshlrev_b16 v60, 8, v60
	;; [unrolled: 1-line block ×3, first 2 shown]
	v_or_b32_e32 v91, v91, v92
	v_lshlrev_b32_e32 v85, 16, v85
	v_lshlrev_b16 v45, 8, v45
	v_lshlrev_b16 v59, 8, v59
	;; [unrolled: 1-line block ×3, first 2 shown]
	v_and_b32_e32 v91, 0xffff, v91
	v_lshlrev_b16 v72, 8, v72
	v_lshlrev_b16 v66, 8, v66
	;; [unrolled: 1-line block ×4, first 2 shown]
	v_or_b32_e32 v85, v91, v85
	global_load_b32 v91, v[2:3], off offset:16
	v_lshlrev_b16 v46, 8, v46
	s_wait_loadcnt 0xa
	v_lshrrev_b32_e32 v47, v12, v47
	v_add_co_u32 v2, vcc_lo, 0x480, v2
	s_wait_alu 0xfffd
	v_add_co_ci_u32_e64 v3, null, 0, v3, vcc_lo
	s_delay_alu instid0(VALU_DEP_3) | instskip(SKIP_1) | instid1(VALU_DEP_2)
	v_lshlrev_b32_e32 v47, 1, v47
	v_cmp_le_u32_e32 vcc_lo, s22, v8
	v_and_or_b32 v47, v47, 30, 1
	s_or_b32 s3, vcc_lo, s3
	s_wait_loadcnt 0x8
	v_xor_b32_e32 v48, v48, v75
	s_wait_loadcnt 0x7
	v_xor_b32_e32 v49, v49, v77
	;; [unrolled: 2-line block ×3, first 2 shown]
	v_lshlrev_b16 v77, 8, v84
	v_lshlrev_b16 v75, 8, v76
	v_lshrrev_b32_e32 v79, 16, v48
	s_wait_loadcnt 0x5
	v_xor_b32_e32 v43, v43, v81
	v_lshrrev_b32_e32 v84, 16, v56
	s_wait_loadcnt 0x3
	v_xor_b32_e32 v64, v64, v85
	s_wait_loadcnt 0x2
	v_xor_b32_e32 v68, v68, v87
	v_and_b32_e32 v85, 0xffffff00, v56
	v_lshlrev_b16 v56, 8, v56
	v_and_b32_e32 v87, 0xffffff00, v43
	v_and_b32_e32 v81, 0xffffff00, v48
	v_lshlrev_b16 v48, 8, v48
	v_lshlrev_b16 v76, 8, v82
	v_sub_nc_i16 v56, v56, v57 clamp
	v_lshrrev_b32_e32 v57, 16, v64
	v_sub_nc_i16 v80, v87, v80 clamp
	v_and_b32_e32 v87, 0xffffff00, v64
	v_lshlrev_b16 v64, 8, v64
	s_wait_loadcnt 0x1
	v_xor_b32_e32 v44, v44, v88
	v_lshrrev_b32_e32 v82, 16, v49
	v_sub_nc_i16 v48, v48, v74 clamp
	v_lshrrev_b32_e32 v74, 16, v43
	v_lshlrev_b16 v43, 8, v43
	v_and_b32_e32 v88, 0xffffff00, v68
	v_sub_nc_i16 v64, v64, v77 clamp
	v_and_b32_e32 v77, 0xffffff00, v79
	v_lshlrev_b16 v79, 8, v79
	v_xor_b32_e32 v63, v63, v83
	v_and_b32_e32 v83, 0xffffff00, v49
	v_lshlrev_b16 v49, 8, v49
	v_sub_nc_i16 v81, v81, v89 clamp
	v_sub_nc_i16 v43, v43, v60 clamp
	v_lshrrev_b32_e32 v60, 16, v68
	v_lshlrev_b16 v68, 8, v68
	v_sub_nc_i16 v86, v88, v86 clamp
	v_and_b32_e32 v88, 0xffffff00, v82
	v_lshlrev_b16 v82, 8, v82
	v_sub_nc_i16 v50, v77, v50 clamp
	v_sub_nc_i16 v53, v79, v53 clamp
	;; [unrolled: 1-line block ×4, first 2 shown]
	v_lshrrev_b32_e32 v75, 16, v63
	v_sub_nc_i16 v78, v85, v78 clamp
	v_and_b32_e32 v85, 0xffffff00, v63
	v_lshlrev_b16 v63, 8, v63
	v_and_b32_e32 v89, 0xffffff00, v44
	v_sub_nc_i16 v45, v68, v45 clamp
	v_and_b32_e32 v68, 0xffffff00, v84
	v_lshlrev_b16 v84, 8, v84
	v_perm_b32 v48, v48, v81, 0xc0c0105
	v_sub_nc_i16 v54, v88, v54 clamp
	v_sub_nc_i16 v55, v82, v55 clamp
	v_perm_b32 v50, v53, v50, 0xc0c0105
	v_sub_nc_i16 v63, v63, v76 clamp
	v_lshrrev_b32_e32 v76, 16, v44
	v_lshlrev_b16 v44, 8, v44
	v_sub_nc_i16 v71, v89, v71 clamp
	v_and_b32_e32 v89, 0xffffff00, v74
	v_lshlrev_b16 v74, 8, v74
	v_perm_b32 v49, v49, v83, 0xc0c0105
	v_sub_nc_i16 v58, v68, v58 clamp
	v_sub_nc_i16 v59, v84, v59 clamp
	v_perm_b32 v53, v55, v54, 0xc0c0105
	v_lshl_or_b32 v48, v50, 16, v48
	v_sub_nc_i16 v44, v44, v72 clamp
	v_and_b32_e32 v72, 0xffffff00, v75
	v_lshlrev_b16 v75, 8, v75
	v_perm_b32 v56, v56, v78, 0xc0c0105
	v_sub_nc_i16 v61, v89, v61 clamp
	v_sub_nc_i16 v62, v74, v62 clamp
	v_perm_b32 v54, v59, v58, 0xc0c0105
	v_lshl_or_b32 v49, v53, 16, v49
	v_dot4_i32_iu8 v18, v48, v18, 0 neg_lo:[1,1,0]
	v_dot4_i32_iu8 v26, v48, v26, 0 neg_lo:[1,1,0]
	v_dot4_i32_iu8 v34, v48, v34, 0 neg_lo:[1,1,0]
	v_sub_nc_i16 v85, v85, v93 clamp
	v_and_b32_e32 v81, 0xffffff00, v57
	v_lshlrev_b16 v57, 8, v57
	v_perm_b32 v43, v43, v80, 0xc0c0105
	v_sub_nc_i16 v65, v72, v65 clamp
	v_sub_nc_i16 v66, v75, v66 clamp
	v_perm_b32 v55, v62, v61, 0xc0c0105
	v_lshl_or_b32 v50, v54, 16, v56
	v_dot4_i32_iu8 v18, v49, v19, v18 neg_lo:[1,1,0]
	v_dot4_i32_iu8 v19, v49, v27, v26 neg_lo:[1,1,0]
	v_dot4_i32_iu8 v26, v49, v35, v34 neg_lo:[1,1,0]
	;; [unrolled: 11-line block ×3, first 2 shown]
	v_and_b32_e32 v79, 0xffffff00, v76
	v_lshlrev_b16 v76, 8, v76
	v_perm_b32 v64, v64, v87, 0xc0c0105
	v_sub_nc_i16 v67, v77, v69 clamp
	v_sub_nc_i16 v60, v60, v70 clamp
	v_perm_b32 v42, v57, v42, 0xc0c0105
	v_lshl_or_b32 v53, v58, 16, v63
	v_dot4_i32_iu8 v18, v43, v21, v18 neg_lo:[1,1,0]
	v_dot4_i32_iu8 v19, v43, v29, v19 neg_lo:[1,1,0]
	;; [unrolled: 1-line block ×3, first 2 shown]
	v_perm_b32 v45, v45, v86, 0xc0c0105
	v_sub_nc_i16 v68, v79, v73 clamp
	v_sub_nc_i16 v46, v76, v46 clamp
	v_perm_b32 v57, v60, v67, 0xc0c0105
	v_lshl_or_b32 v42, v42, 16, v64
	v_dot4_i32_iu8 v18, v53, v22, v18 neg_lo:[1,1,0]
	v_dot4_i32_iu8 v19, v53, v30, v19 neg_lo:[1,1,0]
	v_dot4_i32_iu8 v20, v53, v38, v20 neg_lo:[1,1,0]
	v_perm_b32 v44, v44, v71, 0xc0c0105
	v_perm_b32 v46, v46, v68, 0xc0c0105
	v_lshl_or_b32 v45, v57, 16, v45
	v_dot4_i32_iu8 v18, v42, v23, v18 neg_lo:[1,1,0]
	v_dot4_i32_iu8 v19, v42, v31, v19 neg_lo:[1,1,0]
	;; [unrolled: 1-line block ×3, first 2 shown]
	v_lshl_or_b32 v44, v46, 16, v44
	v_cvt_f32_f16_e32 v21, v41
	v_dot4_i32_iu8 v18, v45, v24, v18 neg_lo:[1,1,0]
	v_dot4_i32_iu8 v19, v45, v32, v19 neg_lo:[1,1,0]
	;; [unrolled: 1-line block ×3, first 2 shown]
	s_delay_alu instid0(VALU_DEP_4)
	v_mul_f32_e32 v22, v21, v25
	s_wait_loadcnt 0x0
	v_dot4_i32_iu8 v18, v44, v91, v18 neg_lo:[1,1,0]
	v_dot4_i32_iu8 v19, v44, v51, v19 neg_lo:[1,1,0]
	;; [unrolled: 1-line block ×3, first 2 shown]
	v_mul_f32_e32 v17, v21, v17
	v_mul_f32_e32 v21, v21, v33
	v_mul_lo_u32 v18, v18, v47
	v_mul_lo_u32 v19, v19, v47
	v_mul_lo_u32 v20, v20, v47
	s_delay_alu instid0(VALU_DEP_3) | instskip(NEXT) | instid1(VALU_DEP_3)
	v_cvt_f32_i32_e32 v18, v18
	v_cvt_f32_i32_e32 v19, v19
	s_delay_alu instid0(VALU_DEP_3) | instskip(NEXT) | instid1(VALU_DEP_3)
	v_cvt_f32_i32_e32 v20, v20
	v_fmac_f32_e32 v9, v17, v18
	s_delay_alu instid0(VALU_DEP_3) | instskip(NEXT) | instid1(VALU_DEP_3)
	v_fmac_f32_e32 v7, v22, v19
	v_fmac_f32_e32 v5, v21, v20
	s_wait_alu 0xfffe
	s_and_not1_b32 exec_lo, exec_lo, s3
	s_cbranch_execnz .LBB258_2
; %bb.3:
	s_or_b32 exec_lo, exec_lo, s3
.LBB258_4:
	s_delay_alu instid0(SALU_CYCLE_1)
	s_or_b32 exec_lo, exec_lo, s21
	s_mov_b32 s3, 0
	; wave barrier
	global_inv scope:SCOPE_SE
	s_mov_b32 s2, exec_lo
	v_cmpx_eq_u32_e32 0, v6
	s_cbranch_execz .LBB258_11
; %bb.5:
	v_mbcnt_lo_u32_b32 v6, -1, 0
	s_load_b64 s[0:1], s[0:1], 0x38
	s_mul_i32 s2, s10, s19
	s_mul_i32 s4, s18, s20
	s_wait_alu 0xfffe
	s_add_co_i32 s2, s2, ttmp9
	v_xor_b32_e32 v0, 16, v6
	v_xor_b32_e32 v1, 8, v6
	;; [unrolled: 1-line block ×3, first 2 shown]
	s_wait_alu 0xfffe
	s_add_co_i32 s2, s2, s4
	s_wait_alu 0xfffe
	s_lshl_b64 s[2:3], s[2:3], 2
	v_cmp_gt_i32_e32 vcc_lo, 32, v0
	s_wait_alu 0xfffd
	v_cndmask_b32_e32 v0, v6, v0, vcc_lo
	v_cmp_gt_i32_e32 vcc_lo, 32, v1
	s_wait_kmcnt 0x0
	s_wait_alu 0xfffe
	s_add_nc_u64 s[0:1], s[0:1], s[2:3]
	s_wait_alu 0xfffd
	v_cndmask_b32_e32 v1, v6, v1, vcc_lo
	s_delay_alu instid0(VALU_DEP_1)
	v_lshlrev_b32_e32 v1, 2, v1
	v_lshlrev_b32_e32 v0, 2, v0
	ds_bpermute_b32 v2, v0, v9
	s_wait_dscnt 0x0
	v_add_f32_e32 v3, v9, v2
	v_xor_b32_e32 v2, 4, v6
	ds_bpermute_b32 v8, v1, v3
	v_cmp_gt_i32_e32 vcc_lo, 32, v2
	s_wait_alu 0xfffd
	v_cndmask_b32_e32 v2, v6, v2, vcc_lo
	s_wait_dscnt 0x0
	v_add_f32_e32 v8, v3, v8
	v_xor_b32_e32 v3, 2, v6
	s_delay_alu instid0(VALU_DEP_1) | instskip(SKIP_3) | instid1(VALU_DEP_2)
	v_cmp_gt_i32_e32 vcc_lo, 32, v3
	s_wait_alu 0xfffd
	v_cndmask_b32_e32 v3, v6, v3, vcc_lo
	v_cmp_gt_i32_e32 vcc_lo, 32, v10
	v_lshlrev_b32_e32 v3, 2, v3
	v_lshlrev_b32_e32 v2, 2, v2
	s_wait_alu 0xfffd
	v_cndmask_b32_e32 v6, v6, v10, vcc_lo
	v_cmp_eq_u32_e32 vcc_lo, 0, v4
	ds_bpermute_b32 v9, v2, v8
	v_lshlrev_b32_e32 v6, 2, v6
	s_wait_dscnt 0x0
	v_add_f32_e32 v8, v8, v9
	ds_bpermute_b32 v9, v3, v8
	s_wait_dscnt 0x0
	v_add_f32_e32 v8, v8, v9
	ds_bpermute_b32 v9, v6, v8
	s_and_saveexec_b32 s2, vcc_lo
	s_cbranch_execz .LBB258_7
; %bb.6:
	s_wait_dscnt 0x0
	v_add_f32_e32 v4, v8, v9
	v_mov_b32_e32 v8, 0
	global_store_b32 v8, v4, s[0:1]
.LBB258_7:
	s_wait_alu 0xfffe
	s_or_b32 exec_lo, exec_lo, s2
	ds_bpermute_b32 v4, v0, v7
	s_wait_dscnt 0x0
	v_add_f32_e32 v4, v7, v4
	ds_bpermute_b32 v7, v1, v4
	s_wait_dscnt 0x0
	v_add_f32_e32 v4, v4, v7
	;; [unrolled: 3-line block ×4, first 2 shown]
	ds_bpermute_b32 v7, v6, v4
	s_and_saveexec_b32 s2, vcc_lo
	s_cbranch_execz .LBB258_9
; %bb.8:
	s_mov_b32 s7, 0
	s_wait_dscnt 0x0
	v_dual_add_f32 v4, v4, v7 :: v_dual_mov_b32 v7, 0
	s_wait_alu 0xfffe
	s_lshl_b64 s[4:5], s[6:7], 2
	s_wait_alu 0xfffe
	s_add_nc_u64 s[4:5], s[0:1], s[4:5]
	global_store_b32 v7, v4, s[4:5]
.LBB258_9:
	s_wait_alu 0xfffe
	s_or_b32 exec_lo, exec_lo, s2
	ds_bpermute_b32 v0, v0, v5
	s_wait_dscnt 0x0
	v_add_f32_e32 v0, v5, v0
	ds_bpermute_b32 v1, v1, v0
	s_wait_dscnt 0x0
	v_add_f32_e32 v0, v0, v1
	;; [unrolled: 3-line block ×4, first 2 shown]
	ds_bpermute_b32 v1, v6, v0
	s_and_b32 exec_lo, exec_lo, vcc_lo
	s_cbranch_execz .LBB258_11
; %bb.10:
	s_lshl_b32 s2, s6, 1
	s_mov_b32 s3, 0
	s_wait_dscnt 0x0
	v_dual_add_f32 v0, v0, v1 :: v_dual_mov_b32 v1, 0
	s_wait_alu 0xfffe
	s_lshl_b64 s[2:3], s[2:3], 2
	s_wait_alu 0xfffe
	s_add_nc_u64 s[0:1], s[0:1], s[2:3]
	global_store_b32 v1, v0, s[0:1]
.LBB258_11:
	s_endpgm
	.section	.rodata,"a",@progbits
	.p2align	6, 0x0
	.amdhsa_kernel _ZL13mul_mat_vec_qIL9ggml_type21ELi3ELb0ELb0EEvPKvS2_PKi31ggml_cuda_mm_fusion_args_devicePfj15HIP_vector_typeIjLj3EEjjjS8_jjjS8_jjjj
		.amdhsa_group_segment_fixed_size 0
		.amdhsa_private_segment_fixed_size 0
		.amdhsa_kernarg_size 144
		.amdhsa_user_sgpr_count 2
		.amdhsa_user_sgpr_dispatch_ptr 0
		.amdhsa_user_sgpr_queue_ptr 0
		.amdhsa_user_sgpr_kernarg_segment_ptr 1
		.amdhsa_user_sgpr_dispatch_id 0
		.amdhsa_user_sgpr_private_segment_size 0
		.amdhsa_wavefront_size32 1
		.amdhsa_uses_dynamic_stack 0
		.amdhsa_enable_private_segment 0
		.amdhsa_system_sgpr_workgroup_id_x 1
		.amdhsa_system_sgpr_workgroup_id_y 1
		.amdhsa_system_sgpr_workgroup_id_z 1
		.amdhsa_system_sgpr_workgroup_info 0
		.amdhsa_system_vgpr_workitem_id 1
		.amdhsa_next_free_vgpr 94
		.amdhsa_next_free_sgpr 26
		.amdhsa_reserve_vcc 1
		.amdhsa_float_round_mode_32 0
		.amdhsa_float_round_mode_16_64 0
		.amdhsa_float_denorm_mode_32 3
		.amdhsa_float_denorm_mode_16_64 3
		.amdhsa_fp16_overflow 0
		.amdhsa_workgroup_processor_mode 1
		.amdhsa_memory_ordered 1
		.amdhsa_forward_progress 1
		.amdhsa_inst_pref_size 33
		.amdhsa_round_robin_scheduling 0
		.amdhsa_exception_fp_ieee_invalid_op 0
		.amdhsa_exception_fp_denorm_src 0
		.amdhsa_exception_fp_ieee_div_zero 0
		.amdhsa_exception_fp_ieee_overflow 0
		.amdhsa_exception_fp_ieee_underflow 0
		.amdhsa_exception_fp_ieee_inexact 0
		.amdhsa_exception_int_div_zero 0
	.end_amdhsa_kernel
	.section	.text._ZL13mul_mat_vec_qIL9ggml_type21ELi3ELb0ELb0EEvPKvS2_PKi31ggml_cuda_mm_fusion_args_devicePfj15HIP_vector_typeIjLj3EEjjjS8_jjjS8_jjjj,"axG",@progbits,_ZL13mul_mat_vec_qIL9ggml_type21ELi3ELb0ELb0EEvPKvS2_PKi31ggml_cuda_mm_fusion_args_devicePfj15HIP_vector_typeIjLj3EEjjjS8_jjjS8_jjjj,comdat
.Lfunc_end258:
	.size	_ZL13mul_mat_vec_qIL9ggml_type21ELi3ELb0ELb0EEvPKvS2_PKi31ggml_cuda_mm_fusion_args_devicePfj15HIP_vector_typeIjLj3EEjjjS8_jjjS8_jjjj, .Lfunc_end258-_ZL13mul_mat_vec_qIL9ggml_type21ELi3ELb0ELb0EEvPKvS2_PKi31ggml_cuda_mm_fusion_args_devicePfj15HIP_vector_typeIjLj3EEjjjS8_jjjS8_jjjj
                                        ; -- End function
	.set _ZL13mul_mat_vec_qIL9ggml_type21ELi3ELb0ELb0EEvPKvS2_PKi31ggml_cuda_mm_fusion_args_devicePfj15HIP_vector_typeIjLj3EEjjjS8_jjjS8_jjjj.num_vgpr, 94
	.set _ZL13mul_mat_vec_qIL9ggml_type21ELi3ELb0ELb0EEvPKvS2_PKi31ggml_cuda_mm_fusion_args_devicePfj15HIP_vector_typeIjLj3EEjjjS8_jjjS8_jjjj.num_agpr, 0
	.set _ZL13mul_mat_vec_qIL9ggml_type21ELi3ELb0ELb0EEvPKvS2_PKi31ggml_cuda_mm_fusion_args_devicePfj15HIP_vector_typeIjLj3EEjjjS8_jjjS8_jjjj.numbered_sgpr, 26
	.set _ZL13mul_mat_vec_qIL9ggml_type21ELi3ELb0ELb0EEvPKvS2_PKi31ggml_cuda_mm_fusion_args_devicePfj15HIP_vector_typeIjLj3EEjjjS8_jjjS8_jjjj.num_named_barrier, 0
	.set _ZL13mul_mat_vec_qIL9ggml_type21ELi3ELb0ELb0EEvPKvS2_PKi31ggml_cuda_mm_fusion_args_devicePfj15HIP_vector_typeIjLj3EEjjjS8_jjjS8_jjjj.private_seg_size, 0
	.set _ZL13mul_mat_vec_qIL9ggml_type21ELi3ELb0ELb0EEvPKvS2_PKi31ggml_cuda_mm_fusion_args_devicePfj15HIP_vector_typeIjLj3EEjjjS8_jjjS8_jjjj.uses_vcc, 1
	.set _ZL13mul_mat_vec_qIL9ggml_type21ELi3ELb0ELb0EEvPKvS2_PKi31ggml_cuda_mm_fusion_args_devicePfj15HIP_vector_typeIjLj3EEjjjS8_jjjS8_jjjj.uses_flat_scratch, 0
	.set _ZL13mul_mat_vec_qIL9ggml_type21ELi3ELb0ELb0EEvPKvS2_PKi31ggml_cuda_mm_fusion_args_devicePfj15HIP_vector_typeIjLj3EEjjjS8_jjjS8_jjjj.has_dyn_sized_stack, 0
	.set _ZL13mul_mat_vec_qIL9ggml_type21ELi3ELb0ELb0EEvPKvS2_PKi31ggml_cuda_mm_fusion_args_devicePfj15HIP_vector_typeIjLj3EEjjjS8_jjjS8_jjjj.has_recursion, 0
	.set _ZL13mul_mat_vec_qIL9ggml_type21ELi3ELb0ELb0EEvPKvS2_PKi31ggml_cuda_mm_fusion_args_devicePfj15HIP_vector_typeIjLj3EEjjjS8_jjjS8_jjjj.has_indirect_call, 0
	.section	.AMDGPU.csdata,"",@progbits
; Kernel info:
; codeLenInByte = 4156
; TotalNumSgprs: 28
; NumVgprs: 94
; ScratchSize: 0
; MemoryBound: 0
; FloatMode: 240
; IeeeMode: 1
; LDSByteSize: 0 bytes/workgroup (compile time only)
; SGPRBlocks: 0
; VGPRBlocks: 11
; NumSGPRsForWavesPerEU: 28
; NumVGPRsForWavesPerEU: 94
; Occupancy: 16
; WaveLimiterHint : 0
; COMPUTE_PGM_RSRC2:SCRATCH_EN: 0
; COMPUTE_PGM_RSRC2:USER_SGPR: 2
; COMPUTE_PGM_RSRC2:TRAP_HANDLER: 0
; COMPUTE_PGM_RSRC2:TGID_X_EN: 1
; COMPUTE_PGM_RSRC2:TGID_Y_EN: 1
; COMPUTE_PGM_RSRC2:TGID_Z_EN: 1
; COMPUTE_PGM_RSRC2:TIDIG_COMP_CNT: 1
	.section	.text._ZL13mul_mat_vec_qIL9ggml_type21ELi4ELb0ELb0EEvPKvS2_PKi31ggml_cuda_mm_fusion_args_devicePfj15HIP_vector_typeIjLj3EEjjjS8_jjjS8_jjjj,"axG",@progbits,_ZL13mul_mat_vec_qIL9ggml_type21ELi4ELb0ELb0EEvPKvS2_PKi31ggml_cuda_mm_fusion_args_devicePfj15HIP_vector_typeIjLj3EEjjjS8_jjjS8_jjjj,comdat
	.globl	_ZL13mul_mat_vec_qIL9ggml_type21ELi4ELb0ELb0EEvPKvS2_PKi31ggml_cuda_mm_fusion_args_devicePfj15HIP_vector_typeIjLj3EEjjjS8_jjjS8_jjjj ; -- Begin function _ZL13mul_mat_vec_qIL9ggml_type21ELi4ELb0ELb0EEvPKvS2_PKi31ggml_cuda_mm_fusion_args_devicePfj15HIP_vector_typeIjLj3EEjjjS8_jjjS8_jjjj
	.p2align	8
	.type	_ZL13mul_mat_vec_qIL9ggml_type21ELi4ELb0ELb0EEvPKvS2_PKi31ggml_cuda_mm_fusion_args_devicePfj15HIP_vector_typeIjLj3EEjjjS8_jjjS8_jjjj,@function
_ZL13mul_mat_vec_qIL9ggml_type21ELi4ELb0ELb0EEvPKvS2_PKi31ggml_cuda_mm_fusion_args_devicePfj15HIP_vector_typeIjLj3EEjjjS8_jjjS8_jjjj: ; @_ZL13mul_mat_vec_qIL9ggml_type21ELi4ELb0ELb0EEvPKvS2_PKi31ggml_cuda_mm_fusion_args_devicePfj15HIP_vector_typeIjLj3EEjjjS8_jjjS8_jjjj
; %bb.0:
	s_clause 0x5
	s_load_b96 s[16:18], s[0:1], 0x80
	s_load_b32 s2, s[0:1], 0x40
	s_load_b128 s[4:7], s[0:1], 0x50
	s_load_b32 s23, s[0:1], 0x60
	s_load_b128 s[8:11], s[0:1], 0x68
	s_load_b32 s24, s[0:1], 0x78
	v_bfe_u32 v8, v0, 10, 10
	v_dual_mov_b32 v6, 0 :: v_dual_and_b32 v5, 0x3ff, v0
	v_mov_b32_e32 v7, 0
	v_mov_b32_e32 v9, 0
	;; [unrolled: 1-line block ×3, first 2 shown]
	s_delay_alu instid0(VALU_DEP_4) | instskip(SKIP_3) | instid1(VALU_DEP_1)
	v_lshl_or_b32 v0, v8, 5, v5
	s_and_b32 s19, ttmp7, 0xffff
	s_lshr_b32 s20, ttmp7, 16
	s_mov_b32 s21, exec_lo
	v_lshrrev_b32_e32 v10, 3, v0
	s_wait_kmcnt 0x0
	s_lshr_b32 s22, s2, 8
	s_delay_alu instid0(VALU_DEP_1) | instid1(SALU_CYCLE_1)
	v_cmpx_gt_u32_e64 s22, v10
	s_cbranch_execz .LBB259_4
; %bb.1:
	v_lshl_add_u32 v0, v8, 5, v5
	s_mov_b32 s3, 0
	s_mul_i32 s26, s9, s19
	s_mov_b32 s27, s3
	s_load_b128 s[12:15], s[0:1], 0x0
	v_lshrrev_b32_e32 v0, 3, v0
	s_mul_u64 s[26:27], s[26:27], 36
	s_mul_i32 s2, s17, s20
	v_and_b32_e32 v12, 7, v5
	v_dual_mov_b32 v11, 0 :: v_dual_lshlrev_b32 v2, 1, v5
	v_mad_co_u64_u32 v[0:1], null, 0x120, v0, s[26:27]
	v_lshlrev_b32_e32 v4, 3, v10
	s_mul_hi_u32 s7, s7, s19
	s_delay_alu instid0(VALU_DEP_3)
	v_and_b32_e32 v9, 14, v2
	v_bfe_u32 v13, v2, 2, 2
	s_mul_hi_u32 s11, s11, s20
	v_mad_co_u64_u32 v[2:3], null, s5, 3, v[4:5]
	v_mad_co_u64_u32 v[0:1], null, s2, 36, v[0:1]
	s_add_co_i32 s7, s19, s7
	s_mul_u64 s[28:29], s[2:3], 36
	s_add_co_i32 s9, s20, s11
	s_lshr_b32 s7, s7, s23
	s_lshr_b32 s11, s9, s24
	s_mul_i32 s7, s7, s8
	v_mad_co_u64_u32 v[6:7], null, v12, 36, v[0:1]
	s_wait_kmcnt 0x0
	s_add_nc_u64 s[8:9], s[14:15], s[28:29]
	s_mul_i32 s4, s4, ttmp9
	s_add_nc_u64 s[8:9], s[8:9], s[26:27]
	s_mul_i32 s2, s11, s16
	s_wait_alu 0xfffe
	s_add_co_i32 s7, s7, s4
	v_add_co_u32 v3, vcc_lo, s14, v6
	s_delay_alu instid0(VALU_DEP_1) | instskip(SKIP_1) | instid1(VALU_DEP_3)
	v_add_co_ci_u32_e64 v6, null, s15, v7, vcc_lo
	v_mov_b32_e32 v7, 0
	v_add_co_u32 v3, vcc_lo, v3, 16
	v_add_nc_u32_e32 v15, s5, v4
	v_lshl_add_u32 v16, s5, 1, v4
	s_wait_alu 0xfffd
	v_add_co_ci_u32_e64 v4, null, 0, v6, vcc_lo
	v_dual_mov_b32 v6, 0 :: v_dual_lshlrev_b32 v17, 1, v9
	v_dual_mov_b32 v9, 0 :: v_dual_lshlrev_b32 v18, 1, v9
	v_mad_co_u64_u32 v[0:1], null, v12, 36, s[8:9]
	s_delay_alu instid0(VALU_DEP_3)
	v_and_b32_e32 v14, 4, v17
	v_lshlrev_b32_e32 v17, 1, v17
	s_add_co_i32 s2, s2, s7
.LBB259_2:                              ; =>This Inner Loop Header: Depth=1
	s_wait_alu 0xfffe
	v_add_nc_u32_e32 v27, s2, v10
	s_delay_alu instid0(VALU_DEP_4)
	v_mad_co_u64_u32 v[31:32], null, v15, 36, v[0:1]
	s_clause 0x1
	global_load_b128 v[19:22], v[3:4], off offset:-16
	global_load_b128 v[23:26], v[3:4], off
	s_getpc_b64 s[4:5]
	s_wait_alu 0xfffe
	s_sext_i32_i16 s5, s5
	s_add_co_u32 s4, s4, _ZL9iq3s_grid@rel32@lo+12
	s_wait_alu 0xfffe
	s_add_co_ci_u32 s5, s5, _ZL9iq3s_grid@rel32@hi+24
	v_mad_co_i64_i32 v[35:36], null, 0x6e, v27, s[12:13]
	v_mad_co_u64_u32 v[43:44], null, v16, 36, v[0:1]
	s_clause 0x2
	global_load_b32 v51, v[31:32], off offset:32
	global_load_b128 v[27:30], v[31:32], off
	global_load_b128 v[31:34], v[31:32], off offset:16
	v_mad_co_u64_u32 v[47:48], null, v2, 36, v[0:1]
	v_add_nc_u32_e32 v10, 4, v10
	v_add_co_u32 v37, vcc_lo, v35, v17
	s_wait_alu 0xfffd
	v_add_co_ci_u32_e64 v38, null, 0, v36, vcc_lo
	v_add_co_u32 v39, vcc_lo, v35, v12
	s_wait_alu 0xfffd
	v_add_co_ci_u32_e64 v40, null, 0, v36, vcc_lo
	;; [unrolled: 3-line block ×4, first 2 shown]
	s_clause 0x4
	global_load_b32 v41, v[41:42], off offset:74
	global_load_b64 v[37:38], v[37:38], off offset:2
	global_load_u8 v39, v[39:40], off offset:66
	global_load_u8 v52, v[45:46], off offset:106
	global_load_u16 v53, v[35:36], off
	v_add_nc_u32_e32 v15, 32, v15
	v_add_nc_u32_e32 v2, 32, v2
	;; [unrolled: 1-line block ×3, first 2 shown]
	s_wait_loadcnt 0x9
	v_cvt_f32_f16_e32 v19, v19
	s_wait_loadcnt 0x6
	v_cvt_f32_f16_e32 v27, v27
	s_wait_loadcnt 0x4
	v_lshrrev_b32_e32 v79, 31, v41
	s_wait_loadcnt 0x3
	v_and_b32_e32 v36, 0xff, v37
	s_wait_loadcnt 0x2
	v_lshlrev_b32_e32 v40, 8, v39
	v_bfe_u32 v42, v37, 8, 8
	v_lshlrev_b32_e32 v45, 7, v39
	v_and_b32_e32 v46, 0xff, v41
	v_lshlrev_b32_e32 v49, 21, v41
	v_lshlrev_b32_e32 v54, 17, v41
	v_bfe_u32 v56, v37, 16, 8
	v_lshlrev_b32_e32 v57, 6, v39
	v_lshrrev_b32_e32 v37, 24, v37
	v_lshlrev_b32_e32 v58, 5, v39
	v_lshrrev_b32_e32 v55, 6, v41
	v_lshrrev_b32_e32 v60, 11, v41
	;; [unrolled: 1-line block ×3, first 2 shown]
	v_and_b32_e32 v65, 0xff, v38
	v_lshlrev_b32_e32 v66, 4, v39
	v_bfe_u32 v67, v38, 8, 8
	v_lshlrev_b32_e32 v68, 3, v39
	v_bfe_u32 v73, v38, 16, 8
	v_lshlrev_b32_e32 v74, 2, v39
	v_lshrrev_b32_e32 v35, 16, v41
	v_lshrrev_b32_e32 v50, 2, v41
	;; [unrolled: 1-line block ×11, first 2 shown]
	v_lshlrev_b32_e32 v39, 1, v39
	v_lshrrev_b32_e32 v75, 17, v41
	v_lshrrev_b32_e32 v76, 3, v41
	;; [unrolled: 1-line block ×5, first 2 shown]
	v_and_or_b32 v36, 0x100, v40, v36
	v_cmp_ne_u16_e32 vcc_lo, 0, v79
	v_and_or_b32 v40, 0x100, v45, v42
	v_lshl_or_b32 v42, v46, 7, v49
	v_lshl_or_b32 v45, v46, 3, v54
	v_and_or_b32 v46, 0x100, v57, v56
	v_and_or_b32 v37, 0x100, v58, v37
	v_bfe_i32 v54, v55, 0, 1
	v_bfe_i32 v55, v60, 0, 1
	;; [unrolled: 1-line block ×3, first 2 shown]
	v_and_or_b32 v60, 0x100, v66, v65
	v_and_or_b32 v61, 0x100, v68, v67
	;; [unrolled: 1-line block ×3, first 2 shown]
	v_bfe_i32 v58, v63, 0, 1
	v_bfe_i32 v63, v70, 0, 1
	v_and_or_b32 v38, 0x100, v39, v38
	v_bfe_i32 v70, v41, 0, 1
	s_wait_alu 0xfffd
	v_cndmask_b32_e64 v41, 0, -1, vcc_lo
	v_lshlrev_b32_e32 v36, 2, v36
	v_lshlrev_b32_e32 v40, 2, v40
	;; [unrolled: 1-line block ×8, first 2 shown]
	v_lshlrev_b16 v86, 8, v41
	s_clause 0x7
	global_load_b32 v36, v36, s[4:5]
	global_load_b32 v40, v40, s[4:5]
	;; [unrolled: 1-line block ×8, first 2 shown]
	v_bfe_u32 v66, v76, 24, 1
	v_and_b32_e32 v57, 0x180, v62
	v_lshl_or_b32 v62, v35, 21, v69
	v_lshl_or_b32 v35, v35, 17, v71
	v_and_b32_e32 v71, 0x1800180, v42
	v_bfe_u32 v42, v42, 24, 1
	v_cmp_ne_u16_e32 vcc_lo, 0, v66
	v_bfe_i32 v49, v50, 0, 1
	v_and_b32_e32 v50, 0x180, v59
	v_and_b32_e32 v73, 0x1800180, v45
	v_bfe_u32 v45, v45, 24, 1
	s_wait_alu 0xfffd
	v_cndmask_b32_e64 v66, 0, -1, vcc_lo
	v_cmp_ne_u16_e32 vcc_lo, 0, v42
	v_and_b32_e32 v39, 0x180, v75
	v_lshrrev_b16 v75, 8, v50
	v_bfe_i32 v67, v77, 0, 1
	v_lshrrev_b16 v77, 8, v57
	s_wait_alu 0xfffd
	v_cndmask_b32_e64 v42, 0, -1, vcc_lo
	v_cmp_ne_u16_e32 vcc_lo, 0, v45
	v_and_b32_e32 v79, 0x1800180, v62
	v_bfe_u32 v62, v62, 24, 1
	v_and_b32_e32 v81, 0x1800180, v35
	v_bfe_u32 v35, v35, 24, 1
	s_wait_alu 0xfffd
	v_cndmask_b32_e64 v45, 0, -1, vcc_lo
	v_cmp_ne_u16_e32 vcc_lo, 0, v75
	v_lshrrev_b16 v83, 8, v39
	v_lshrrev_b16 v68, 8, v78
	;; [unrolled: 1-line block ×4, first 2 shown]
	s_wait_alu 0xfffd
	v_cndmask_b32_e64 v75, 0, -1, vcc_lo
	v_cmp_ne_u16_e32 vcc_lo, 0, v77
	v_lshrrev_b16 v39, 7, v39
	v_lshrrev_b16 v37, 8, v71
	v_bfe_i32 v68, v68, 0, 1
	v_bfe_i32 v69, v69, 0, 1
	s_wait_alu 0xfffd
	v_cndmask_b32_e64 v77, 0, -1, vcc_lo
	v_cmp_ne_u16_e32 vcc_lo, 0, v62
	v_lshrrev_b16 v38, 7, v71
	v_lshrrev_b16 v71, 8, v73
	v_bfe_i32 v50, v50, 0, 1
	v_bfe_i32 v90, v39, 0, 1
	s_wait_alu 0xfffd
	v_cndmask_b32_e64 v62, 0, -1, vcc_lo
	v_cmp_ne_u16_e32 vcc_lo, 0, v35
	v_lshlrev_b16 v55, 8, v55
	v_and_b32_e32 v76, 0xff, v56
	v_and_b32_e32 v85, 0xff, v70
	v_lshlrev_b16 v68, 8, v68
	s_wait_alu 0xfffd
	v_cndmask_b32_e64 v35, 0, -1, vcc_lo
	v_cmp_ne_u16_e32 vcc_lo, 0, v83
	v_and_b32_e32 v83, 0xff, v69
	v_lshlrev_b16 v92, 8, v42
	v_and_b32_e32 v42, 0xff, v50
	v_lshrrev_b16 v57, 7, v57
	s_wait_alu 0xfffd
	v_cndmask_b32_e64 v39, 0, -1, vcc_lo
	v_cmp_ne_u16_e32 vcc_lo, 0, v37
	v_or_b32_e32 v76, v76, v55
	v_or_b32_e32 v85, v85, v86
	;; [unrolled: 1-line block ×3, first 2 shown]
	v_bfe_i32 v59, v64, 0, 1
	s_wait_alu 0xfffd
	v_cndmask_b32_e64 v37, 0, -1, vcc_lo
	v_cmp_ne_u16_e32 vcc_lo, 0, v71
	v_lshlrev_b16 v71, 8, v45
	v_lshlrev_b16 v45, 8, v75
	v_and_b32_e32 v84, 0xff, v67
	v_bfe_i32 v57, v57, 0, 1
	v_lshrrev_b16 v88, 8, v79
	v_lshlrev_b16 v66, 8, v66
	v_or_b32_e32 v42, v42, v45
	v_bfe_i32 v91, v38, 0, 1
	v_lshlrev_b32_e32 v75, 16, v76
	v_lshlrev_b16 v93, 8, v35
	v_lshlrev_b32_e32 v35, 16, v85
	v_and_b32_e32 v83, 0xffff, v83
	v_and_b32_e32 v42, 0xffff, v42
	v_bfe_i32 v64, v72, 0, 1
	v_and_b32_e32 v72, 0xff, v49
	v_lshlrev_b16 v58, 8, v58
	v_and_b32_e32 v78, 0xff, v59
	v_lshrrev_b16 v89, 8, v81
	s_wait_alu 0xfffd
	v_cndmask_b32_e64 v38, 0, -1, vcc_lo
	v_and_b32_e32 v76, 0xff, v57
	v_lshlrev_b16 v77, 8, v77
	v_cmp_ne_u16_e32 vcc_lo, 0, v88
	v_or_b32_e32 v83, v83, v35
	v_and_b32_e32 v35, 0xff, v90
	v_lshlrev_b16 v85, 8, v39
	v_or_b32_e32 v39, v84, v66
	v_or_b32_e32 v42, v42, v75
	v_and_b32_e32 v75, 0xff, v91
	v_lshlrev_b16 v84, 8, v37
	v_lshrrev_b16 v73, 7, v73
	v_or_b32_e32 v78, v78, v58
	v_lshrrev_b16 v81, 7, v81
	s_wait_alu 0xfffd
	v_cndmask_b32_e64 v88, 0, -1, vcc_lo
	v_cmp_ne_u16_e32 vcc_lo, 0, v89
	v_or_b32_e32 v76, v76, v77
	v_or_b32_e32 v37, v72, v92
	;; [unrolled: 1-line block ×4, first 2 shown]
	v_and_b32_e32 v74, 0xff, v54
	v_and_b32_e32 v80, 0xff, v63
	v_bfe_i32 v73, v73, 0, 1
	v_lshlrev_b32_e32 v78, 16, v78
	v_lshlrev_b16 v62, 8, v62
	v_bfe_i32 v81, v81, 0, 1
	s_wait_alu 0xfffd
	v_cndmask_b32_e64 v89, 0, -1, vcc_lo
	v_and_b32_e32 v72, 0xffff, v76
	v_lshlrev_b32_e32 v39, 16, v39
	v_and_b32_e32 v35, 0xffff, v35
	v_lshlrev_b32_e32 v37, 16, v37
	v_and_b32_e32 v75, 0xffff, v75
	v_and_b32_e32 v82, 0xff, v64
	v_or_b32_e32 v72, v72, v78
	v_and_b32_e32 v76, 0xff, v73
	v_lshlrev_b16 v78, 8, v38
	v_or_b32_e32 v38, v74, v71
	v_or_b32_e32 v74, v35, v39
	;; [unrolled: 1-line block ×4, first 2 shown]
	v_and_b32_e32 v75, 0xff, v81
	v_lshlrev_b16 v80, 8, v89
	v_lshrrev_b16 v79, 7, v79
	v_or_b32_e32 v82, v82, v93
	v_or_b32_e32 v76, v76, v78
	v_lshlrev_b32_e32 v38, 16, v38
	v_or_b32_e32 v75, v75, v80
	v_bfe_i32 v79, v79, 0, 1
	v_lshlrev_b32_e32 v82, 16, v82
	v_and_b32_e32 v76, 0xffff, v76
	v_lshlrev_b16 v88, 8, v88
	v_and_b32_e32 v75, 0xffff, v75
	v_and_b32_e32 v35, 0xff, v79
	v_lshlrev_b32_e32 v39, 16, v39
	v_or_b32_e32 v76, v76, v38
	v_lshlrev_b16 v73, 8, v73
	v_or_b32_e32 v75, v75, v82
	v_or_b32_e32 v35, v35, v88
	v_lshlrev_b16 v50, 8, v50
	v_lshlrev_b16 v57, 8, v57
	;; [unrolled: 1-line block ×4, first 2 shown]
	v_and_b32_e32 v35, 0xffff, v35
	v_lshlrev_b16 v49, 8, v49
	v_lshlrev_b16 v54, 8, v54
	;; [unrolled: 1-line block ×4, first 2 shown]
	v_or_b32_e32 v39, v35, v39
	v_lshlrev_b16 v63, 8, v63
	v_lshlrev_b16 v64, 8, v64
	;; [unrolled: 1-line block ×4, first 2 shown]
	s_wait_loadcnt 0x9
	v_lshrrev_b32_e32 v52, v14, v52
	global_load_b32 v89, v[43:44], off offset:32
	v_lshlrev_b32_e32 v52, 1, v52
	s_wait_loadcnt 0x8
	v_xor_b32_e32 v82, v36, v37
	s_wait_loadcnt 0x7
	v_xor_b32_e32 v76, v40, v76
	;; [unrolled: 2-line block ×6, first 2 shown]
	v_lshlrev_b16 v75, 8, v91
	s_wait_loadcnt 0x2
	v_xor_b32_e32 v65, v65, v74
	s_wait_loadcnt 0x1
	v_xor_b32_e32 v74, v87, v83
	v_lshlrev_b16 v87, 8, v82
	v_and_b32_e32 v83, 0xffffff00, v82
	v_lshlrev_b16 v46, 8, v69
	v_lshlrev_b16 v69, 8, v90
	global_load_b128 v[35:38], v[43:44], off
	v_sub_nc_i16 v75, v87, v75 clamp
	v_lshlrev_b16 v87, 8, v76
	v_sub_nc_i16 v83, v83, v84 clamp
	v_and_b32_e32 v84, 0xffffff00, v76
	global_load_b128 v[39:42], v[47:48], off
	v_lshrrev_b32_e32 v76, 16, v76
	v_sub_nc_i16 v73, v87, v73 clamp
	v_lshlrev_b16 v87, 8, v94
	v_sub_nc_i16 v78, v84, v78 clamp
	v_and_b32_e32 v84, 0xffffff00, v94
	v_perm_b32 v75, v75, v83, 0xc0c0105
	global_load_b32 v83, v[47:48], off offset:32
	v_sub_nc_i16 v87, v87, v50 clamp
	v_lshlrev_b16 v50, 8, v72
	v_sub_nc_i16 v84, v84, v45 clamp
	v_and_b32_e32 v45, 0xffffff00, v72
	v_lshrrev_b32_e32 v72, 16, v72
	v_perm_b32 v73, v73, v78, 0xc0c0105
	v_sub_nc_i16 v57, v50, v57 clamp
	v_lshlrev_b16 v50, 8, v60
	v_sub_nc_i16 v77, v45, v77 clamp
	v_and_b32_e32 v45, 0xffffff00, v60
	v_lshrrev_b32_e32 v60, 16, v60
	v_lshrrev_b32_e32 v78, 16, v94
	v_sub_nc_i16 v79, v50, v79 clamp
	v_lshlrev_b16 v50, 8, v61
	v_sub_nc_i16 v88, v45, v88 clamp
	v_and_b32_e32 v45, 0xffffff00, v61
	v_perm_b32 v57, v57, v77, 0xc0c0105
	v_and_b32_e32 v77, 0xffffff00, v72
	v_sub_nc_i16 v81, v50, v81 clamp
	v_lshlrev_b16 v50, 8, v65
	v_sub_nc_i16 v80, v45, v80 clamp
	v_and_b32_e32 v45, 0xffffff00, v65
	v_sub_nc_i16 v58, v77, v58 clamp
	v_lshrrev_b32_e32 v61, 16, v61
	v_sub_nc_i16 v69, v50, v69 clamp
	v_lshlrev_b16 v50, 8, v74
	v_sub_nc_i16 v85, v45, v85 clamp
	v_and_b32_e32 v45, 0xffffff00, v74
	v_and_b32_e32 v77, 0xffffff00, v60
	v_perm_b32 v84, v87, v84, 0xc0c0105
	v_sub_nc_i16 v90, v50, v46 clamp
	v_lshrrev_b32_e32 v50, 16, v82
	v_sub_nc_i16 v68, v45, v68 clamp
	global_load_b128 v[43:46], v[43:44], off offset:16
	v_and_b32_e32 v87, 0xffffff00, v78
	v_lshlrev_b16 v78, 8, v78
	v_and_b32_e32 v82, 0xffffff00, v50
	v_lshlrev_b16 v50, 8, v50
	v_lshlrev_b16 v72, 8, v72
	;; [unrolled: 1-line block ×3, first 2 shown]
	v_sub_nc_i16 v62, v77, v62 clamp
	v_sub_nc_i16 v82, v82, v92 clamp
	;; [unrolled: 1-line block ×3, first 2 shown]
	v_and_b32_e32 v49, 0xffffff00, v76
	v_lshlrev_b16 v76, 8, v76
	v_and_b32_e32 v77, 0xffffff00, v61
	v_lshlrev_b16 v61, 8, v61
	v_sub_nc_i16 v55, v87, v55 clamp
	v_sub_nc_i16 v71, v49, v71 clamp
	global_load_b128 v[47:50], v[47:48], off offset:16
	v_sub_nc_i16 v54, v76, v54 clamp
	global_load_b32 v76, v[3:4], off offset:16
	v_sub_nc_i16 v56, v78, v56 clamp
	v_sub_nc_i16 v59, v72, v59 clamp
	v_sub_nc_i16 v60, v60, v63 clamp
	v_sub_nc_i16 v61, v61, v64 clamp
	v_perm_b32 v64, v69, v85, 0xc0c0105
	v_perm_b32 v69, v91, v82, 0xc0c0105
	v_perm_b32 v54, v54, v71, 0xc0c0105
	v_perm_b32 v55, v56, v55, 0xc0c0105
	v_perm_b32 v56, v59, v58, 0xc0c0105
	v_perm_b32 v58, v60, v62, 0xc0c0105
	v_lshl_or_b32 v62, v69, 16, v75
	v_lshl_or_b32 v54, v54, 16, v73
	v_lshrrev_b32_e32 v65, 16, v65
	v_lshl_or_b32 v55, v55, 16, v84
	v_lshrrev_b32_e32 v72, 16, v74
	v_dot4_i32_iu8 v20, v62, v20, 0 neg_lo:[1,1,0]
	v_dot4_i32_iu8 v28, v62, v28, 0 neg_lo:[1,1,0]
	v_perm_b32 v74, v79, v88, 0xc0c0105
	v_and_b32_e32 v63, 0xffffff00, v65
	v_lshlrev_b16 v65, 8, v65
	v_dot4_i32_iu8 v20, v54, v21, v20 neg_lo:[1,1,0]
	v_dot4_i32_iu8 v21, v54, v29, v28 neg_lo:[1,1,0]
	v_sub_nc_i16 v77, v77, v93 clamp
	v_perm_b32 v78, v81, v80, 0xc0c0105
	v_and_b32_e32 v79, 0xffffff00, v72
	v_dot4_i32_iu8 v20, v55, v22, v20 neg_lo:[1,1,0]
	v_dot4_i32_iu8 v21, v55, v30, v21 neg_lo:[1,1,0]
	v_lshlrev_b16 v72, 8, v72
	v_sub_nc_i16 v63, v63, v66 clamp
	v_sub_nc_i16 v65, v65, v67 clamp
	v_perm_b32 v59, v61, v77, 0xc0c0105
	v_perm_b32 v66, v90, v68, 0xc0c0105
	v_sub_nc_i16 v67, v79, v86 clamp
	v_sub_nc_i16 v68, v72, v70 clamp
	v_perm_b32 v60, v65, v63, 0xc0c0105
	v_add_co_u32 v3, vcc_lo, 0x480, v3
	s_wait_alu 0xfffd
	v_add_co_ci_u32_e64 v4, null, 0, v4, vcc_lo
	v_perm_b32 v61, v68, v67, 0xc0c0105
	v_cmp_le_u32_e32 vcc_lo, s22, v10
	s_or_b32 s3, vcc_lo, s3
	s_wait_loadcnt 0x5
	v_dot4_i32_iu8 v36, v62, v36, 0 neg_lo:[1,1,0]
	v_cvt_f32_f16_e32 v35, v35
	s_wait_loadcnt 0x4
	v_dot4_i32_iu8 v40, v62, v40, 0 neg_lo:[1,1,0]
	s_delay_alu instid0(VALU_DEP_3) | instskip(SKIP_2) | instid1(VALU_DEP_4)
	v_dot4_i32_iu8 v28, v54, v37, v36 neg_lo:[1,1,0]
	v_lshl_or_b32 v36, v56, 16, v57
	v_cvt_f32_f16_e32 v39, v39
	v_dot4_i32_iu8 v29, v54, v41, v40 neg_lo:[1,1,0]
	s_delay_alu instid0(VALU_DEP_4) | instskip(NEXT) | instid1(VALU_DEP_4)
	v_dot4_i32_iu8 v22, v55, v38, v28 neg_lo:[1,1,0]
	v_dot4_i32_iu8 v20, v36, v23, v20 neg_lo:[1,1,0]
	;; [unrolled: 1-line block ×3, first 2 shown]
	s_delay_alu instid0(VALU_DEP_4) | instskip(SKIP_1) | instid1(VALU_DEP_1)
	v_dot4_i32_iu8 v28, v55, v42, v29 neg_lo:[1,1,0]
	v_lshl_or_b32 v29, v58, 16, v74
	v_dot4_i32_iu8 v20, v29, v24, v20 neg_lo:[1,1,0]
	s_delay_alu instid0(VALU_DEP_4) | instskip(SKIP_3) | instid1(VALU_DEP_1)
	v_dot4_i32_iu8 v21, v29, v32, v21 neg_lo:[1,1,0]
	v_lshl_or_b32 v24, v60, 16, v64
	s_wait_loadcnt 0x2
	v_dot4_i32_iu8 v22, v36, v43, v22 neg_lo:[1,1,0]
	v_dot4_i32_iu8 v22, v29, v44, v22 neg_lo:[1,1,0]
	s_wait_loadcnt 0x1
	v_dot4_i32_iu8 v23, v36, v47, v28 neg_lo:[1,1,0]
	v_lshl_or_b32 v28, v59, 16, v78
	s_delay_alu instid0(VALU_DEP_2) | instskip(NEXT) | instid1(VALU_DEP_2)
	v_dot4_i32_iu8 v23, v29, v48, v23 neg_lo:[1,1,0]
	v_dot4_i32_iu8 v20, v28, v25, v20 neg_lo:[1,1,0]
	;; [unrolled: 1-line block ×4, first 2 shown]
	v_lshl_or_b32 v25, v61, 16, v66
	v_dot4_i32_iu8 v23, v28, v49, v23 neg_lo:[1,1,0]
	v_dot4_i32_iu8 v20, v24, v26, v20 neg_lo:[1,1,0]
	;; [unrolled: 1-line block ×4, first 2 shown]
	s_delay_alu instid0(VALU_DEP_4)
	v_dot4_i32_iu8 v23, v24, v50, v23 neg_lo:[1,1,0]
	v_and_or_b32 v24, v52, 30, 1
	s_wait_loadcnt 0x0
	v_dot4_i32_iu8 v20, v25, v76, v20 neg_lo:[1,1,0]
	v_dot4_i32_iu8 v21, v25, v51, v21 neg_lo:[1,1,0]
	;; [unrolled: 1-line block ×4, first 2 shown]
	v_cvt_f32_f16_e32 v25, v53
	v_mul_lo_u32 v20, v20, v24
	v_mul_lo_u32 v21, v21, v24
	;; [unrolled: 1-line block ×4, first 2 shown]
	v_mul_f32_e32 v24, v25, v39
	v_mul_f32_e32 v26, v25, v35
	;; [unrolled: 1-line block ×4, first 2 shown]
	v_cvt_f32_i32_e32 v20, v20
	v_cvt_f32_i32_e32 v21, v21
	v_cvt_f32_i32_e32 v22, v22
	v_cvt_f32_i32_e32 v23, v23
	s_delay_alu instid0(VALU_DEP_4) | instskip(NEXT) | instid1(VALU_DEP_4)
	v_fmac_f32_e32 v11, v19, v20
	v_fmac_f32_e32 v9, v27, v21
	s_delay_alu instid0(VALU_DEP_3)
	v_dual_fmac_f32 v7, v26, v22 :: v_dual_fmac_f32 v6, v24, v23
	s_wait_alu 0xfffe
	s_and_not1_b32 exec_lo, exec_lo, s3
	s_cbranch_execnz .LBB259_2
; %bb.3:
	s_or_b32 exec_lo, exec_lo, s3
.LBB259_4:
	s_delay_alu instid0(SALU_CYCLE_1)
	s_or_b32 exec_lo, exec_lo, s21
	s_mov_b32 s3, 0
	; wave barrier
	global_inv scope:SCOPE_SE
	s_mov_b32 s2, exec_lo
	v_cmpx_eq_u32_e32 0, v8
	s_cbranch_execz .LBB259_13
; %bb.5:
	v_mbcnt_lo_u32_b32 v4, -1, 0
	s_load_b64 s[0:1], s[0:1], 0x38
	s_mul_i32 s2, s10, s19
	s_mul_i32 s4, s18, s20
	s_wait_alu 0xfffe
	s_add_co_i32 s2, s2, ttmp9
	v_xor_b32_e32 v0, 16, v4
	v_xor_b32_e32 v1, 8, v4
	s_wait_alu 0xfffe
	s_add_co_i32 s2, s2, s4
	s_wait_alu 0xfffe
	s_lshl_b64 s[2:3], s[2:3], 2
	v_cmp_gt_i32_e32 vcc_lo, 32, v0
	s_wait_alu 0xfffd
	v_cndmask_b32_e32 v0, v4, v0, vcc_lo
	v_cmp_gt_i32_e32 vcc_lo, 32, v1
	s_wait_alu 0xfffd
	v_cndmask_b32_e32 v1, v4, v1, vcc_lo
	s_wait_kmcnt 0x0
	s_wait_alu 0xfffe
	s_add_nc_u64 s[0:1], s[0:1], s[2:3]
	s_delay_alu instid0(VALU_DEP_1)
	v_lshlrev_b32_e32 v1, 2, v1
	v_lshlrev_b32_e32 v0, 2, v0
	ds_bpermute_b32 v2, v0, v11
	s_wait_dscnt 0x0
	v_add_f32_e32 v3, v11, v2
	v_xor_b32_e32 v2, 4, v4
	v_xor_b32_e32 v11, 1, v4
	ds_bpermute_b32 v8, v1, v3
	v_cmp_gt_i32_e32 vcc_lo, 32, v2
	s_wait_alu 0xfffd
	v_cndmask_b32_e32 v2, v4, v2, vcc_lo
	s_wait_dscnt 0x0
	v_add_f32_e32 v8, v3, v8
	v_xor_b32_e32 v3, 2, v4
	s_delay_alu instid0(VALU_DEP_1) | instskip(SKIP_3) | instid1(VALU_DEP_2)
	v_cmp_gt_i32_e32 vcc_lo, 32, v3
	s_wait_alu 0xfffd
	v_cndmask_b32_e32 v3, v4, v3, vcc_lo
	v_cmp_gt_i32_e32 vcc_lo, 32, v11
	v_lshlrev_b32_e32 v3, 2, v3
	v_lshlrev_b32_e32 v2, 2, v2
	s_wait_alu 0xfffd
	v_cndmask_b32_e32 v4, v4, v11, vcc_lo
	v_cmp_eq_u32_e32 vcc_lo, 0, v5
	ds_bpermute_b32 v10, v2, v8
	v_lshlrev_b32_e32 v4, 2, v4
	s_wait_dscnt 0x0
	v_add_f32_e32 v8, v8, v10
	ds_bpermute_b32 v10, v3, v8
	s_wait_dscnt 0x0
	v_add_f32_e32 v8, v8, v10
	ds_bpermute_b32 v10, v4, v8
	s_and_saveexec_b32 s2, vcc_lo
	s_cbranch_execz .LBB259_7
; %bb.6:
	s_wait_dscnt 0x0
	v_dual_add_f32 v5, v8, v10 :: v_dual_mov_b32 v8, 0
	global_store_b32 v8, v5, s[0:1]
.LBB259_7:
	s_wait_alu 0xfffe
	s_or_b32 exec_lo, exec_lo, s2
	ds_bpermute_b32 v5, v0, v9
	s_wait_dscnt 0x0
	v_add_f32_e32 v5, v9, v5
	ds_bpermute_b32 v8, v1, v5
	s_wait_dscnt 0x0
	v_add_f32_e32 v5, v5, v8
	;; [unrolled: 3-line block ×4, first 2 shown]
	ds_bpermute_b32 v8, v4, v5
	s_and_saveexec_b32 s2, vcc_lo
	s_cbranch_execz .LBB259_9
; %bb.8:
	s_mov_b32 s7, 0
	s_wait_dscnt 0x0
	v_dual_add_f32 v5, v5, v8 :: v_dual_mov_b32 v8, 0
	s_lshl_b64 s[4:5], s[6:7], 2
	s_wait_alu 0xfffe
	s_add_nc_u64 s[4:5], s[0:1], s[4:5]
	global_store_b32 v8, v5, s[4:5]
.LBB259_9:
	s_wait_alu 0xfffe
	s_or_b32 exec_lo, exec_lo, s2
	ds_bpermute_b32 v5, v0, v7
	s_wait_dscnt 0x0
	v_add_f32_e32 v5, v7, v5
	ds_bpermute_b32 v7, v1, v5
	s_wait_dscnt 0x0
	v_add_f32_e32 v5, v5, v7
	;; [unrolled: 3-line block ×4, first 2 shown]
	ds_bpermute_b32 v7, v4, v5
	s_and_saveexec_b32 s2, vcc_lo
	s_cbranch_execz .LBB259_11
; %bb.10:
	s_lshl_b32 s4, s6, 1
	s_mov_b32 s5, 0
	s_wait_dscnt 0x0
	v_add_f32_e32 v5, v5, v7
	v_mov_b32_e32 v7, 0
	s_wait_alu 0xfffe
	s_lshl_b64 s[4:5], s[4:5], 2
	s_wait_alu 0xfffe
	s_add_nc_u64 s[4:5], s[0:1], s[4:5]
	global_store_b32 v7, v5, s[4:5]
.LBB259_11:
	s_wait_alu 0xfffe
	s_or_b32 exec_lo, exec_lo, s2
	ds_bpermute_b32 v0, v0, v6
	s_wait_dscnt 0x0
	v_add_f32_e32 v0, v6, v0
	ds_bpermute_b32 v1, v1, v0
	s_wait_dscnt 0x0
	v_add_f32_e32 v0, v0, v1
	;; [unrolled: 3-line block ×4, first 2 shown]
	ds_bpermute_b32 v1, v4, v0
	s_and_b32 exec_lo, exec_lo, vcc_lo
	s_cbranch_execz .LBB259_13
; %bb.12:
	s_mul_i32 s2, s6, 3
	s_mov_b32 s3, 0
	s_wait_dscnt 0x0
	v_dual_add_f32 v0, v0, v1 :: v_dual_mov_b32 v1, 0
	s_wait_alu 0xfffe
	s_lshl_b64 s[2:3], s[2:3], 2
	s_wait_alu 0xfffe
	s_add_nc_u64 s[0:1], s[0:1], s[2:3]
	global_store_b32 v1, v0, s[0:1]
.LBB259_13:
	s_endpgm
	.section	.rodata,"a",@progbits
	.p2align	6, 0x0
	.amdhsa_kernel _ZL13mul_mat_vec_qIL9ggml_type21ELi4ELb0ELb0EEvPKvS2_PKi31ggml_cuda_mm_fusion_args_devicePfj15HIP_vector_typeIjLj3EEjjjS8_jjjS8_jjjj
		.amdhsa_group_segment_fixed_size 0
		.amdhsa_private_segment_fixed_size 0
		.amdhsa_kernarg_size 144
		.amdhsa_user_sgpr_count 2
		.amdhsa_user_sgpr_dispatch_ptr 0
		.amdhsa_user_sgpr_queue_ptr 0
		.amdhsa_user_sgpr_kernarg_segment_ptr 1
		.amdhsa_user_sgpr_dispatch_id 0
		.amdhsa_user_sgpr_private_segment_size 0
		.amdhsa_wavefront_size32 1
		.amdhsa_uses_dynamic_stack 0
		.amdhsa_enable_private_segment 0
		.amdhsa_system_sgpr_workgroup_id_x 1
		.amdhsa_system_sgpr_workgroup_id_y 1
		.amdhsa_system_sgpr_workgroup_id_z 1
		.amdhsa_system_sgpr_workgroup_info 0
		.amdhsa_system_vgpr_workitem_id 1
		.amdhsa_next_free_vgpr 95
		.amdhsa_next_free_sgpr 30
		.amdhsa_reserve_vcc 1
		.amdhsa_float_round_mode_32 0
		.amdhsa_float_round_mode_16_64 0
		.amdhsa_float_denorm_mode_32 3
		.amdhsa_float_denorm_mode_16_64 3
		.amdhsa_fp16_overflow 0
		.amdhsa_workgroup_processor_mode 1
		.amdhsa_memory_ordered 1
		.amdhsa_forward_progress 1
		.amdhsa_inst_pref_size 35
		.amdhsa_round_robin_scheduling 0
		.amdhsa_exception_fp_ieee_invalid_op 0
		.amdhsa_exception_fp_denorm_src 0
		.amdhsa_exception_fp_ieee_div_zero 0
		.amdhsa_exception_fp_ieee_overflow 0
		.amdhsa_exception_fp_ieee_underflow 0
		.amdhsa_exception_fp_ieee_inexact 0
		.amdhsa_exception_int_div_zero 0
	.end_amdhsa_kernel
	.section	.text._ZL13mul_mat_vec_qIL9ggml_type21ELi4ELb0ELb0EEvPKvS2_PKi31ggml_cuda_mm_fusion_args_devicePfj15HIP_vector_typeIjLj3EEjjjS8_jjjS8_jjjj,"axG",@progbits,_ZL13mul_mat_vec_qIL9ggml_type21ELi4ELb0ELb0EEvPKvS2_PKi31ggml_cuda_mm_fusion_args_devicePfj15HIP_vector_typeIjLj3EEjjjS8_jjjS8_jjjj,comdat
.Lfunc_end259:
	.size	_ZL13mul_mat_vec_qIL9ggml_type21ELi4ELb0ELb0EEvPKvS2_PKi31ggml_cuda_mm_fusion_args_devicePfj15HIP_vector_typeIjLj3EEjjjS8_jjjS8_jjjj, .Lfunc_end259-_ZL13mul_mat_vec_qIL9ggml_type21ELi4ELb0ELb0EEvPKvS2_PKi31ggml_cuda_mm_fusion_args_devicePfj15HIP_vector_typeIjLj3EEjjjS8_jjjS8_jjjj
                                        ; -- End function
	.set _ZL13mul_mat_vec_qIL9ggml_type21ELi4ELb0ELb0EEvPKvS2_PKi31ggml_cuda_mm_fusion_args_devicePfj15HIP_vector_typeIjLj3EEjjjS8_jjjS8_jjjj.num_vgpr, 95
	.set _ZL13mul_mat_vec_qIL9ggml_type21ELi4ELb0ELb0EEvPKvS2_PKi31ggml_cuda_mm_fusion_args_devicePfj15HIP_vector_typeIjLj3EEjjjS8_jjjS8_jjjj.num_agpr, 0
	.set _ZL13mul_mat_vec_qIL9ggml_type21ELi4ELb0ELb0EEvPKvS2_PKi31ggml_cuda_mm_fusion_args_devicePfj15HIP_vector_typeIjLj3EEjjjS8_jjjS8_jjjj.numbered_sgpr, 30
	.set _ZL13mul_mat_vec_qIL9ggml_type21ELi4ELb0ELb0EEvPKvS2_PKi31ggml_cuda_mm_fusion_args_devicePfj15HIP_vector_typeIjLj3EEjjjS8_jjjS8_jjjj.num_named_barrier, 0
	.set _ZL13mul_mat_vec_qIL9ggml_type21ELi4ELb0ELb0EEvPKvS2_PKi31ggml_cuda_mm_fusion_args_devicePfj15HIP_vector_typeIjLj3EEjjjS8_jjjS8_jjjj.private_seg_size, 0
	.set _ZL13mul_mat_vec_qIL9ggml_type21ELi4ELb0ELb0EEvPKvS2_PKi31ggml_cuda_mm_fusion_args_devicePfj15HIP_vector_typeIjLj3EEjjjS8_jjjS8_jjjj.uses_vcc, 1
	.set _ZL13mul_mat_vec_qIL9ggml_type21ELi4ELb0ELb0EEvPKvS2_PKi31ggml_cuda_mm_fusion_args_devicePfj15HIP_vector_typeIjLj3EEjjjS8_jjjS8_jjjj.uses_flat_scratch, 0
	.set _ZL13mul_mat_vec_qIL9ggml_type21ELi4ELb0ELb0EEvPKvS2_PKi31ggml_cuda_mm_fusion_args_devicePfj15HIP_vector_typeIjLj3EEjjjS8_jjjS8_jjjj.has_dyn_sized_stack, 0
	.set _ZL13mul_mat_vec_qIL9ggml_type21ELi4ELb0ELb0EEvPKvS2_PKi31ggml_cuda_mm_fusion_args_devicePfj15HIP_vector_typeIjLj3EEjjjS8_jjjS8_jjjj.has_recursion, 0
	.set _ZL13mul_mat_vec_qIL9ggml_type21ELi4ELb0ELb0EEvPKvS2_PKi31ggml_cuda_mm_fusion_args_devicePfj15HIP_vector_typeIjLj3EEjjjS8_jjjS8_jjjj.has_indirect_call, 0
	.section	.AMDGPU.csdata,"",@progbits
; Kernel info:
; codeLenInByte = 4472
; TotalNumSgprs: 32
; NumVgprs: 95
; ScratchSize: 0
; MemoryBound: 0
; FloatMode: 240
; IeeeMode: 1
; LDSByteSize: 0 bytes/workgroup (compile time only)
; SGPRBlocks: 0
; VGPRBlocks: 11
; NumSGPRsForWavesPerEU: 32
; NumVGPRsForWavesPerEU: 95
; Occupancy: 16
; WaveLimiterHint : 0
; COMPUTE_PGM_RSRC2:SCRATCH_EN: 0
; COMPUTE_PGM_RSRC2:USER_SGPR: 2
; COMPUTE_PGM_RSRC2:TRAP_HANDLER: 0
; COMPUTE_PGM_RSRC2:TGID_X_EN: 1
; COMPUTE_PGM_RSRC2:TGID_Y_EN: 1
; COMPUTE_PGM_RSRC2:TGID_Z_EN: 1
; COMPUTE_PGM_RSRC2:TIDIG_COMP_CNT: 1
	.section	.text._ZL13mul_mat_vec_qIL9ggml_type21ELi5ELb0ELb0EEvPKvS2_PKi31ggml_cuda_mm_fusion_args_devicePfj15HIP_vector_typeIjLj3EEjjjS8_jjjS8_jjjj,"axG",@progbits,_ZL13mul_mat_vec_qIL9ggml_type21ELi5ELb0ELb0EEvPKvS2_PKi31ggml_cuda_mm_fusion_args_devicePfj15HIP_vector_typeIjLj3EEjjjS8_jjjS8_jjjj,comdat
	.globl	_ZL13mul_mat_vec_qIL9ggml_type21ELi5ELb0ELb0EEvPKvS2_PKi31ggml_cuda_mm_fusion_args_devicePfj15HIP_vector_typeIjLj3EEjjjS8_jjjS8_jjjj ; -- Begin function _ZL13mul_mat_vec_qIL9ggml_type21ELi5ELb0ELb0EEvPKvS2_PKi31ggml_cuda_mm_fusion_args_devicePfj15HIP_vector_typeIjLj3EEjjjS8_jjjS8_jjjj
	.p2align	8
	.type	_ZL13mul_mat_vec_qIL9ggml_type21ELi5ELb0ELb0EEvPKvS2_PKi31ggml_cuda_mm_fusion_args_devicePfj15HIP_vector_typeIjLj3EEjjjS8_jjjS8_jjjj,@function
_ZL13mul_mat_vec_qIL9ggml_type21ELi5ELb0ELb0EEvPKvS2_PKi31ggml_cuda_mm_fusion_args_devicePfj15HIP_vector_typeIjLj3EEjjjS8_jjjS8_jjjj: ; @_ZL13mul_mat_vec_qIL9ggml_type21ELi5ELb0ELb0EEvPKvS2_PKi31ggml_cuda_mm_fusion_args_devicePfj15HIP_vector_typeIjLj3EEjjjS8_jjjS8_jjjj
; %bb.0:
	s_clause 0x5
	s_load_b96 s[16:18], s[0:1], 0x80
	s_load_b32 s3, s[0:1], 0x40
	s_load_b128 s[4:7], s[0:1], 0x50
	s_load_b32 s2, s[0:1], 0x60
	s_load_b128 s[8:11], s[0:1], 0x68
	s_load_b32 s23, s[0:1], 0x78
	v_bfe_u32 v9, v0, 10, 10
	v_dual_mov_b32 v6, 0 :: v_dual_and_b32 v5, 0x3ff, v0
	v_dual_mov_b32 v7, 0 :: v_dual_mov_b32 v8, 0
	v_mov_b32_e32 v10, 0
	s_delay_alu instid0(VALU_DEP_3)
	v_lshl_or_b32 v0, v9, 5, v5
	v_mov_b32_e32 v12, 0
	s_and_b32 s19, ttmp7, 0xffff
	s_lshr_b32 s20, ttmp7, 16
	s_mov_b32 s21, exec_lo
	v_lshrrev_b32_e32 v11, 3, v0
	s_wait_kmcnt 0x0
	s_lshr_b32 s22, s3, 8
	s_delay_alu instid0(VALU_DEP_1) | instid1(SALU_CYCLE_1)
	v_cmpx_gt_u32_e64 s22, v11
	s_cbranch_execz .LBB260_4
; %bb.1:
	s_mul_hi_u32 s3, s7, s19
	v_lshl_add_u32 v0, v9, 5, v5
	s_add_co_i32 s3, s19, s3
	s_mul_i32 s24, s9, s19
	s_lshr_b32 s7, s3, s2
	s_mov_b32 s3, 0
	v_lshrrev_b32_e32 v0, 3, v0
	s_mov_b32 s25, s3
	s_load_b128 s[12:15], s[0:1], 0x0
	s_mul_u64 s[24:25], s[24:25], 36
	s_mul_i32 s2, s17, s20
	v_mad_co_u64_u32 v[0:1], null, 0x120, v0, s[24:25]
	v_dual_mov_b32 v12, 0 :: v_dual_and_b32 v13, 7, v5
	v_lshlrev_b32_e32 v4, 3, v11
	v_lshlrev_b32_e32 v8, 1, v5
	s_mul_hi_u32 s11, s11, s20
	s_mul_u64 s[26:27], s[2:3], 36
	s_delay_alu instid0(VALU_DEP_4)
	v_mad_co_u64_u32 v[2:3], null, s2, 36, v[0:1]
	s_add_co_i32 s9, s20, s11
	s_mul_i32 s7, s7, s8
	s_lshr_b32 s9, s9, s23
	s_mul_i32 s4, s4, ttmp9
	s_mul_i32 s11, s9, s16
	v_add_nc_u32_e32 v16, s5, v4
	v_mad_co_u64_u32 v[6:7], null, v13, 36, v[2:3]
	v_mad_co_u64_u32 v[2:3], null, s5, 3, v[4:5]
	s_wait_kmcnt 0x0
	s_add_nc_u64 s[8:9], s[14:15], s[26:27]
	v_lshl_add_u32 v17, s5, 2, v4
	s_add_nc_u64 s[8:9], s[8:9], s[24:25]
	v_lshl_add_u32 v18, s5, 1, v4
	s_delay_alu instid0(VALU_DEP_4) | instskip(NEXT) | instid1(VALU_DEP_1)
	v_add_co_u32 v3, vcc_lo, s14, v6
	v_add_co_ci_u32_e64 v6, null, s15, v7, vcc_lo
	v_dual_mov_b32 v7, 0 :: v_dual_and_b32 v10, 14, v8
	v_mad_co_u64_u32 v[0:1], null, v13, 36, s[8:9]
	s_delay_alu instid0(VALU_DEP_4) | instskip(NEXT) | instid1(VALU_DEP_3)
	v_add_co_u32 v3, vcc_lo, v3, 16
	v_lshlrev_b32_e32 v19, 1, v10
	v_bfe_u32 v14, v8, 2, 2
	s_wait_alu 0xfffd
	v_add_co_ci_u32_e64 v4, null, 0, v6, vcc_lo
	v_lshlrev_b32_e32 v20, 1, v10
	v_dual_mov_b32 v10, 0 :: v_dual_and_b32 v15, 4, v19
	v_dual_mov_b32 v8, 0 :: v_dual_lshlrev_b32 v19, 1, v19
	v_mov_b32_e32 v6, 0
	s_add_co_i32 s7, s7, s4
	s_delay_alu instid0(SALU_CYCLE_1)
	s_add_co_i32 s7, s11, s7
.LBB260_2:                              ; =>This Inner Loop Header: Depth=1
	s_delay_alu instid0(SALU_CYCLE_1)
	v_add_nc_u32_e32 v29, s7, v11
	v_mad_co_u64_u32 v[33:34], null, v16, 36, v[0:1]
	s_clause 0x1
	global_load_b128 v[21:24], v[3:4], off offset:-16
	global_load_b128 v[25:28], v[3:4], off
	s_getpc_b64 s[4:5]
	s_wait_alu 0xfffe
	s_sext_i32_i16 s5, s5
	s_add_co_u32 s4, s4, _ZL9iq3s_grid@rel32@lo+12
	s_wait_alu 0xfffe
	s_add_co_ci_u32 s5, s5, _ZL9iq3s_grid@rel32@hi+24
	v_mad_co_i64_i32 v[35:36], null, 0x6e, v29, s[12:13]
	v_mad_co_u64_u32 v[49:50], null, v18, 36, v[0:1]
	s_clause 0x1
	global_load_b128 v[29:32], v[33:34], off
	global_load_b32 v61, v[33:34], off offset:32
	v_mad_co_u64_u32 v[53:54], null, v2, 36, v[0:1]
	v_mad_co_u64_u32 v[57:58], null, v17, 36, v[0:1]
	v_add_co_u32 v37, vcc_lo, v35, v19
	s_wait_alu 0xfffd
	v_add_co_ci_u32_e64 v38, null, 0, v36, vcc_lo
	v_add_co_u32 v39, vcc_lo, v35, v13
	s_wait_alu 0xfffd
	v_add_co_ci_u32_e64 v40, null, 0, v36, vcc_lo
	;; [unrolled: 3-line block ×4, first 2 shown]
	s_clause 0x4
	global_load_b32 v41, v[41:42], off offset:74
	global_load_b64 v[37:38], v[37:38], off offset:2
	global_load_u8 v39, v[39:40], off offset:66
	global_load_u8 v62, v[43:44], off offset:106
	global_load_u16 v63, v[35:36], off
	v_add_nc_u32_e32 v11, 4, v11
	v_add_nc_u32_e32 v16, 32, v16
	;; [unrolled: 1-line block ×5, first 2 shown]
	s_wait_loadcnt 0x8
	v_cvt_f32_f16_e32 v21, v21
	s_wait_loadcnt 0x6
	v_cvt_f32_f16_e32 v29, v29
	s_wait_loadcnt 0x4
	v_lshrrev_b32_e32 v81, 31, v41
	s_wait_loadcnt 0x3
	v_and_b32_e32 v36, 0xff, v37
	v_bfe_u32 v42, v37, 8, 8
	v_lshrrev_b32_e32 v46, 2, v41
	s_wait_loadcnt 0x0
	v_cvt_f32_f16_e32 v63, v63
	v_lshlrev_b32_e32 v40, 8, v39
	v_bfe_u32 v51, v37, 16, 8
	v_lshlrev_b32_e32 v52, 6, v39
	v_lshrrev_b32_e32 v37, 24, v37
	v_mul_f32_e32 v21, v63, v21
	v_lshlrev_b32_e32 v43, 7, v39
	v_lshlrev_b32_e32 v55, 5, v39
	v_and_b32_e32 v44, 0xff, v41
	v_lshrrev_b32_e32 v48, 6, v41
	v_lshrrev_b32_e32 v59, 11, v41
	;; [unrolled: 1-line block ×3, first 2 shown]
	v_and_b32_e32 v67, 0xff, v38
	v_lshlrev_b32_e32 v68, 4, v39
	v_bfe_u32 v69, v38, 8, 8
	v_dual_mul_f32 v29, v63, v29 :: v_dual_lshlrev_b32 v70, 3, v39
	v_lshlrev_b32_e32 v45, 21, v41
	v_bfe_u32 v75, v38, 16, 8
	v_lshlrev_b32_e32 v76, 2, v39
	v_lshrrev_b32_e32 v35, 16, v41
	v_lshlrev_b32_e32 v47, 17, v41
	v_lshrrev_b32_e32 v56, 1, v41
	v_lshrrev_b32_e32 v64, 5, v41
	;; [unrolled: 1-line block ×9, first 2 shown]
	v_lshlrev_b32_e32 v39, 1, v39
	v_lshrrev_b32_e32 v77, 17, v41
	v_lshrrev_b32_e32 v78, 3, v41
	;; [unrolled: 1-line block ×5, first 2 shown]
	v_and_or_b32 v36, 0x100, v40, v36
	v_cmp_ne_u16_e32 vcc_lo, 0, v81
	v_and_or_b32 v40, 0x100, v43, v42
	v_bfe_i32 v43, v46, 0, 1
	v_and_or_b32 v46, 0x100, v52, v51
	v_and_or_b32 v37, 0x100, v55, v37
	v_lshl_or_b32 v42, v44, 7, v45
	v_bfe_i32 v45, v48, 0, 1
	v_bfe_i32 v48, v59, 0, 1
	;; [unrolled: 1-line block ×3, first 2 shown]
	v_and_or_b32 v59, 0x100, v68, v67
	v_and_or_b32 v60, 0x100, v70, v69
	;; [unrolled: 1-line block ×3, first 2 shown]
	v_bfe_i32 v55, v65, 0, 1
	v_bfe_i32 v65, v72, 0, 1
	v_and_or_b32 v38, 0x100, v39, v38
	v_bfe_i32 v72, v41, 0, 1
	s_wait_alu 0xfffd
	v_cndmask_b32_e64 v41, 0, -1, vcc_lo
	v_lshlrev_b32_e32 v36, 2, v36
	v_lshlrev_b32_e32 v40, 2, v40
	;; [unrolled: 1-line block ×8, first 2 shown]
	v_lshlrev_b16 v88, 8, v41
	s_clause 0x7
	global_load_b32 v36, v36, s[4:5]
	global_load_b32 v40, v40, s[4:5]
	;; [unrolled: 1-line block ×8, first 2 shown]
	v_bfe_u32 v68, v78, 24, 1
	v_lshl_or_b32 v44, v44, 3, v47
	v_and_b32_e32 v52, 0x180, v64
	v_lshl_or_b32 v64, v35, 21, v71
	v_lshl_or_b32 v35, v35, 17, v73
	v_and_b32_e32 v73, 0x1800180, v42
	v_bfe_u32 v42, v42, 24, 1
	v_cmp_ne_u16_e32 vcc_lo, 0, v68
	v_and_b32_e32 v47, 0x180, v56
	v_and_b32_e32 v75, 0x1800180, v44
	v_bfe_u32 v44, v44, 24, 1
	v_and_b32_e32 v39, 0x180, v77
	s_wait_alu 0xfffd
	v_cndmask_b32_e64 v68, 0, -1, vcc_lo
	v_cmp_ne_u16_e32 vcc_lo, 0, v42
	v_lshrrev_b16 v77, 8, v47
	v_bfe_i32 v69, v79, 0, 1
	v_lshrrev_b16 v79, 8, v52
	v_and_b32_e32 v81, 0x1800180, v64
	s_wait_alu 0xfffd
	v_cndmask_b32_e64 v42, 0, -1, vcc_lo
	v_cmp_ne_u16_e32 vcc_lo, 0, v44
	v_bfe_u32 v64, v64, 24, 1
	v_lshrrev_b16 v47, 7, v47
	v_and_b32_e32 v83, 0x1800180, v35
	v_bfe_u32 v35, v35, 24, 1
	s_wait_alu 0xfffd
	v_cndmask_b32_e64 v44, 0, -1, vcc_lo
	v_cmp_ne_u16_e32 vcc_lo, 0, v77
	v_lshrrev_b16 v85, 8, v39
	v_bfe_i32 v47, v47, 0, 1
	v_lshlrev_b16 v48, 8, v48
	v_and_b32_e32 v78, 0xff, v51
	s_wait_alu 0xfffd
	v_cndmask_b32_e64 v77, 0, -1, vcc_lo
	v_cmp_ne_u16_e32 vcc_lo, 0, v79
	v_lshrrev_b16 v39, 7, v39
	v_lshrrev_b16 v38, 8, v73
	v_lshlrev_b16 v93, 8, v44
	v_and_b32_e32 v44, 0xff, v47
	s_wait_alu 0xfffd
	v_cndmask_b32_e64 v79, 0, -1, vcc_lo
	v_cmp_ne_u16_e32 vcc_lo, 0, v64
	v_lshlrev_b16 v77, 8, v77
	v_lshrrev_b16 v52, 7, v52
	v_lshrrev_b16 v89, 8, v75
	v_or_b32_e32 v78, v78, v48
	s_wait_alu 0xfffd
	v_cndmask_b32_e64 v64, 0, -1, vcc_lo
	v_cmp_ne_u16_e32 vcc_lo, 0, v35
	v_bfe_i32 v92, v39, 0, 1
	v_or_b32_e32 v44, v44, v77
	v_bfe_i32 v52, v52, 0, 1
	v_lshrrev_b16 v90, 8, v81
	s_wait_alu 0xfffd
	v_cndmask_b32_e64 v35, 0, -1, vcc_lo
	v_cmp_ne_u16_e32 vcc_lo, 0, v85
	v_lshrrev_b16 v91, 8, v83
	v_lshlrev_b32_e32 v78, 16, v78
	v_and_b32_e32 v44, 0xffff, v44
	v_and_b32_e32 v86, 0xff, v69
	s_wait_alu 0xfffd
	v_cndmask_b32_e64 v39, 0, -1, vcc_lo
	v_cmp_ne_u16_e32 vcc_lo, 0, v38
	v_lshlrev_b16 v68, 8, v68
	v_cmp_ne_u16_e64 s2, 0, v91
	v_lshlrev_b16 v79, 8, v79
	v_or_b32_e32 v44, v44, v78
	s_wait_alu 0xfffd
	v_cndmask_b32_e64 v38, 0, -1, vcc_lo
	v_cmp_ne_u16_e32 vcc_lo, 0, v89
	v_and_b32_e32 v78, 0xff, v92
	v_lshlrev_b16 v91, 8, v39
	v_lshrrev_b16 v73, 7, v73
	v_bfe_i32 v56, v66, 0, 1
	s_wait_alu 0xfffd
	v_cndmask_b32_e64 v89, 0, -1, vcc_lo
	v_cmp_ne_u16_e32 vcc_lo, 0, v90
	v_and_b32_e32 v90, 0xff, v52
	v_or_b32_e32 v78, v78, v91
	v_bfe_i32 v73, v73, 0, 1
	v_bfe_i32 v66, v74, 0, 1
	v_lshrrev_b16 v70, 8, v80
	v_or_b32_e32 v39, v90, v79
	v_lshlrev_b16 v90, 8, v35
	v_or_b32_e32 v35, v86, v68
	v_and_b32_e32 v78, 0xffff, v78
	v_lshrrev_b16 v71, 7, v80
	v_and_b32_e32 v74, 0xff, v43
	v_lshlrev_b16 v42, 8, v42
	v_lshlrev_b32_e32 v35, 16, v35
	v_lshlrev_b16 v86, 8, v38
	v_bfe_i32 v70, v70, 0, 1
	v_bfe_i32 v71, v71, 0, 1
	v_lshrrev_b16 v75, 7, v75
	v_or_b32_e32 v78, v78, v35
	v_and_b32_e32 v35, 0xff, v73
	v_or_b32_e32 v38, v74, v42
	v_and_b32_e32 v87, 0xff, v72
	v_lshlrev_b16 v70, 8, v70
	v_and_b32_e32 v85, 0xff, v71
	v_or_b32_e32 v35, v35, v86
	v_bfe_i32 v75, v75, 0, 1
	v_lshlrev_b32_e32 v38, 16, v38
	v_and_b32_e32 v76, 0xff, v45
	v_or_b32_e32 v87, v87, v88
	v_and_b32_e32 v35, 0xffff, v35
	v_or_b32_e32 v85, v85, v70
	v_lshlrev_b16 v74, 8, v89
	v_lshrrev_b16 v81, 7, v81
	v_lshlrev_b32_e32 v87, 16, v87
	v_or_b32_e32 v35, v35, v38
	v_and_b32_e32 v38, 0xff, v75
	v_and_b32_e32 v85, 0xffff, v85
	v_or_b32_e32 v76, v76, v93
	v_lshlrev_b16 v55, 8, v55
	v_and_b32_e32 v80, 0xff, v56
	v_or_b32_e32 v38, v38, v74
	v_bfe_i32 v81, v81, 0, 1
	v_or_b32_e32 v85, v85, v87
	s_wait_alu 0xfffd
	v_cndmask_b32_e64 v87, 0, -1, vcc_lo
	v_lshlrev_b32_e32 v76, 16, v76
	v_and_b32_e32 v38, 0xffff, v38
	v_and_b32_e32 v82, 0xff, v65
	v_or_b32_e32 v80, v80, v55
	v_lshlrev_b16 v64, 8, v64
	v_lshlrev_b16 v87, 8, v87
	v_or_b32_e32 v38, v38, v76
	v_and_b32_e32 v76, 0xff, v81
	v_lshrrev_b16 v83, 7, v83
	v_lshlrev_b32_e32 v80, 16, v80
	v_and_b32_e32 v39, 0xffff, v39
	v_or_b32_e32 v82, v82, v64
	v_or_b32_e32 v76, v76, v87
	v_bfe_i32 v83, v83, 0, 1
	v_and_b32_e32 v84, 0xff, v66
	v_or_b32_e32 v39, v39, v80
	s_wait_alu 0xf1ff
	v_cndmask_b32_e64 v80, 0, -1, s2
	v_lshlrev_b32_e32 v82, 16, v82
	v_and_b32_e32 v76, 0xffff, v76
	v_or_b32_e32 v84, v84, v90
	v_lshlrev_b16 v45, 8, v45
	v_lshlrev_b16 v80, 8, v80
	;; [unrolled: 1-line block ×3, first 2 shown]
	v_or_b32_e32 v76, v76, v82
	v_and_b32_e32 v82, 0xff, v83
	v_lshlrev_b32_e32 v84, 16, v84
	v_lshlrev_b16 v66, 8, v66
	v_lshlrev_b16 v72, 8, v72
	v_lshrrev_b32_e32 v62, v15, v62
	v_or_b32_e32 v82, v82, v80
	s_delay_alu instid0(VALU_DEP_2) | instskip(NEXT) | instid1(VALU_DEP_2)
	v_lshlrev_b32_e32 v62, 1, v62
	v_and_b32_e32 v82, 0xffff, v82
	s_delay_alu instid0(VALU_DEP_2) | instskip(NEXT) | instid1(VALU_DEP_2)
	v_and_or_b32 v62, v62, 30, 1
	v_or_b32_e32 v82, v82, v84
	s_wait_loadcnt 0x7
	v_xor_b32_e32 v84, v36, v35
	s_wait_loadcnt 0x6
	v_xor_b32_e32 v89, v40, v38
	;; [unrolled: 2-line block ×3, first 2 shown]
	v_lshlrev_b16 v41, 8, v43
	s_wait_loadcnt 0x3
	v_xor_b32_e32 v76, v46, v76
	v_lshlrev_b16 v46, 8, v52
	v_lshlrev_b16 v52, 8, v73
	;; [unrolled: 1-line block ×6, first 2 shown]
	v_xor_b32_e32 v95, v37, v39
	v_lshlrev_b16 v44, 8, v47
	v_sub_nc_i16 v52, v81, v52 clamp
	v_lshlrev_b16 v81, 8, v89
	v_lshlrev_b16 v75, 8, v83
	v_and_b32_e32 v83, 0xffffff00, v89
	s_wait_loadcnt 0x2
	v_xor_b32_e32 v59, v59, v82
	s_wait_loadcnt 0x1
	v_xor_b32_e32 v60, v60, v78
	v_sub_nc_i16 v71, v81, v71 clamp
	v_lshlrev_b16 v81, 8, v94
	v_sub_nc_i16 v74, v83, v74 clamp
	v_and_b32_e32 v83, 0xffffff00, v94
	v_lshlrev_b16 v47, 8, v92
	s_wait_loadcnt 0x0
	v_xor_b32_e32 v67, v67, v85
	v_sub_nc_i16 v81, v81, v44 clamp
	v_lshlrev_b16 v44, 8, v95
	v_sub_nc_i16 v77, v83, v77 clamp
	v_and_b32_e32 v83, 0xffffff00, v95
	v_and_b32_e32 v78, 0xffffff00, v84
	;; [unrolled: 1-line block ×3, first 2 shown]
	v_sub_nc_i16 v46, v44, v46 clamp
	v_lshlrev_b16 v44, 8, v76
	v_sub_nc_i16 v79, v83, v79 clamp
	v_and_b32_e32 v83, 0xffffff00, v76
	v_lshrrev_b32_e32 v84, 16, v84
	v_sub_nc_i16 v80, v85, v80 clamp
	v_sub_nc_i16 v73, v44, v73 clamp
	v_lshlrev_b16 v44, 8, v59
	v_sub_nc_i16 v83, v83, v87 clamp
	v_and_b32_e32 v85, 0xffffff00, v60
	v_sub_nc_i16 v78, v78, v86 clamp
	v_perm_b32 v71, v71, v74, 0xc0c0105
	v_sub_nc_i16 v75, v44, v75 clamp
	v_lshlrev_b16 v44, 8, v60
	v_sub_nc_i16 v85, v85, v91 clamp
	v_perm_b32 v78, v52, v78, 0xc0c0105
	v_lshrrev_b32_e32 v92, 16, v95
	v_and_b32_e32 v86, 0xffffff00, v67
	v_sub_nc_i16 v87, v44, v47 clamp
	v_and_b32_e32 v47, 0xffffff00, v84
	v_lshlrev_b16 v44, 8, v67
	v_lshlrev_b16 v84, 8, v84
	s_clause 0x1
	global_load_b128 v[33:36], v[33:34], off offset:16
	global_load_b128 v[37:40], v[49:50], off
	v_sub_nc_i16 v91, v47, v42 clamp
	v_lshrrev_b32_e32 v47, 16, v89
	v_sub_nc_i16 v70, v86, v70 clamp
	v_sub_nc_i16 v86, v44, v43 clamp
	;; [unrolled: 1-line block ×3, first 2 shown]
	global_load_b128 v[41:44], v[53:54], off
	v_and_b32_e32 v52, 0xffffff00, v47
	v_lshlrev_b16 v47, 8, v47
	v_perm_b32 v77, v81, v77, 0xc0c0105
	v_perm_b32 v79, v46, v79, 0xc0c0105
	v_lshrrev_b32_e32 v59, 16, v59
	v_sub_nc_i16 v74, v52, v93 clamp
	v_lshrrev_b32_e32 v52, 16, v94
	v_sub_nc_i16 v93, v47, v45 clamp
	v_lshrrev_b32_e32 v60, 16, v60
	s_clause 0x1
	global_load_b32 v82, v[49:50], off offset:32
	global_load_b32 v89, v[53:54], off offset:32
	v_and_b32_e32 v45, 0xffffff00, v52
	v_lshlrev_b16 v47, 8, v52
	v_and_b32_e32 v52, 0xffffff00, v92
	v_perm_b32 v73, v73, v83, 0xc0c0105
	v_perm_b32 v75, v75, v80, 0xc0c0105
	v_sub_nc_i16 v81, v45, v48 clamp
	v_sub_nc_i16 v94, v47, v51 clamp
	;; [unrolled: 1-line block ×3, first 2 shown]
	v_lshlrev_b16 v51, 8, v56
	v_lshrrev_b32_e32 v55, 16, v76
	v_lshlrev_b16 v52, 8, v92
	global_load_b128 v[45:48], v[57:58], off
	v_lshlrev_b16 v56, 8, v65
	global_load_b32 v83, v[57:58], off offset:32
	v_lshrrev_b32_e32 v67, 16, v67
	v_sub_nc_i16 v76, v52, v51 clamp
	v_and_b32_e32 v51, 0xffffff00, v55
	v_lshlrev_b16 v55, 8, v55
	v_perm_b32 v70, v86, v70, 0xc0c0105
	v_and_b32_e32 v86, 0xffffff00, v67
	v_lshlrev_b16 v67, 8, v67
	v_sub_nc_i16 v64, v51, v64 clamp
	v_sub_nc_i16 v65, v55, v56 clamp
	v_and_b32_e32 v55, 0xffffff00, v59
	v_lshlrev_b16 v59, 8, v59
	global_load_b128 v[49:52], v[49:50], off offset:16
	v_sub_nc_i16 v67, v67, v72 clamp
	v_perm_b32 v72, v84, v91, 0xc0c0105
	v_sub_nc_i16 v80, v55, v90 clamp
	v_sub_nc_i16 v66, v59, v66 clamp
	v_lshlrev_b16 v59, 8, v69
	v_perm_b32 v69, v87, v85, 0xc0c0105
	v_and_b32_e32 v85, 0xffffff00, v60
	v_lshlrev_b16 v60, 8, v60
	global_load_b128 v[53:56], v[53:54], off offset:16
	global_load_b32 v87, v[3:4], off offset:16
	v_perm_b32 v74, v93, v74, 0xc0c0105
	v_sub_nc_i16 v68, v85, v68 clamp
	v_sub_nc_i16 v85, v60, v59 clamp
	global_load_b128 v[57:60], v[57:58], off offset:16
	v_perm_b32 v64, v65, v64, 0xc0c0105
	v_perm_b32 v65, v66, v80, 0xc0c0105
	;; [unrolled: 1-line block ×4, first 2 shown]
	v_lshl_or_b32 v68, v72, 16, v78
	v_lshl_or_b32 v71, v74, 16, v71
	v_perm_b32 v76, v76, v95, 0xc0c0105
	v_lshl_or_b32 v72, v81, 16, v77
	v_lshl_or_b32 v64, v64, 16, v73
	v_dot4_i32_iu8 v22, v68, v22, 0 neg_lo:[1,1,0]
	v_dot4_i32_iu8 v30, v68, v30, 0 neg_lo:[1,1,0]
	v_lshl_or_b32 v74, v76, 16, v79
	v_sub_nc_i16 v86, v86, v88 clamp
	v_lshl_or_b32 v65, v65, 16, v75
	v_dot4_i32_iu8 v22, v71, v23, v22 neg_lo:[1,1,0]
	v_dot4_i32_iu8 v23, v71, v31, v30 neg_lo:[1,1,0]
	v_lshl_or_b32 v66, v66, 16, v69
	v_perm_b32 v67, v67, v86, 0xc0c0105
	v_add_co_u32 v3, vcc_lo, 0x480, v3
	v_dot4_i32_iu8 v22, v72, v24, v22 neg_lo:[1,1,0]
	v_dot4_i32_iu8 v23, v72, v32, v23 neg_lo:[1,1,0]
	s_delay_alu instid0(VALU_DEP_4) | instskip(SKIP_4) | instid1(VALU_DEP_2)
	v_lshl_or_b32 v67, v67, 16, v70
	s_wait_alu 0xfffd
	v_add_co_ci_u32_e64 v4, null, 0, v4, vcc_lo
	v_dot4_i32_iu8 v22, v74, v25, v22 neg_lo:[1,1,0]
	v_cmp_le_u32_e32 vcc_lo, s22, v11
	v_dot4_i32_iu8 v22, v64, v26, v22 neg_lo:[1,1,0]
	s_or_b32 s3, vcc_lo, s3
	s_delay_alu instid0(VALU_DEP_1) | instskip(NEXT) | instid1(VALU_DEP_1)
	v_dot4_i32_iu8 v22, v65, v27, v22 neg_lo:[1,1,0]
	v_dot4_i32_iu8 v22, v66, v28, v22 neg_lo:[1,1,0]
	s_wait_loadcnt 0xa
	v_dot4_i32_iu8 v23, v74, v33, v23 neg_lo:[1,1,0]
	s_wait_loadcnt 0x9
	v_dot4_i32_iu8 v38, v68, v38, 0 neg_lo:[1,1,0]
	v_cvt_f32_f16_e32 v37, v37
	s_delay_alu instid0(VALU_DEP_3) | instskip(NEXT) | instid1(VALU_DEP_3)
	v_dot4_i32_iu8 v23, v64, v34, v23 neg_lo:[1,1,0]
	v_dot4_i32_iu8 v30, v71, v39, v38 neg_lo:[1,1,0]
	s_wait_loadcnt 0x8
	v_dot4_i32_iu8 v42, v68, v42, 0 neg_lo:[1,1,0]
	v_cvt_f32_f16_e32 v41, v41
	v_mul_f32_e32 v28, v63, v37
	v_dot4_i32_iu8 v23, v65, v35, v23 neg_lo:[1,1,0]
	v_dot4_i32_iu8 v24, v72, v40, v30 neg_lo:[1,1,0]
	;; [unrolled: 1-line block ×3, first 2 shown]
	v_mul_f32_e32 v27, v63, v41
	s_delay_alu instid0(VALU_DEP_4) | instskip(NEXT) | instid1(VALU_DEP_3)
	v_dot4_i32_iu8 v23, v66, v36, v23 neg_lo:[1,1,0]
	v_dot4_i32_iu8 v30, v72, v44, v31 neg_lo:[1,1,0]
	s_delay_alu instid0(VALU_DEP_2) | instskip(NEXT) | instid1(VALU_DEP_1)
	v_dot4_i32_iu8 v23, v67, v61, v23 neg_lo:[1,1,0]
	v_mul_lo_u32 v23, v23, v62
	s_wait_loadcnt 0x5
	v_dot4_i32_iu8 v46, v68, v46, 0 neg_lo:[1,1,0]
	v_cvt_f32_f16_e32 v45, v45
	s_delay_alu instid0(VALU_DEP_3) | instskip(NEXT) | instid1(VALU_DEP_3)
	v_cvt_f32_i32_e32 v23, v23
	v_dot4_i32_iu8 v38, v71, v47, v46 neg_lo:[1,1,0]
	s_delay_alu instid0(VALU_DEP_2) | instskip(NEXT) | instid1(VALU_DEP_2)
	v_dual_mul_f32 v45, v63, v45 :: v_dual_fmac_f32 v10, v29, v23
	v_dot4_i32_iu8 v31, v72, v48, v38 neg_lo:[1,1,0]
	s_wait_loadcnt 0x3
	v_dot4_i32_iu8 v24, v74, v49, v24 neg_lo:[1,1,0]
	s_delay_alu instid0(VALU_DEP_1) | instskip(SKIP_2) | instid1(VALU_DEP_2)
	v_dot4_i32_iu8 v24, v64, v50, v24 neg_lo:[1,1,0]
	s_wait_loadcnt 0x2
	v_dot4_i32_iu8 v25, v74, v53, v30 neg_lo:[1,1,0]
	v_dot4_i32_iu8 v24, v65, v51, v24 neg_lo:[1,1,0]
	s_wait_loadcnt 0x1
	v_dot4_i32_iu8 v22, v67, v87, v22 neg_lo:[1,1,0]
	s_wait_loadcnt 0x0
	v_dot4_i32_iu8 v30, v74, v57, v31 neg_lo:[1,1,0]
	v_dot4_i32_iu8 v25, v64, v54, v25 neg_lo:[1,1,0]
	;; [unrolled: 1-line block ×3, first 2 shown]
	v_mul_lo_u32 v22, v22, v62
	s_delay_alu instid0(VALU_DEP_4) | instskip(NEXT) | instid1(VALU_DEP_4)
	v_dot4_i32_iu8 v26, v64, v58, v30 neg_lo:[1,1,0]
	v_dot4_i32_iu8 v25, v65, v55, v25 neg_lo:[1,1,0]
	s_delay_alu instid0(VALU_DEP_4) | instskip(NEXT) | instid1(VALU_DEP_3)
	v_dot4_i32_iu8 v24, v67, v82, v24 neg_lo:[1,1,0]
	v_dot4_i32_iu8 v26, v65, v59, v26 neg_lo:[1,1,0]
	s_delay_alu instid0(VALU_DEP_3) | instskip(NEXT) | instid1(VALU_DEP_3)
	v_dot4_i32_iu8 v25, v66, v56, v25 neg_lo:[1,1,0]
	v_mul_lo_u32 v24, v24, v62
	v_cvt_f32_i32_e32 v22, v22
	s_delay_alu instid0(VALU_DEP_4) | instskip(NEXT) | instid1(VALU_DEP_4)
	v_dot4_i32_iu8 v26, v66, v60, v26 neg_lo:[1,1,0]
	v_dot4_i32_iu8 v25, v67, v89, v25 neg_lo:[1,1,0]
	s_delay_alu instid0(VALU_DEP_3) | instskip(NEXT) | instid1(VALU_DEP_3)
	v_fmac_f32_e32 v12, v21, v22
	v_dot4_i32_iu8 v26, v67, v83, v26 neg_lo:[1,1,0]
	s_delay_alu instid0(VALU_DEP_3) | instskip(SKIP_1) | instid1(VALU_DEP_3)
	v_mul_lo_u32 v25, v25, v62
	v_cvt_f32_i32_e32 v24, v24
	v_mul_lo_u32 v26, v26, v62
	s_delay_alu instid0(VALU_DEP_2) | instskip(NEXT) | instid1(VALU_DEP_4)
	v_fmac_f32_e32 v8, v28, v24
	v_cvt_f32_i32_e32 v25, v25
	s_delay_alu instid0(VALU_DEP_3) | instskip(NEXT) | instid1(VALU_DEP_1)
	v_cvt_f32_i32_e32 v26, v26
	v_dual_fmac_f32 v7, v27, v25 :: v_dual_fmac_f32 v6, v45, v26
	s_wait_alu 0xfffe
	s_and_not1_b32 exec_lo, exec_lo, s3
	s_cbranch_execnz .LBB260_2
; %bb.3:
	s_or_b32 exec_lo, exec_lo, s3
.LBB260_4:
	s_delay_alu instid0(SALU_CYCLE_1)
	s_or_b32 exec_lo, exec_lo, s21
	s_mov_b32 s3, 0
	; wave barrier
	global_inv scope:SCOPE_SE
	s_mov_b32 s2, exec_lo
	v_cmpx_eq_u32_e32 0, v9
	s_cbranch_execz .LBB260_15
; %bb.5:
	v_mbcnt_lo_u32_b32 v4, -1, 0
	s_load_b64 s[0:1], s[0:1], 0x38
	s_mul_i32 s2, s10, s19
	s_mul_i32 s4, s18, s20
	s_wait_alu 0xfffe
	s_add_co_i32 s2, s2, ttmp9
	v_xor_b32_e32 v0, 16, v4
	v_xor_b32_e32 v1, 8, v4
	s_wait_alu 0xfffe
	s_add_co_i32 s2, s2, s4
	s_wait_alu 0xfffe
	s_lshl_b64 s[2:3], s[2:3], 2
	v_cmp_gt_i32_e32 vcc_lo, 32, v0
	s_wait_alu 0xfffd
	v_cndmask_b32_e32 v0, v4, v0, vcc_lo
	v_cmp_gt_i32_e32 vcc_lo, 32, v1
	s_wait_alu 0xfffd
	v_cndmask_b32_e32 v1, v4, v1, vcc_lo
	s_wait_kmcnt 0x0
	s_wait_alu 0xfffe
	s_add_nc_u64 s[0:1], s[0:1], s[2:3]
	s_delay_alu instid0(VALU_DEP_1)
	v_lshlrev_b32_e32 v1, 2, v1
	v_lshlrev_b32_e32 v0, 2, v0
	ds_bpermute_b32 v2, v0, v12
	s_wait_dscnt 0x0
	v_add_f32_e32 v3, v12, v2
	v_xor_b32_e32 v2, 4, v4
	v_xor_b32_e32 v12, 1, v4
	ds_bpermute_b32 v9, v1, v3
	v_cmp_gt_i32_e32 vcc_lo, 32, v2
	s_wait_dscnt 0x0
	s_wait_alu 0xfffd
	v_dual_cndmask_b32 v2, v4, v2 :: v_dual_add_f32 v9, v3, v9
	s_delay_alu instid0(VALU_DEP_1)
	v_lshlrev_b32_e32 v2, 2, v2
	v_xor_b32_e32 v3, 2, v4
	ds_bpermute_b32 v11, v2, v9
	v_cmp_gt_i32_e32 vcc_lo, 32, v3
	s_wait_alu 0xfffd
	v_cndmask_b32_e32 v3, v4, v3, vcc_lo
	v_cmp_gt_i32_e32 vcc_lo, 32, v12
	s_wait_alu 0xfffd
	v_cndmask_b32_e32 v4, v4, v12, vcc_lo
	v_cmp_eq_u32_e32 vcc_lo, 0, v5
	s_delay_alu instid0(VALU_DEP_2)
	v_lshlrev_b32_e32 v4, 2, v4
	v_lshlrev_b32_e32 v3, 2, v3
	s_wait_dscnt 0x0
	v_add_f32_e32 v9, v9, v11
	ds_bpermute_b32 v11, v3, v9
	s_wait_dscnt 0x0
	v_add_f32_e32 v9, v9, v11
	ds_bpermute_b32 v11, v4, v9
	s_and_saveexec_b32 s2, vcc_lo
	s_cbranch_execz .LBB260_7
; %bb.6:
	s_wait_dscnt 0x0
	v_add_f32_e32 v5, v9, v11
	v_mov_b32_e32 v9, 0
	global_store_b32 v9, v5, s[0:1]
.LBB260_7:
	s_wait_alu 0xfffe
	s_or_b32 exec_lo, exec_lo, s2
	ds_bpermute_b32 v5, v0, v10
	s_wait_dscnt 0x0
	v_add_f32_e32 v5, v10, v5
	ds_bpermute_b32 v9, v1, v5
	s_wait_dscnt 0x0
	v_add_f32_e32 v5, v5, v9
	;; [unrolled: 3-line block ×4, first 2 shown]
	ds_bpermute_b32 v9, v4, v5
	s_and_saveexec_b32 s2, vcc_lo
	s_cbranch_execz .LBB260_9
; %bb.8:
	s_mov_b32 s7, 0
	s_wait_dscnt 0x0
	v_add_f32_e32 v5, v5, v9
	v_mov_b32_e32 v9, 0
	s_wait_alu 0xfffe
	s_lshl_b64 s[4:5], s[6:7], 2
	s_wait_alu 0xfffe
	s_add_nc_u64 s[4:5], s[0:1], s[4:5]
	global_store_b32 v9, v5, s[4:5]
.LBB260_9:
	s_wait_alu 0xfffe
	s_or_b32 exec_lo, exec_lo, s2
	ds_bpermute_b32 v5, v0, v8
	s_wait_dscnt 0x0
	v_add_f32_e32 v5, v8, v5
	ds_bpermute_b32 v8, v1, v5
	s_wait_dscnt 0x0
	v_add_f32_e32 v5, v5, v8
	;; [unrolled: 3-line block ×4, first 2 shown]
	ds_bpermute_b32 v8, v4, v5
	s_and_saveexec_b32 s2, vcc_lo
	s_cbranch_execz .LBB260_11
; %bb.10:
	s_lshl_b32 s4, s6, 1
	s_mov_b32 s5, 0
	s_wait_dscnt 0x0
	v_dual_add_f32 v5, v5, v8 :: v_dual_mov_b32 v8, 0
	s_wait_alu 0xfffe
	s_lshl_b64 s[4:5], s[4:5], 2
	s_wait_alu 0xfffe
	s_add_nc_u64 s[4:5], s[0:1], s[4:5]
	global_store_b32 v8, v5, s[4:5]
.LBB260_11:
	s_wait_alu 0xfffe
	s_or_b32 exec_lo, exec_lo, s2
	ds_bpermute_b32 v5, v0, v7
	s_wait_dscnt 0x0
	v_add_f32_e32 v5, v7, v5
	ds_bpermute_b32 v7, v1, v5
	s_wait_dscnt 0x0
	v_add_f32_e32 v5, v5, v7
	;; [unrolled: 3-line block ×4, first 2 shown]
	ds_bpermute_b32 v7, v4, v5
	s_and_saveexec_b32 s2, vcc_lo
	s_cbranch_execz .LBB260_13
; %bb.12:
	s_mul_i32 s4, s6, 3
	s_mov_b32 s5, 0
	s_wait_dscnt 0x0
	v_add_f32_e32 v5, v5, v7
	v_mov_b32_e32 v7, 0
	s_wait_alu 0xfffe
	s_lshl_b64 s[4:5], s[4:5], 2
	s_wait_alu 0xfffe
	s_add_nc_u64 s[4:5], s[0:1], s[4:5]
	global_store_b32 v7, v5, s[4:5]
.LBB260_13:
	s_wait_alu 0xfffe
	s_or_b32 exec_lo, exec_lo, s2
	ds_bpermute_b32 v0, v0, v6
	s_wait_dscnt 0x0
	v_add_f32_e32 v0, v6, v0
	ds_bpermute_b32 v1, v1, v0
	s_wait_dscnt 0x0
	v_add_f32_e32 v0, v0, v1
	;; [unrolled: 3-line block ×4, first 2 shown]
	ds_bpermute_b32 v1, v4, v0
	s_and_b32 exec_lo, exec_lo, vcc_lo
	s_cbranch_execz .LBB260_15
; %bb.14:
	s_lshl_b32 s2, s6, 2
	s_mov_b32 s3, 0
	s_wait_dscnt 0x0
	v_dual_add_f32 v0, v0, v1 :: v_dual_mov_b32 v1, 0
	s_wait_alu 0xfffe
	s_lshl_b64 s[2:3], s[2:3], 2
	s_wait_alu 0xfffe
	s_add_nc_u64 s[0:1], s[0:1], s[2:3]
	global_store_b32 v1, v0, s[0:1]
.LBB260_15:
	s_endpgm
	.section	.rodata,"a",@progbits
	.p2align	6, 0x0
	.amdhsa_kernel _ZL13mul_mat_vec_qIL9ggml_type21ELi5ELb0ELb0EEvPKvS2_PKi31ggml_cuda_mm_fusion_args_devicePfj15HIP_vector_typeIjLj3EEjjjS8_jjjS8_jjjj
		.amdhsa_group_segment_fixed_size 0
		.amdhsa_private_segment_fixed_size 0
		.amdhsa_kernarg_size 144
		.amdhsa_user_sgpr_count 2
		.amdhsa_user_sgpr_dispatch_ptr 0
		.amdhsa_user_sgpr_queue_ptr 0
		.amdhsa_user_sgpr_kernarg_segment_ptr 1
		.amdhsa_user_sgpr_dispatch_id 0
		.amdhsa_user_sgpr_private_segment_size 0
		.amdhsa_wavefront_size32 1
		.amdhsa_uses_dynamic_stack 0
		.amdhsa_enable_private_segment 0
		.amdhsa_system_sgpr_workgroup_id_x 1
		.amdhsa_system_sgpr_workgroup_id_y 1
		.amdhsa_system_sgpr_workgroup_id_z 1
		.amdhsa_system_sgpr_workgroup_info 0
		.amdhsa_system_vgpr_workitem_id 1
		.amdhsa_next_free_vgpr 96
		.amdhsa_next_free_sgpr 28
		.amdhsa_reserve_vcc 1
		.amdhsa_float_round_mode_32 0
		.amdhsa_float_round_mode_16_64 0
		.amdhsa_float_denorm_mode_32 3
		.amdhsa_float_denorm_mode_16_64 3
		.amdhsa_fp16_overflow 0
		.amdhsa_workgroup_processor_mode 1
		.amdhsa_memory_ordered 1
		.amdhsa_forward_progress 1
		.amdhsa_inst_pref_size 38
		.amdhsa_round_robin_scheduling 0
		.amdhsa_exception_fp_ieee_invalid_op 0
		.amdhsa_exception_fp_denorm_src 0
		.amdhsa_exception_fp_ieee_div_zero 0
		.amdhsa_exception_fp_ieee_overflow 0
		.amdhsa_exception_fp_ieee_underflow 0
		.amdhsa_exception_fp_ieee_inexact 0
		.amdhsa_exception_int_div_zero 0
	.end_amdhsa_kernel
	.section	.text._ZL13mul_mat_vec_qIL9ggml_type21ELi5ELb0ELb0EEvPKvS2_PKi31ggml_cuda_mm_fusion_args_devicePfj15HIP_vector_typeIjLj3EEjjjS8_jjjS8_jjjj,"axG",@progbits,_ZL13mul_mat_vec_qIL9ggml_type21ELi5ELb0ELb0EEvPKvS2_PKi31ggml_cuda_mm_fusion_args_devicePfj15HIP_vector_typeIjLj3EEjjjS8_jjjS8_jjjj,comdat
.Lfunc_end260:
	.size	_ZL13mul_mat_vec_qIL9ggml_type21ELi5ELb0ELb0EEvPKvS2_PKi31ggml_cuda_mm_fusion_args_devicePfj15HIP_vector_typeIjLj3EEjjjS8_jjjS8_jjjj, .Lfunc_end260-_ZL13mul_mat_vec_qIL9ggml_type21ELi5ELb0ELb0EEvPKvS2_PKi31ggml_cuda_mm_fusion_args_devicePfj15HIP_vector_typeIjLj3EEjjjS8_jjjS8_jjjj
                                        ; -- End function
	.set _ZL13mul_mat_vec_qIL9ggml_type21ELi5ELb0ELb0EEvPKvS2_PKi31ggml_cuda_mm_fusion_args_devicePfj15HIP_vector_typeIjLj3EEjjjS8_jjjS8_jjjj.num_vgpr, 96
	.set _ZL13mul_mat_vec_qIL9ggml_type21ELi5ELb0ELb0EEvPKvS2_PKi31ggml_cuda_mm_fusion_args_devicePfj15HIP_vector_typeIjLj3EEjjjS8_jjjS8_jjjj.num_agpr, 0
	.set _ZL13mul_mat_vec_qIL9ggml_type21ELi5ELb0ELb0EEvPKvS2_PKi31ggml_cuda_mm_fusion_args_devicePfj15HIP_vector_typeIjLj3EEjjjS8_jjjS8_jjjj.numbered_sgpr, 28
	.set _ZL13mul_mat_vec_qIL9ggml_type21ELi5ELb0ELb0EEvPKvS2_PKi31ggml_cuda_mm_fusion_args_devicePfj15HIP_vector_typeIjLj3EEjjjS8_jjjS8_jjjj.num_named_barrier, 0
	.set _ZL13mul_mat_vec_qIL9ggml_type21ELi5ELb0ELb0EEvPKvS2_PKi31ggml_cuda_mm_fusion_args_devicePfj15HIP_vector_typeIjLj3EEjjjS8_jjjS8_jjjj.private_seg_size, 0
	.set _ZL13mul_mat_vec_qIL9ggml_type21ELi5ELb0ELb0EEvPKvS2_PKi31ggml_cuda_mm_fusion_args_devicePfj15HIP_vector_typeIjLj3EEjjjS8_jjjS8_jjjj.uses_vcc, 1
	.set _ZL13mul_mat_vec_qIL9ggml_type21ELi5ELb0ELb0EEvPKvS2_PKi31ggml_cuda_mm_fusion_args_devicePfj15HIP_vector_typeIjLj3EEjjjS8_jjjS8_jjjj.uses_flat_scratch, 0
	.set _ZL13mul_mat_vec_qIL9ggml_type21ELi5ELb0ELb0EEvPKvS2_PKi31ggml_cuda_mm_fusion_args_devicePfj15HIP_vector_typeIjLj3EEjjjS8_jjjS8_jjjj.has_dyn_sized_stack, 0
	.set _ZL13mul_mat_vec_qIL9ggml_type21ELi5ELb0ELb0EEvPKvS2_PKi31ggml_cuda_mm_fusion_args_devicePfj15HIP_vector_typeIjLj3EEjjjS8_jjjS8_jjjj.has_recursion, 0
	.set _ZL13mul_mat_vec_qIL9ggml_type21ELi5ELb0ELb0EEvPKvS2_PKi31ggml_cuda_mm_fusion_args_devicePfj15HIP_vector_typeIjLj3EEjjjS8_jjjS8_jjjj.has_indirect_call, 0
	.section	.AMDGPU.csdata,"",@progbits
; Kernel info:
; codeLenInByte = 4820
; TotalNumSgprs: 30
; NumVgprs: 96
; ScratchSize: 0
; MemoryBound: 0
; FloatMode: 240
; IeeeMode: 1
; LDSByteSize: 0 bytes/workgroup (compile time only)
; SGPRBlocks: 0
; VGPRBlocks: 11
; NumSGPRsForWavesPerEU: 30
; NumVGPRsForWavesPerEU: 96
; Occupancy: 16
; WaveLimiterHint : 0
; COMPUTE_PGM_RSRC2:SCRATCH_EN: 0
; COMPUTE_PGM_RSRC2:USER_SGPR: 2
; COMPUTE_PGM_RSRC2:TRAP_HANDLER: 0
; COMPUTE_PGM_RSRC2:TGID_X_EN: 1
; COMPUTE_PGM_RSRC2:TGID_Y_EN: 1
; COMPUTE_PGM_RSRC2:TGID_Z_EN: 1
; COMPUTE_PGM_RSRC2:TIDIG_COMP_CNT: 1
	.section	.text._ZL13mul_mat_vec_qIL9ggml_type21ELi6ELb0ELb0EEvPKvS2_PKi31ggml_cuda_mm_fusion_args_devicePfj15HIP_vector_typeIjLj3EEjjjS8_jjjS8_jjjj,"axG",@progbits,_ZL13mul_mat_vec_qIL9ggml_type21ELi6ELb0ELb0EEvPKvS2_PKi31ggml_cuda_mm_fusion_args_devicePfj15HIP_vector_typeIjLj3EEjjjS8_jjjS8_jjjj,comdat
	.globl	_ZL13mul_mat_vec_qIL9ggml_type21ELi6ELb0ELb0EEvPKvS2_PKi31ggml_cuda_mm_fusion_args_devicePfj15HIP_vector_typeIjLj3EEjjjS8_jjjS8_jjjj ; -- Begin function _ZL13mul_mat_vec_qIL9ggml_type21ELi6ELb0ELb0EEvPKvS2_PKi31ggml_cuda_mm_fusion_args_devicePfj15HIP_vector_typeIjLj3EEjjjS8_jjjS8_jjjj
	.p2align	8
	.type	_ZL13mul_mat_vec_qIL9ggml_type21ELi6ELb0ELb0EEvPKvS2_PKi31ggml_cuda_mm_fusion_args_devicePfj15HIP_vector_typeIjLj3EEjjjS8_jjjS8_jjjj,@function
_ZL13mul_mat_vec_qIL9ggml_type21ELi6ELb0ELb0EEvPKvS2_PKi31ggml_cuda_mm_fusion_args_devicePfj15HIP_vector_typeIjLj3EEjjjS8_jjjS8_jjjj: ; @_ZL13mul_mat_vec_qIL9ggml_type21ELi6ELb0ELb0EEvPKvS2_PKi31ggml_cuda_mm_fusion_args_devicePfj15HIP_vector_typeIjLj3EEjjjS8_jjjS8_jjjj
; %bb.0:
	s_clause 0x5
	s_load_b96 s[16:18], s[0:1], 0x80
	s_load_b32 s3, s[0:1], 0x40
	s_load_b128 s[4:7], s[0:1], 0x50
	s_load_b32 s2, s[0:1], 0x60
	s_load_b128 s[8:11], s[0:1], 0x68
	s_load_b32 s23, s[0:1], 0x78
	v_bfe_u32 v16, v0, 10, 10
	v_dual_mov_b32 v10, 0 :: v_dual_and_b32 v11, 0x3ff, v0
	v_dual_mov_b32 v12, 0 :: v_dual_mov_b32 v13, 0
	v_dual_mov_b32 v14, 0 :: v_dual_mov_b32 v15, 0
	s_delay_alu instid0(VALU_DEP_3)
	v_lshl_or_b32 v0, v16, 5, v11
	v_mov_b32_e32 v18, 0
	s_and_b32 s19, ttmp7, 0xffff
	s_lshr_b32 s20, ttmp7, 16
	s_mov_b32 s21, exec_lo
	v_lshrrev_b32_e32 v17, 3, v0
	s_wait_kmcnt 0x0
	s_lshr_b32 s22, s3, 8
	s_delay_alu instid0(VALU_DEP_1) | instid1(SALU_CYCLE_1)
	v_cmpx_gt_u32_e64 s22, v17
	s_cbranch_execz .LBB261_4
; %bb.1:
	s_mul_hi_u32 s3, s7, s19
	v_lshl_add_u32 v0, v16, 5, v11
	s_add_co_i32 s3, s19, s3
	s_mul_hi_u32 s7, s11, s20
	s_lshr_b32 s2, s3, s2
	s_mov_b32 s3, 0
	v_lshrrev_b32_e32 v0, 3, v0
	s_mul_i32 s11, s2, s8
	s_mul_i32 s8, s9, s19
	s_mov_b32 s9, s3
	s_load_b128 s[12:15], s[0:1], 0x0
	s_mul_u64 s[8:9], s[8:9], 36
	s_mul_i32 s2, s17, s20
	v_mad_co_u64_u32 v[0:1], null, 0x120, v0, s[8:9]
	v_dual_mov_b32 v14, 0 :: v_dual_and_b32 v19, 7, v11
	v_dual_mov_b32 v18, 0 :: v_dual_lshlrev_b32 v3, 1, v11
	s_mul_u64 s[24:25], s[2:3], 36
	v_lshlrev_b32_e32 v2, 3, v17
	s_delay_alu instid0(VALU_DEP_4) | instskip(NEXT) | instid1(VALU_DEP_3)
	v_mad_co_u64_u32 v[0:1], null, s2, 36, v[0:1]
	v_dual_mov_b32 v15, 0 :: v_dual_and_b32 v10, 14, v3
	s_delay_alu instid0(VALU_DEP_3)
	v_mad_co_u64_u32 v[6:7], null, s5, 5, v[2:3]
	s_add_co_i32 s7, s20, s7
	v_dual_mov_b32 v13, 0 :: v_dual_lshlrev_b32 v12, 1, v10
	v_mad_co_u64_u32 v[0:1], null, v19, 36, v[0:1]
	s_wait_kmcnt 0x0
	s_add_nc_u64 s[24:25], s[14:15], s[24:25]
	v_mad_co_u64_u32 v[7:8], null, s5, 3, v[2:3]
	s_add_nc_u64 s[8:9], s[24:25], s[8:9]
	s_mul_i32 s4, s4, ttmp9
	s_wait_alu 0xfffe
	v_mad_co_u64_u32 v[4:5], null, v19, 36, s[8:9]
	v_add_co_u32 v0, vcc_lo, s14, v0
	s_delay_alu instid0(VALU_DEP_1)
	v_add_co_ci_u32_e64 v1, null, s15, v1, vcc_lo
	s_lshr_b32 s7, s7, s23
	v_add_co_u32 v8, vcc_lo, v0, 16
	v_bfe_u32 v20, v3, 2, 2
	v_and_b32_e32 v21, 4, v12
	v_add_nc_u32_e32 v22, s5, v2
	v_lshl_add_u32 v23, s5, 2, v2
	v_lshl_add_u32 v24, s5, 1, v2
	s_wait_alu 0xfffd
	v_add_co_ci_u32_e64 v9, null, 0, v1, vcc_lo
	v_lshlrev_b32_e32 v25, 1, v12
	v_lshlrev_b32_e32 v26, 1, v10
	v_mov_b32_e32 v12, 0
	v_mov_b32_e32 v10, 0
	s_mul_i32 s7, s7, s16
	s_add_co_i32 s11, s11, s4
	s_delay_alu instid0(SALU_CYCLE_1)
	s_add_co_i32 s7, s7, s11
.LBB261_2:                              ; =>This Inner Loop Header: Depth=1
	s_delay_alu instid0(SALU_CYCLE_1)
	v_add_nc_u32_e32 v31, s7, v17
	s_clause 0x1
	global_load_b128 v[27:30], v[8:9], off offset:-16
	global_load_b128 v[0:3], v[8:9], off
	s_getpc_b64 s[4:5]
	s_wait_alu 0xfffe
	s_sext_i32_i16 s5, s5
	s_add_co_u32 s4, s4, _ZL9iq3s_grid@rel32@lo+12
	s_wait_alu 0xfffe
	s_add_co_ci_u32 s5, s5, _ZL9iq3s_grid@rel32@hi+24
	v_mad_co_u64_u32 v[35:36], null, v22, 36, v[4:5]
	v_mad_co_i64_i32 v[31:32], null, 0x6e, v31, s[12:13]
	v_mad_co_u64_u32 v[43:44], null, v24, 36, v[4:5]
	v_mad_co_u64_u32 v[55:56], null, v7, 36, v[4:5]
	;; [unrolled: 1-line block ×3, first 2 shown]
	s_delay_alu instid0(VALU_DEP_4)
	v_add_co_u32 v33, vcc_lo, v31, v25
	s_wait_alu 0xfffd
	v_add_co_ci_u32_e64 v34, null, 0, v32, vcc_lo
	v_add_co_u32 v37, vcc_lo, v31, v19
	s_wait_alu 0xfffd
	v_add_co_ci_u32_e64 v38, null, 0, v32, vcc_lo
	;; [unrolled: 3-line block ×4, first 2 shown]
	s_clause 0x4
	global_load_b32 v39, v[39:40], off offset:74
	global_load_b64 v[33:34], v[33:34], off offset:2
	global_load_u8 v37, v[37:38], off offset:66
	global_load_u8 v67, v[41:42], off offset:106
	global_load_u16 v68, v[31:32], off
	v_mad_co_u64_u32 v[63:64], null, v6, 36, v[4:5]
	v_add_nc_u32_e32 v17, 4, v17
	v_add_nc_u32_e32 v22, 32, v22
	;; [unrolled: 1-line block ×6, first 2 shown]
	s_wait_loadcnt 0x4
	v_lshrrev_b32_e32 v80, 31, v39
	s_wait_loadcnt 0x3
	v_bfe_u32 v40, v33, 8, 8
	s_wait_loadcnt 0x2
	v_lshlrev_b32_e32 v41, 7, v37
	v_lshrrev_b32_e32 v46, 2, v39
	s_wait_loadcnt 0x0
	v_cvt_f32_f16_e32 v68, v68
	v_and_b32_e32 v32, 0xff, v33
	v_lshlrev_b32_e32 v38, 8, v37
	v_bfe_u32 v49, v33, 16, 8
	v_lshlrev_b32_e32 v50, 6, v37
	v_lshrrev_b32_e32 v33, 24, v33
	v_lshlrev_b32_e32 v51, 5, v37
	v_and_b32_e32 v42, 0xff, v39
	v_lshlrev_b32_e32 v45, 21, v39
	v_lshrrev_b32_e32 v48, 6, v39
	v_lshrrev_b32_e32 v53, 11, v39
	;; [unrolled: 1-line block ×3, first 2 shown]
	v_and_b32_e32 v62, 0xff, v34
	v_lshlrev_b32_e32 v65, 4, v37
	v_bfe_u32 v66, v34, 8, 8
	v_lshlrev_b32_e32 v69, 3, v37
	v_bfe_u32 v74, v34, 16, 8
	v_lshlrev_b32_e32 v75, 2, v37
	v_lshrrev_b32_e32 v31, 16, v39
	v_lshlrev_b32_e32 v47, 17, v39
	v_lshrrev_b32_e32 v52, 1, v39
	v_lshrrev_b32_e32 v57, 5, v39
	;; [unrolled: 1-line block ×9, first 2 shown]
	v_lshlrev_b32_e32 v37, 1, v37
	v_lshrrev_b32_e32 v76, 17, v39
	v_lshrrev_b32_e32 v77, 3, v39
	;; [unrolled: 1-line block ×5, first 2 shown]
	v_and_or_b32 v32, 0x100, v38, v32
	v_cmp_ne_u16_e32 vcc_lo, 0, v80
	v_and_or_b32 v38, 0x100, v41, v40
	v_bfe_i32 v41, v46, 0, 1
	v_and_or_b32 v46, 0x100, v50, v49
	v_and_or_b32 v33, 0x100, v51, v33
	v_lshl_or_b32 v40, v42, 7, v45
	v_bfe_i32 v45, v48, 0, 1
	v_bfe_i32 v48, v53, 0, 1
	;; [unrolled: 1-line block ×3, first 2 shown]
	v_and_or_b32 v53, 0x100, v65, v62
	v_and_or_b32 v54, 0x100, v69, v66
	;; [unrolled: 1-line block ×3, first 2 shown]
	v_bfe_i32 v51, v58, 0, 1
	v_bfe_i32 v58, v71, 0, 1
	v_and_or_b32 v34, 0x100, v37, v34
	v_bfe_i32 v71, v39, 0, 1
	s_wait_alu 0xfffd
	v_cndmask_b32_e64 v39, 0, -1, vcc_lo
	v_lshlrev_b32_e32 v32, 2, v32
	v_lshlrev_b32_e32 v38, 2, v38
	;; [unrolled: 1-line block ×8, first 2 shown]
	v_lshlrev_b16 v87, 8, v39
	s_clause 0x7
	global_load_b32 v32, v32, s[4:5]
	global_load_b32 v38, v38, s[4:5]
	;; [unrolled: 1-line block ×8, first 2 shown]
	v_bfe_u32 v65, v77, 24, 1
	v_lshl_or_b32 v42, v42, 3, v47
	v_and_b32_e32 v50, 0x180, v57
	v_lshl_or_b32 v57, v31, 21, v70
	v_lshl_or_b32 v31, v31, 17, v72
	v_and_b32_e32 v72, 0x1800180, v40
	v_bfe_u32 v40, v40, 24, 1
	v_cmp_ne_u16_e32 vcc_lo, 0, v65
	v_and_b32_e32 v47, 0x180, v52
	v_and_b32_e32 v74, 0x1800180, v42
	v_bfe_u32 v42, v42, 24, 1
	v_and_b32_e32 v37, 0x180, v76
	s_wait_alu 0xfffd
	v_cndmask_b32_e64 v65, 0, -1, vcc_lo
	v_cmp_ne_u16_e32 vcc_lo, 0, v40
	v_lshrrev_b16 v76, 8, v47
	v_bfe_i32 v66, v78, 0, 1
	v_lshrrev_b16 v78, 8, v50
	v_and_b32_e32 v80, 0x1800180, v57
	s_wait_alu 0xfffd
	v_cndmask_b32_e64 v40, 0, -1, vcc_lo
	v_cmp_ne_u16_e32 vcc_lo, 0, v42
	v_bfe_u32 v57, v57, 24, 1
	v_and_b32_e32 v82, 0x1800180, v31
	v_bfe_u32 v31, v31, 24, 1
	v_lshrrev_b16 v84, 8, v37
	s_wait_alu 0xfffd
	v_cndmask_b32_e64 v42, 0, -1, vcc_lo
	v_cmp_ne_u16_e32 vcc_lo, 0, v76
	v_lshrrev_b16 v47, 7, v47
	v_lshrrev_b16 v37, 7, v37
	;; [unrolled: 1-line block ×4, first 2 shown]
	s_wait_alu 0xfffd
	v_cndmask_b32_e64 v76, 0, -1, vcc_lo
	v_cmp_ne_u16_e32 vcc_lo, 0, v78
	v_lshrrev_b16 v72, 8, v74
	v_bfe_i32 v47, v47, 0, 1
	v_bfe_i32 v91, v37, 0, 1
	v_lshlrev_b16 v48, 8, v48
	s_wait_alu 0xfffd
	v_cndmask_b32_e64 v78, 0, -1, vcc_lo
	v_cmp_ne_u16_e32 vcc_lo, 0, v57
	v_and_b32_e32 v77, 0xff, v49
	v_lshlrev_b16 v76, 8, v76
	v_lshrrev_b16 v50, 7, v50
	v_lshrrev_b16 v89, 8, v80
	s_wait_alu 0xfffd
	v_cndmask_b32_e64 v57, 0, -1, vcc_lo
	v_cmp_ne_u16_e32 vcc_lo, 0, v31
	v_or_b32_e32 v77, v77, v48
	v_bfe_i32 v50, v50, 0, 1
	v_lshrrev_b16 v90, 8, v82
	v_and_b32_e32 v85, 0xff, v66
	s_wait_alu 0xfffd
	v_cndmask_b32_e64 v31, 0, -1, vcc_lo
	v_cmp_ne_u16_e32 vcc_lo, 0, v84
	v_lshlrev_b32_e32 v77, 16, v77
	v_lshlrev_b16 v65, 8, v65
	v_bfe_i32 v92, v34, 0, 1
	v_cmp_ne_u16_e64 s2, 0, v90
	s_wait_alu 0xfffd
	v_cndmask_b32_e64 v37, 0, -1, vcc_lo
	v_cmp_ne_u16_e32 vcc_lo, 0, v33
	v_lshlrev_b16 v78, 8, v78
	v_bfe_i32 v52, v61, 0, 1
	v_bfe_i32 v61, v73, 0, 1
	v_lshlrev_b16 v90, 8, v37
	s_wait_alu 0xfffd
	v_cndmask_b32_e64 v33, 0, -1, vcc_lo
	v_cmp_ne_u16_e32 vcc_lo, 0, v72
	v_lshlrev_b16 v72, 8, v42
	v_and_b32_e32 v42, 0xff, v47
	v_lshrrev_b16 v69, 8, v79
	v_lshrrev_b16 v70, 7, v79
	s_wait_alu 0xfffd
	v_cndmask_b32_e64 v34, 0, -1, vcc_lo
	v_cmp_ne_u16_e32 vcc_lo, 0, v89
	v_or_b32_e32 v42, v42, v76
	v_and_b32_e32 v89, 0xff, v50
	v_and_b32_e32 v73, 0xff, v41
	v_lshlrev_b16 v40, 8, v40
	v_bfe_i32 v69, v69, 0, 1
	v_and_b32_e32 v42, 0xffff, v42
	v_or_b32_e32 v37, v89, v78
	v_lshlrev_b16 v89, 8, v31
	v_or_b32_e32 v31, v85, v65
	v_lshlrev_b16 v85, 8, v33
	v_or_b32_e32 v42, v42, v77
	v_and_b32_e32 v77, 0xff, v91
	v_bfe_i32 v70, v70, 0, 1
	v_lshlrev_b32_e32 v31, 16, v31
	v_lshrrev_b16 v74, 7, v74
	v_or_b32_e32 v33, v73, v40
	v_or_b32_e32 v77, v77, v90
	v_and_b32_e32 v86, 0xff, v71
	v_lshlrev_b16 v69, 8, v69
	v_and_b32_e32 v84, 0xff, v70
	v_bfe_i32 v74, v74, 0, 1
	v_and_b32_e32 v77, 0xffff, v77
	v_lshlrev_b32_e32 v33, 16, v33
	v_and_b32_e32 v75, 0xff, v45
	v_or_b32_e32 v86, v86, v87
	v_or_b32_e32 v84, v84, v69
	;; [unrolled: 1-line block ×3, first 2 shown]
	v_and_b32_e32 v31, 0xff, v92
	v_lshlrev_b16 v73, 8, v34
	v_lshrrev_b16 v80, 7, v80
	v_lshlrev_b32_e32 v86, 16, v86
	v_and_b32_e32 v84, 0xffff, v84
	v_or_b32_e32 v31, v31, v85
	v_or_b32_e32 v34, v75, v72
	v_lshlrev_b16 v51, 8, v51
	v_and_b32_e32 v79, 0xff, v52
	v_bfe_i32 v80, v80, 0, 1
	v_and_b32_e32 v31, 0xffff, v31
	v_or_b32_e32 v84, v84, v86
	s_wait_alu 0xfffd
	v_cndmask_b32_e64 v86, 0, -1, vcc_lo
	v_lshlrev_b32_e32 v34, 16, v34
	v_and_b32_e32 v81, 0xff, v58
	v_or_b32_e32 v31, v31, v33
	v_and_b32_e32 v33, 0xff, v74
	v_or_b32_e32 v79, v79, v51
	v_lshlrev_b16 v57, 8, v57
	v_lshlrev_b16 v75, 8, v86
	v_lshrrev_b16 v82, 7, v82
	v_or_b32_e32 v33, v33, v73
	v_lshlrev_b32_e32 v79, 16, v79
	v_and_b32_e32 v37, 0xffff, v37
	v_or_b32_e32 v81, v81, v57
	v_bfe_i32 v82, v82, 0, 1
	v_and_b32_e32 v33, 0xffff, v33
	v_and_b32_e32 v83, 0xff, v61
	v_or_b32_e32 v37, v37, v79
	s_wait_alu 0xf1ff
	v_cndmask_b32_e64 v79, 0, -1, s2
	v_lshlrev_b32_e32 v81, 16, v81
	v_or_b32_e32 v33, v33, v34
	v_and_b32_e32 v34, 0xff, v80
	v_or_b32_e32 v83, v83, v89
	v_lshlrev_b16 v79, 8, v79
	v_lshlrev_b16 v45, 8, v45
	v_lshrrev_b32_e32 v67, v21, v67
	v_or_b32_e32 v34, v34, v75
	v_lshlrev_b32_e32 v83, 16, v83
	global_load_b32 v96, v[35:36], off offset:32
	v_lshlrev_b32_e32 v67, 1, v67
	v_and_b32_e32 v34, 0xffff, v34
	s_delay_alu instid0(VALU_DEP_2) | instskip(NEXT) | instid1(VALU_DEP_2)
	v_and_or_b32 v67, v67, 30, 1
	v_or_b32_e32 v81, v34, v81
	v_and_b32_e32 v34, 0xff, v82
	s_delay_alu instid0(VALU_DEP_1) | instskip(NEXT) | instid1(VALU_DEP_1)
	v_or_b32_e32 v34, v34, v79
	v_and_b32_e32 v34, 0xffff, v34
	s_delay_alu instid0(VALU_DEP_1)
	v_or_b32_e32 v83, v34, v83
	s_wait_loadcnt 0x8
	v_xor_b32_e32 v86, v32, v31
	s_wait_loadcnt 0x7
	v_xor_b32_e32 v93, v38, v33
	;; [unrolled: 2-line block ×6, first 2 shown]
	v_lshlrev_b16 v46, 8, v50
	v_lshlrev_b16 v50, 8, v92
	;; [unrolled: 1-line block ×6, first 2 shown]
	v_and_b32_e32 v83, 0xffffff00, v93
	s_wait_loadcnt 0x2
	v_xor_b32_e32 v62, v62, v77
	s_wait_loadcnt 0x1
	v_xor_b32_e32 v77, v88, v84
	v_sub_nc_i16 v50, v82, v50 clamp
	v_lshlrev_b16 v82, 8, v93
	v_sub_nc_i16 v73, v83, v73 clamp
	v_and_b32_e32 v83, 0xffffff00, v94
	v_lshlrev_b16 v39, 8, v41
	v_lshlrev_b16 v41, 8, v70
	v_sub_nc_i16 v54, v82, v54 clamp
	v_lshlrev_b16 v82, 8, v94
	v_sub_nc_i16 v76, v83, v76 clamp
	v_and_b32_e32 v83, 0xffffff00, v95
	v_lshlrev_b16 v70, 8, v80
	v_and_b32_e32 v80, 0xffffff00, v86
	v_sub_nc_i16 v82, v82, v42 clamp
	v_lshlrev_b16 v42, 8, v95
	v_sub_nc_i16 v78, v83, v78 clamp
	v_and_b32_e32 v83, 0xffffff00, v53
	v_sub_nc_i16 v80, v80, v85 clamp
	v_lshrrev_b32_e32 v85, 16, v86
	v_sub_nc_i16 v84, v42, v46 clamp
	v_and_b32_e32 v46, 0xffffff00, v81
	v_lshlrev_b16 v42, 8, v53
	v_sub_nc_i16 v75, v83, v75 clamp
	v_lshlrev_b16 v47, 8, v91
	v_perm_b32 v73, v54, v73, 0xc0c0105
	v_sub_nc_i16 v79, v46, v79 clamp
	v_and_b32_e32 v46, 0xffffff00, v62
	v_sub_nc_i16 v70, v42, v70 clamp
	v_lshlrev_b16 v42, 8, v81
	v_perm_b32 v80, v50, v80, 0xc0c0105
	v_perm_b32 v76, v82, v76, 0xc0c0105
	v_sub_nc_i16 v83, v46, v90 clamp
	v_and_b32_e32 v46, 0xffffff00, v77
	v_sub_nc_i16 v74, v42, v74 clamp
	v_lshlrev_b16 v42, 8, v62
	v_lshrrev_b32_e32 v50, 16, v95
	v_perm_b32 v78, v84, v78, 0xc0c0105
	v_sub_nc_i16 v69, v46, v69 clamp
	v_and_b32_e32 v46, 0xffffff00, v85
	v_sub_nc_i16 v86, v42, v47 clamp
	v_lshlrev_b16 v47, 8, v85
	v_perm_b32 v70, v70, v75, 0xc0c0105
	global_load_b128 v[31:34], v[35:36], off
	v_sub_nc_i16 v88, v46, v40 clamp
	v_lshrrev_b32_e32 v46, 16, v93
	v_sub_nc_i16 v90, v47, v39 clamp
	v_lshlrev_b16 v42, 8, v77
	v_perm_b32 v74, v74, v79, 0xc0c0105
	v_perm_b32 v83, v86, v83, 0xc0c0105
	v_and_b32_e32 v47, 0xffffff00, v46
	v_lshlrev_b16 v46, 8, v46
	v_sub_nc_i16 v85, v42, v41 clamp
	global_load_b128 v[39:42], v[43:44], off
	v_sub_nc_i16 v54, v47, v72 clamp
	v_lshrrev_b32_e32 v47, 16, v94
	v_sub_nc_i16 v91, v46, v45 clamp
	s_clause 0x2
	global_load_b32 v72, v[43:44], off offset:32
	global_load_b32 v94, v[55:56], off offset:32
	global_load_b128 v[35:38], v[35:36], off offset:16
	v_and_b32_e32 v45, 0xffffff00, v47
	v_lshlrev_b16 v47, 8, v47
	v_perm_b32 v69, v85, v69, 0xc0c0105
	s_delay_alu instid0(VALU_DEP_3)
	v_sub_nc_i16 v82, v45, v48 clamp
	v_lshlrev_b16 v48, 8, v49
	v_lshlrev_b16 v49, 8, v52
	v_lshrrev_b32_e32 v52, 16, v53
	global_load_b128 v[43:46], v[43:44], off offset:16
	v_sub_nc_i16 v53, v47, v48 clamp
	v_and_b32_e32 v47, 0xffffff00, v50
	v_lshlrev_b16 v48, 8, v50
	v_and_b32_e32 v50, 0xffffff00, v52
	v_lshlrev_b16 v52, 8, v52
	s_delay_alu instid0(VALU_DEP_4)
	v_sub_nc_i16 v84, v47, v51 clamp
	v_lshlrev_b16 v51, 8, v58
	v_perm_b32 v58, v53, v82, 0xc0c0105
	v_sub_nc_i16 v75, v50, v57 clamp
	v_perm_b32 v57, v91, v54, 0xc0c0105
	v_cvt_f32_f16_e32 v82, v27
	v_sub_nc_i16 v93, v52, v51 clamp
	v_perm_b32 v51, v90, v88, 0xc0c0105
	v_lshl_or_b32 v76, v58, 16, v76
	v_lshrrev_b32_e32 v58, 16, v81
	v_lshl_or_b32 v73, v57, 16, v73
	v_lshlrev_b16 v57, 8, v61
	v_lshl_or_b32 v80, v51, 16, v80
	v_sub_nc_i16 v92, v48, v49 clamp
	v_and_b32_e32 v61, 0xffffff00, v58
	s_clause 0x1
	global_load_b128 v[47:50], v[55:56], off
	global_load_b128 v[51:54], v[59:60], off
	v_dot4_i32_iu8 v27, v80, v28, 0 neg_lo:[1,1,0]
	v_lshlrev_b16 v58, 8, v58
	v_sub_nc_i16 v79, v61, v89 clamp
	v_lshrrev_b32_e32 v61, 16, v62
	global_load_b32 v89, v[59:60], off offset:32
	v_dot4_i32_iu8 v27, v73, v29, v27 neg_lo:[1,1,0]
	v_sub_nc_i16 v81, v58, v57 clamp
	global_load_b128 v[55:58], v[55:56], off offset:16
	v_and_b32_e32 v62, 0xffffff00, v61
	v_lshlrev_b16 v61, 8, v61
	v_dot4_i32_iu8 v88, v76, v30, v27 neg_lo:[1,1,0]
	global_load_b128 v[27:30], v[63:64], off
	v_perm_b32 v79, v81, v79, 0xc0c0105
	v_sub_nc_i16 v86, v62, v65 clamp
	v_lshlrev_b16 v62, 8, v66
	v_lshrrev_b32_e32 v65, 16, v77
	v_lshlrev_b16 v66, 8, v71
	global_load_b32 v81, v[8:9], off offset:16
	v_perm_b32 v84, v92, v84, 0xc0c0105
	v_sub_nc_i16 v77, v61, v62 clamp
	v_and_b32_e32 v61, 0xffffff00, v65
	v_lshlrev_b16 v65, 8, v65
	v_perm_b32 v75, v93, v75, 0xc0c0105
	v_lshl_or_b32 v78, v84, 16, v78
	v_perm_b32 v77, v77, v86, 0xc0c0105
	v_sub_nc_i16 v85, v61, v87 clamp
	v_sub_nc_i16 v71, v65, v66 clamp
	s_clause 0x2
	global_load_b32 v87, v[63:64], off offset:32
	global_load_b128 v[59:62], v[59:60], off offset:16
	global_load_b128 v[63:66], v[63:64], off offset:16
	v_lshl_or_b32 v70, v75, 16, v70
	v_dot4_i32_iu8 v0, v78, v0, v88 neg_lo:[1,1,0]
	v_lshl_or_b32 v74, v79, 16, v74
	v_perm_b32 v71, v71, v85, 0xc0c0105
	v_lshl_or_b32 v77, v77, 16, v83
	v_mul_f32_e32 v75, v68, v82
	v_dot4_i32_iu8 v0, v70, v1, v0 neg_lo:[1,1,0]
	v_add_co_u32 v8, vcc_lo, 0x480, v8
	v_lshl_or_b32 v69, v71, 16, v69
	s_wait_alu 0xfffd
	v_add_co_ci_u32_e64 v9, null, 0, v9, vcc_lo
	v_dot4_i32_iu8 v0, v74, v2, v0 neg_lo:[1,1,0]
	v_cmp_le_u32_e32 vcc_lo, s22, v17
	s_delay_alu instid0(VALU_DEP_2) | instskip(SKIP_4) | instid1(VALU_DEP_2)
	v_dot4_i32_iu8 v0, v77, v3, v0 neg_lo:[1,1,0]
	s_or_b32 s3, vcc_lo, s3
	s_wait_loadcnt 0xe
	v_dot4_i32_iu8 v32, v80, v32, 0 neg_lo:[1,1,0]
	v_cvt_f32_f16_e32 v31, v31
	v_dot4_i32_iu8 v32, v73, v33, v32 neg_lo:[1,1,0]
	s_delay_alu instid0(VALU_DEP_2) | instskip(SKIP_2) | instid1(VALU_DEP_3)
	v_mul_f32_e32 v31, v68, v31
	s_wait_loadcnt 0xd
	v_dot4_i32_iu8 v40, v80, v40, 0 neg_lo:[1,1,0]
	v_dot4_i32_iu8 v32, v76, v34, v32 neg_lo:[1,1,0]
	v_cvt_f32_f16_e32 v39, v39
	s_delay_alu instid0(VALU_DEP_3)
	v_dot4_i32_iu8 v40, v73, v41, v40 neg_lo:[1,1,0]
	s_wait_loadcnt 0x8
	v_dot4_i32_iu8 v33, v80, v48, 0 neg_lo:[1,1,0]
	s_wait_loadcnt 0x7
	v_dot4_i32_iu8 v34, v80, v52, 0 neg_lo:[1,1,0]
	v_cvt_f32_f16_e32 v47, v47
	v_cvt_f32_f16_e32 v51, v51
	v_dot4_i32_iu8 v33, v73, v49, v33 neg_lo:[1,1,0]
	s_delay_alu instid0(VALU_DEP_4) | instskip(NEXT) | instid1(VALU_DEP_4)
	v_dot4_i32_iu8 v34, v73, v53, v34 neg_lo:[1,1,0]
	v_mul_f32_e32 v47, v68, v47
	s_delay_alu instid0(VALU_DEP_4) | instskip(NEXT) | instid1(VALU_DEP_4)
	v_mul_f32_e32 v51, v68, v51
	v_dot4_i32_iu8 v33, v76, v50, v33 neg_lo:[1,1,0]
	s_delay_alu instid0(VALU_DEP_4) | instskip(SKIP_3) | instid1(VALU_DEP_2)
	v_dot4_i32_iu8 v34, v76, v54, v34 neg_lo:[1,1,0]
	s_wait_loadcnt 0x4
	v_dot4_i32_iu8 v28, v80, v28, 0 neg_lo:[1,1,0]
	v_cvt_f32_f16_e32 v27, v27
	v_dot4_i32_iu8 v28, v73, v29, v28 neg_lo:[1,1,0]
	v_dot4_i32_iu8 v29, v76, v42, v40 neg_lo:[1,1,0]
	s_wait_loadcnt 0x3
	v_dot4_i32_iu8 v0, v69, v81, v0 neg_lo:[1,1,0]
	v_mul_f32_e32 v27, v68, v27
	v_dot4_i32_iu8 v28, v76, v30, v28 neg_lo:[1,1,0]
	v_dot4_i32_iu8 v30, v78, v35, v32 neg_lo:[1,1,0]
	;; [unrolled: 1-line block ×4, first 2 shown]
	v_mul_lo_u32 v0, v0, v67
	s_delay_alu instid0(VALU_DEP_4)
	v_dot4_i32_iu8 v1, v70, v36, v30 neg_lo:[1,1,0]
	s_wait_loadcnt 0x1
	v_dot4_i32_iu8 v33, v78, v59, v34 neg_lo:[1,1,0]
	s_wait_loadcnt 0x0
	v_dot4_i32_iu8 v28, v78, v63, v28 neg_lo:[1,1,0]
	v_dot4_i32_iu8 v29, v70, v44, v29 neg_lo:[1,1,0]
	v_dot4_i32_iu8 v30, v70, v56, v32 neg_lo:[1,1,0]
	v_dot4_i32_iu8 v1, v74, v37, v1 neg_lo:[1,1,0]
	v_dot4_i32_iu8 v32, v70, v60, v33 neg_lo:[1,1,0]
	v_dot4_i32_iu8 v28, v70, v64, v28 neg_lo:[1,1,0]
	v_dot4_i32_iu8 v2, v74, v45, v29 neg_lo:[1,1,0]
	v_dot4_i32_iu8 v29, v74, v57, v30 neg_lo:[1,1,0]
	v_dot4_i32_iu8 v1, v77, v38, v1 neg_lo:[1,1,0]
	v_dot4_i32_iu8 v30, v74, v61, v32 neg_lo:[1,1,0]
	v_dot4_i32_iu8 v28, v74, v65, v28 neg_lo:[1,1,0]
	v_dot4_i32_iu8 v2, v77, v46, v2 neg_lo:[1,1,0]
	v_dot4_i32_iu8 v3, v77, v58, v29 neg_lo:[1,1,0]
	v_dot4_i32_iu8 v1, v69, v96, v1 neg_lo:[1,1,0]
	v_dot4_i32_iu8 v29, v77, v62, v30 neg_lo:[1,1,0]
	v_dot4_i32_iu8 v28, v77, v66, v28 neg_lo:[1,1,0]
	v_dot4_i32_iu8 v2, v69, v72, v2 neg_lo:[1,1,0]
	v_dot4_i32_iu8 v3, v69, v94, v3 neg_lo:[1,1,0]
	v_mul_lo_u32 v1, v1, v67
	v_dot4_i32_iu8 v29, v69, v89, v29 neg_lo:[1,1,0]
	v_dot4_i32_iu8 v28, v69, v87, v28 neg_lo:[1,1,0]
	v_mul_lo_u32 v2, v2, v67
	v_mul_lo_u32 v3, v3, v67
	v_mul_f32_e32 v30, v68, v39
	v_mul_lo_u32 v29, v29, v67
	v_mul_lo_u32 v28, v28, v67
	v_cvt_f32_i32_e32 v0, v0
	v_cvt_f32_i32_e32 v1, v1
	;; [unrolled: 1-line block ×4, first 2 shown]
	s_delay_alu instid0(VALU_DEP_4) | instskip(SKIP_4) | instid1(VALU_DEP_4)
	v_fmac_f32_e32 v18, v75, v0
	v_cvt_f32_i32_e32 v29, v29
	v_cvt_f32_i32_e32 v28, v28
	v_dual_fmac_f32 v15, v31, v1 :: v_dual_fmac_f32 v14, v30, v2
	v_fmac_f32_e32 v13, v47, v3
	v_fmac_f32_e32 v12, v51, v29
	s_delay_alu instid0(VALU_DEP_4)
	v_fmac_f32_e32 v10, v27, v28
	s_wait_alu 0xfffe
	s_and_not1_b32 exec_lo, exec_lo, s3
	s_cbranch_execnz .LBB261_2
; %bb.3:
	s_or_b32 exec_lo, exec_lo, s3
.LBB261_4:
	s_delay_alu instid0(SALU_CYCLE_1)
	s_or_b32 exec_lo, exec_lo, s21
	s_mov_b32 s3, 0
	; wave barrier
	global_inv scope:SCOPE_SE
	s_mov_b32 s2, exec_lo
	v_cmpx_eq_u32_e32 0, v16
	s_cbranch_execz .LBB261_17
; %bb.5:
	v_mbcnt_lo_u32_b32 v4, -1, 0
	s_load_b64 s[0:1], s[0:1], 0x38
	s_mul_i32 s2, s10, s19
	s_mul_i32 s4, s18, s20
	s_wait_alu 0xfffe
	s_add_co_i32 s2, s2, ttmp9
	v_xor_b32_e32 v0, 16, v4
	v_xor_b32_e32 v1, 8, v4
	;; [unrolled: 1-line block ×3, first 2 shown]
	s_wait_alu 0xfffe
	s_add_co_i32 s2, s2, s4
	s_wait_alu 0xfffe
	s_lshl_b64 s[2:3], s[2:3], 2
	v_cmp_gt_i32_e32 vcc_lo, 32, v0
	s_wait_alu 0xfffd
	v_cndmask_b32_e32 v0, v4, v0, vcc_lo
	v_cmp_gt_i32_e32 vcc_lo, 32, v1
	s_wait_kmcnt 0x0
	s_wait_alu 0xfffe
	s_add_nc_u64 s[0:1], s[0:1], s[2:3]
	s_wait_alu 0xfffd
	v_cndmask_b32_e32 v1, v4, v1, vcc_lo
	s_delay_alu instid0(VALU_DEP_1)
	v_lshlrev_b32_e32 v1, 2, v1
	v_lshlrev_b32_e32 v0, 2, v0
	ds_bpermute_b32 v2, v0, v18
	s_wait_dscnt 0x0
	v_add_f32_e32 v3, v18, v2
	v_xor_b32_e32 v2, 4, v4
	ds_bpermute_b32 v5, v1, v3
	v_cmp_gt_i32_e32 vcc_lo, 32, v2
	s_wait_dscnt 0x0
	s_wait_alu 0xfffd
	v_dual_cndmask_b32 v2, v4, v2 :: v_dual_add_f32 v5, v3, v5
	s_delay_alu instid0(VALU_DEP_1)
	v_lshlrev_b32_e32 v2, 2, v2
	v_xor_b32_e32 v3, 2, v4
	ds_bpermute_b32 v6, v2, v5
	v_cmp_gt_i32_e32 vcc_lo, 32, v3
	s_wait_alu 0xfffd
	v_cndmask_b32_e32 v3, v4, v3, vcc_lo
	v_cmp_gt_i32_e32 vcc_lo, 32, v7
	s_wait_alu 0xfffd
	v_cndmask_b32_e32 v4, v4, v7, vcc_lo
	v_cmp_eq_u32_e32 vcc_lo, 0, v11
	s_delay_alu instid0(VALU_DEP_2)
	v_lshlrev_b32_e32 v4, 2, v4
	v_lshlrev_b32_e32 v3, 2, v3
	s_wait_dscnt 0x0
	v_add_f32_e32 v5, v5, v6
	ds_bpermute_b32 v6, v3, v5
	s_wait_dscnt 0x0
	v_add_f32_e32 v5, v5, v6
	ds_bpermute_b32 v6, v4, v5
	s_and_saveexec_b32 s2, vcc_lo
	s_cbranch_execz .LBB261_7
; %bb.6:
	s_wait_dscnt 0x0
	v_dual_add_f32 v5, v5, v6 :: v_dual_mov_b32 v6, 0
	global_store_b32 v6, v5, s[0:1]
.LBB261_7:
	s_wait_alu 0xfffe
	s_or_b32 exec_lo, exec_lo, s2
	ds_bpermute_b32 v5, v0, v15
	s_wait_dscnt 0x0
	v_add_f32_e32 v5, v15, v5
	ds_bpermute_b32 v6, v1, v5
	s_wait_dscnt 0x0
	v_add_f32_e32 v5, v5, v6
	;; [unrolled: 3-line block ×4, first 2 shown]
	ds_bpermute_b32 v6, v4, v5
	s_and_saveexec_b32 s2, vcc_lo
	s_cbranch_execz .LBB261_9
; %bb.8:
	s_mov_b32 s7, 0
	s_wait_dscnt 0x0
	v_dual_add_f32 v5, v5, v6 :: v_dual_mov_b32 v6, 0
	s_wait_alu 0xfffe
	s_lshl_b64 s[4:5], s[6:7], 2
	s_wait_alu 0xfffe
	s_add_nc_u64 s[4:5], s[0:1], s[4:5]
	global_store_b32 v6, v5, s[4:5]
.LBB261_9:
	s_wait_alu 0xfffe
	s_or_b32 exec_lo, exec_lo, s2
	ds_bpermute_b32 v5, v0, v14
	s_wait_dscnt 0x0
	v_add_f32_e32 v5, v14, v5
	ds_bpermute_b32 v6, v1, v5
	s_wait_dscnt 0x0
	v_add_f32_e32 v5, v5, v6
	;; [unrolled: 3-line block ×4, first 2 shown]
	ds_bpermute_b32 v6, v4, v5
	s_and_saveexec_b32 s2, vcc_lo
	s_cbranch_execz .LBB261_11
; %bb.10:
	s_lshl_b32 s4, s6, 1
	s_mov_b32 s5, 0
	s_wait_dscnt 0x0
	v_dual_add_f32 v5, v5, v6 :: v_dual_mov_b32 v6, 0
	s_wait_alu 0xfffe
	s_lshl_b64 s[4:5], s[4:5], 2
	s_wait_alu 0xfffe
	s_add_nc_u64 s[4:5], s[0:1], s[4:5]
	global_store_b32 v6, v5, s[4:5]
.LBB261_11:
	s_wait_alu 0xfffe
	s_or_b32 exec_lo, exec_lo, s2
	ds_bpermute_b32 v5, v0, v13
	s_wait_dscnt 0x0
	v_add_f32_e32 v5, v13, v5
	ds_bpermute_b32 v6, v1, v5
	s_wait_dscnt 0x0
	v_add_f32_e32 v5, v5, v6
	;; [unrolled: 3-line block ×4, first 2 shown]
	ds_bpermute_b32 v6, v4, v5
	s_and_saveexec_b32 s2, vcc_lo
	s_cbranch_execz .LBB261_13
; %bb.12:
	s_mul_i32 s4, s6, 3
	s_mov_b32 s5, 0
	s_wait_dscnt 0x0
	v_dual_add_f32 v5, v5, v6 :: v_dual_mov_b32 v6, 0
	s_wait_alu 0xfffe
	s_lshl_b64 s[4:5], s[4:5], 2
	s_wait_alu 0xfffe
	s_add_nc_u64 s[4:5], s[0:1], s[4:5]
	global_store_b32 v6, v5, s[4:5]
.LBB261_13:
	s_wait_alu 0xfffe
	s_or_b32 exec_lo, exec_lo, s2
	ds_bpermute_b32 v5, v0, v12
	s_wait_dscnt 0x0
	v_add_f32_e32 v5, v12, v5
	ds_bpermute_b32 v6, v1, v5
	s_wait_dscnt 0x0
	v_add_f32_e32 v5, v5, v6
	;; [unrolled: 3-line block ×4, first 2 shown]
	ds_bpermute_b32 v6, v4, v5
	s_and_saveexec_b32 s2, vcc_lo
	s_cbranch_execz .LBB261_15
; %bb.14:
	s_lshl_b32 s4, s6, 2
	s_mov_b32 s5, 0
	s_wait_dscnt 0x0
	v_dual_add_f32 v5, v5, v6 :: v_dual_mov_b32 v6, 0
	s_wait_alu 0xfffe
	s_lshl_b64 s[4:5], s[4:5], 2
	s_wait_alu 0xfffe
	s_add_nc_u64 s[4:5], s[0:1], s[4:5]
	global_store_b32 v6, v5, s[4:5]
.LBB261_15:
	s_wait_alu 0xfffe
	s_or_b32 exec_lo, exec_lo, s2
	ds_bpermute_b32 v0, v0, v10
	s_wait_dscnt 0x0
	v_add_f32_e32 v0, v10, v0
	ds_bpermute_b32 v1, v1, v0
	s_wait_dscnt 0x0
	v_add_f32_e32 v0, v0, v1
	;; [unrolled: 3-line block ×4, first 2 shown]
	ds_bpermute_b32 v1, v4, v0
	s_and_b32 exec_lo, exec_lo, vcc_lo
	s_cbranch_execz .LBB261_17
; %bb.16:
	s_mul_i32 s2, s6, 5
	s_mov_b32 s3, 0
	s_wait_dscnt 0x0
	v_dual_add_f32 v0, v0, v1 :: v_dual_mov_b32 v1, 0
	s_wait_alu 0xfffe
	s_lshl_b64 s[2:3], s[2:3], 2
	s_wait_alu 0xfffe
	s_add_nc_u64 s[0:1], s[0:1], s[2:3]
	global_store_b32 v1, v0, s[0:1]
.LBB261_17:
	s_nop 0
	s_sendmsg sendmsg(MSG_DEALLOC_VGPRS)
	s_endpgm
	.section	.rodata,"a",@progbits
	.p2align	6, 0x0
	.amdhsa_kernel _ZL13mul_mat_vec_qIL9ggml_type21ELi6ELb0ELb0EEvPKvS2_PKi31ggml_cuda_mm_fusion_args_devicePfj15HIP_vector_typeIjLj3EEjjjS8_jjjS8_jjjj
		.amdhsa_group_segment_fixed_size 0
		.amdhsa_private_segment_fixed_size 0
		.amdhsa_kernarg_size 144
		.amdhsa_user_sgpr_count 2
		.amdhsa_user_sgpr_dispatch_ptr 0
		.amdhsa_user_sgpr_queue_ptr 0
		.amdhsa_user_sgpr_kernarg_segment_ptr 1
		.amdhsa_user_sgpr_dispatch_id 0
		.amdhsa_user_sgpr_private_segment_size 0
		.amdhsa_wavefront_size32 1
		.amdhsa_uses_dynamic_stack 0
		.amdhsa_enable_private_segment 0
		.amdhsa_system_sgpr_workgroup_id_x 1
		.amdhsa_system_sgpr_workgroup_id_y 1
		.amdhsa_system_sgpr_workgroup_id_z 1
		.amdhsa_system_sgpr_workgroup_info 0
		.amdhsa_system_vgpr_workitem_id 1
		.amdhsa_next_free_vgpr 97
		.amdhsa_next_free_sgpr 26
		.amdhsa_reserve_vcc 1
		.amdhsa_float_round_mode_32 0
		.amdhsa_float_round_mode_16_64 0
		.amdhsa_float_denorm_mode_32 3
		.amdhsa_float_denorm_mode_16_64 3
		.amdhsa_fp16_overflow 0
		.amdhsa_workgroup_processor_mode 1
		.amdhsa_memory_ordered 1
		.amdhsa_forward_progress 1
		.amdhsa_inst_pref_size 40
		.amdhsa_round_robin_scheduling 0
		.amdhsa_exception_fp_ieee_invalid_op 0
		.amdhsa_exception_fp_denorm_src 0
		.amdhsa_exception_fp_ieee_div_zero 0
		.amdhsa_exception_fp_ieee_overflow 0
		.amdhsa_exception_fp_ieee_underflow 0
		.amdhsa_exception_fp_ieee_inexact 0
		.amdhsa_exception_int_div_zero 0
	.end_amdhsa_kernel
	.section	.text._ZL13mul_mat_vec_qIL9ggml_type21ELi6ELb0ELb0EEvPKvS2_PKi31ggml_cuda_mm_fusion_args_devicePfj15HIP_vector_typeIjLj3EEjjjS8_jjjS8_jjjj,"axG",@progbits,_ZL13mul_mat_vec_qIL9ggml_type21ELi6ELb0ELb0EEvPKvS2_PKi31ggml_cuda_mm_fusion_args_devicePfj15HIP_vector_typeIjLj3EEjjjS8_jjjS8_jjjj,comdat
.Lfunc_end261:
	.size	_ZL13mul_mat_vec_qIL9ggml_type21ELi6ELb0ELb0EEvPKvS2_PKi31ggml_cuda_mm_fusion_args_devicePfj15HIP_vector_typeIjLj3EEjjjS8_jjjS8_jjjj, .Lfunc_end261-_ZL13mul_mat_vec_qIL9ggml_type21ELi6ELb0ELb0EEvPKvS2_PKi31ggml_cuda_mm_fusion_args_devicePfj15HIP_vector_typeIjLj3EEjjjS8_jjjS8_jjjj
                                        ; -- End function
	.set _ZL13mul_mat_vec_qIL9ggml_type21ELi6ELb0ELb0EEvPKvS2_PKi31ggml_cuda_mm_fusion_args_devicePfj15HIP_vector_typeIjLj3EEjjjS8_jjjS8_jjjj.num_vgpr, 97
	.set _ZL13mul_mat_vec_qIL9ggml_type21ELi6ELb0ELb0EEvPKvS2_PKi31ggml_cuda_mm_fusion_args_devicePfj15HIP_vector_typeIjLj3EEjjjS8_jjjS8_jjjj.num_agpr, 0
	.set _ZL13mul_mat_vec_qIL9ggml_type21ELi6ELb0ELb0EEvPKvS2_PKi31ggml_cuda_mm_fusion_args_devicePfj15HIP_vector_typeIjLj3EEjjjS8_jjjS8_jjjj.numbered_sgpr, 26
	.set _ZL13mul_mat_vec_qIL9ggml_type21ELi6ELb0ELb0EEvPKvS2_PKi31ggml_cuda_mm_fusion_args_devicePfj15HIP_vector_typeIjLj3EEjjjS8_jjjS8_jjjj.num_named_barrier, 0
	.set _ZL13mul_mat_vec_qIL9ggml_type21ELi6ELb0ELb0EEvPKvS2_PKi31ggml_cuda_mm_fusion_args_devicePfj15HIP_vector_typeIjLj3EEjjjS8_jjjS8_jjjj.private_seg_size, 0
	.set _ZL13mul_mat_vec_qIL9ggml_type21ELi6ELb0ELb0EEvPKvS2_PKi31ggml_cuda_mm_fusion_args_devicePfj15HIP_vector_typeIjLj3EEjjjS8_jjjS8_jjjj.uses_vcc, 1
	.set _ZL13mul_mat_vec_qIL9ggml_type21ELi6ELb0ELb0EEvPKvS2_PKi31ggml_cuda_mm_fusion_args_devicePfj15HIP_vector_typeIjLj3EEjjjS8_jjjS8_jjjj.uses_flat_scratch, 0
	.set _ZL13mul_mat_vec_qIL9ggml_type21ELi6ELb0ELb0EEvPKvS2_PKi31ggml_cuda_mm_fusion_args_devicePfj15HIP_vector_typeIjLj3EEjjjS8_jjjS8_jjjj.has_dyn_sized_stack, 0
	.set _ZL13mul_mat_vec_qIL9ggml_type21ELi6ELb0ELb0EEvPKvS2_PKi31ggml_cuda_mm_fusion_args_devicePfj15HIP_vector_typeIjLj3EEjjjS8_jjjS8_jjjj.has_recursion, 0
	.set _ZL13mul_mat_vec_qIL9ggml_type21ELi6ELb0ELb0EEvPKvS2_PKi31ggml_cuda_mm_fusion_args_devicePfj15HIP_vector_typeIjLj3EEjjjS8_jjjS8_jjjj.has_indirect_call, 0
	.section	.AMDGPU.csdata,"",@progbits
; Kernel info:
; codeLenInByte = 5108
; TotalNumSgprs: 28
; NumVgprs: 97
; ScratchSize: 0
; MemoryBound: 0
; FloatMode: 240
; IeeeMode: 1
; LDSByteSize: 0 bytes/workgroup (compile time only)
; SGPRBlocks: 0
; VGPRBlocks: 12
; NumSGPRsForWavesPerEU: 28
; NumVGPRsForWavesPerEU: 97
; Occupancy: 12
; WaveLimiterHint : 0
; COMPUTE_PGM_RSRC2:SCRATCH_EN: 0
; COMPUTE_PGM_RSRC2:USER_SGPR: 2
; COMPUTE_PGM_RSRC2:TRAP_HANDLER: 0
; COMPUTE_PGM_RSRC2:TGID_X_EN: 1
; COMPUTE_PGM_RSRC2:TGID_Y_EN: 1
; COMPUTE_PGM_RSRC2:TGID_Z_EN: 1
; COMPUTE_PGM_RSRC2:TIDIG_COMP_CNT: 1
	.section	.text._ZL13mul_mat_vec_qIL9ggml_type21ELi7ELb0ELb0EEvPKvS2_PKi31ggml_cuda_mm_fusion_args_devicePfj15HIP_vector_typeIjLj3EEjjjS8_jjjS8_jjjj,"axG",@progbits,_ZL13mul_mat_vec_qIL9ggml_type21ELi7ELb0ELb0EEvPKvS2_PKi31ggml_cuda_mm_fusion_args_devicePfj15HIP_vector_typeIjLj3EEjjjS8_jjjS8_jjjj,comdat
	.globl	_ZL13mul_mat_vec_qIL9ggml_type21ELi7ELb0ELb0EEvPKvS2_PKi31ggml_cuda_mm_fusion_args_devicePfj15HIP_vector_typeIjLj3EEjjjS8_jjjS8_jjjj ; -- Begin function _ZL13mul_mat_vec_qIL9ggml_type21ELi7ELb0ELb0EEvPKvS2_PKi31ggml_cuda_mm_fusion_args_devicePfj15HIP_vector_typeIjLj3EEjjjS8_jjjS8_jjjj
	.p2align	8
	.type	_ZL13mul_mat_vec_qIL9ggml_type21ELi7ELb0ELb0EEvPKvS2_PKi31ggml_cuda_mm_fusion_args_devicePfj15HIP_vector_typeIjLj3EEjjjS8_jjjS8_jjjj,@function
_ZL13mul_mat_vec_qIL9ggml_type21ELi7ELb0ELb0EEvPKvS2_PKi31ggml_cuda_mm_fusion_args_devicePfj15HIP_vector_typeIjLj3EEjjjS8_jjjS8_jjjj: ; @_ZL13mul_mat_vec_qIL9ggml_type21ELi7ELb0ELb0EEvPKvS2_PKi31ggml_cuda_mm_fusion_args_devicePfj15HIP_vector_typeIjLj3EEjjjS8_jjjS8_jjjj
; %bb.0:
	s_clause 0x5
	s_load_b96 s[16:18], s[0:1], 0x80
	s_load_b32 s3, s[0:1], 0x40
	s_load_b128 s[4:7], s[0:1], 0x50
	s_load_b32 s2, s[0:1], 0x60
	s_load_b128 s[8:11], s[0:1], 0x68
	s_load_b32 s23, s[0:1], 0x78
	v_bfe_u32 v13, v0, 10, 10
	v_dual_mov_b32 v8, 0 :: v_dual_and_b32 v9, 0x3ff, v0
	v_dual_mov_b32 v7, 0 :: v_dual_mov_b32 v10, 0
	v_dual_mov_b32 v12, 0 :: v_dual_mov_b32 v11, 0
	s_delay_alu instid0(VALU_DEP_3)
	v_lshl_or_b32 v0, v13, 5, v9
	v_mov_b32_e32 v14, 0
	v_mov_b32_e32 v16, 0
	s_and_b32 s19, ttmp7, 0xffff
	s_lshr_b32 s20, ttmp7, 16
	v_lshrrev_b32_e32 v15, 3, v0
	s_mov_b32 s21, exec_lo
	s_wait_kmcnt 0x0
	s_lshr_b32 s22, s3, 8
	s_delay_alu instid0(VALU_DEP_1) | instid1(SALU_CYCLE_1)
	v_cmpx_gt_u32_e64 s22, v15
	s_cbranch_execz .LBB262_4
; %bb.1:
	s_mul_hi_u32 s3, s7, s19
	v_lshl_add_u32 v0, v13, 5, v9
	s_add_co_i32 s3, s19, s3
	s_load_b128 s[12:15], s[0:1], 0x0
	s_lshr_b32 s2, s3, s2
	s_mul_hi_u32 s3, s11, s20
	v_lshrrev_b32_e32 v0, 3, v0
	s_add_co_i32 s11, s20, s3
	s_mov_b32 s3, 0
	s_mul_i32 s7, s2, s8
	s_mul_i32 s8, s9, s19
	s_mov_b32 s9, s3
	s_mul_i32 s2, s17, s20
	s_mul_u64 s[8:9], s[8:9], 36
	v_dual_mov_b32 v14, 0 :: v_dual_and_b32 v17, 7, v9
	v_mad_co_u64_u32 v[0:1], null, 0x120, v0, s[8:9]
	v_lshlrev_b32_e32 v6, 3, v15
	v_dual_mov_b32 v11, 0 :: v_dual_lshlrev_b32 v4, 1, v9
	s_mul_u64 s[24:25], s[2:3], 36
	s_mul_i32 s4, s4, ttmp9
	s_wait_kmcnt 0x0
	s_add_nc_u64 s[24:25], s[14:15], s[24:25]
	s_delay_alu instid0(VALU_DEP_3)
	v_mad_co_u64_u32 v[2:3], null, s2, 36, v[0:1]
	v_and_b32_e32 v10, 14, v4
	v_bfe_u32 v18, v4, 2, 2
	s_add_nc_u64 s[8:9], s[24:25], s[8:9]
	v_add_nc_u32_e32 v20, s5, v6
	v_lshl_add_u32 v21, s5, 2, v6
	v_lshl_add_u32 v22, s5, 1, v6
	v_mad_co_u64_u32 v[7:8], null, v17, 36, v[2:3]
	s_wait_alu 0xfffe
	v_mad_co_u64_u32 v[0:1], null, v17, 36, s[8:9]
	s_lshr_b32 s11, s11, s23
	s_add_co_i32 s7, s7, s4
	s_mul_i32 s11, s11, s16
	v_mov_b32_e32 v16, 0
	v_mad_co_u64_u32 v[2:3], null, s5, 6, v[6:7]
	v_mad_co_u64_u32 v[3:4], null, s5, 5, v[6:7]
	;; [unrolled: 1-line block ×3, first 2 shown]
	v_add_co_u32 v5, vcc_lo, s14, v7
	s_delay_alu instid0(VALU_DEP_1) | instskip(SKIP_1) | instid1(VALU_DEP_3)
	v_add_co_ci_u32_e64 v7, null, s15, v8, vcc_lo
	v_mov_b32_e32 v8, 0
	v_add_co_u32 v5, vcc_lo, v5, 16
	s_wait_alu 0xfffd
	s_delay_alu instid0(VALU_DEP_3) | instskip(SKIP_4) | instid1(VALU_DEP_3)
	v_add_co_ci_u32_e64 v6, null, 0, v7, vcc_lo
	v_dual_mov_b32 v7, 0 :: v_dual_lshlrev_b32 v12, 1, v10
	v_lshlrev_b32_e32 v24, 1, v10
	v_mov_b32_e32 v10, 0
	s_add_co_i32 s7, s11, s7
	v_and_b32_e32 v19, 4, v12
	v_dual_mov_b32 v12, 0 :: v_dual_lshlrev_b32 v23, 1, v12
.LBB262_2:                              ; =>This Inner Loop Header: Depth=1
	v_add_nc_u32_e32 v25, s7, v15
	s_getpc_b64 s[4:5]
	s_wait_alu 0xfffe
	s_sext_i32_i16 s5, s5
	s_add_co_u32 s4, s4, _ZL9iq3s_grid@rel32@lo+12
	s_wait_alu 0xfffe
	s_add_co_ci_u32 s5, s5, _ZL9iq3s_grid@rel32@hi+24
	v_add_nc_u32_e32 v15, 4, v15
	v_mad_co_i64_i32 v[35:36], null, 0x6e, v25, s[12:13]
	s_delay_alu instid0(VALU_DEP_1) | instskip(SKIP_1) | instid1(VALU_DEP_2)
	v_add_co_u32 v25, vcc_lo, v35, v23
	s_wait_alu 0xfffd
	v_add_co_ci_u32_e64 v26, null, 0, v36, vcc_lo
	global_load_b64 v[29:30], v[25:26], off offset:2
	v_add_co_u32 v25, vcc_lo, v35, v17
	s_wait_alu 0xfffd
	v_add_co_ci_u32_e64 v26, null, 0, v36, vcc_lo
	global_load_u8 v32, v[25:26], off offset:66
	v_add_co_u32 v25, vcc_lo, v35, v24
	s_wait_alu 0xfffd
	v_add_co_ci_u32_e64 v26, null, 0, v36, vcc_lo
	global_load_b32 v33, v[25:26], off offset:74
	s_wait_loadcnt 0x2
	v_and_b32_e32 v25, 0xff, v29
	s_wait_loadcnt 0x1
	v_lshlrev_b32_e32 v26, 8, v32
	v_lshlrev_b32_e32 v27, 7, v32
	s_delay_alu instid0(VALU_DEP_2)
	v_and_or_b32 v25, 0x100, v26, v25
	v_bfe_u32 v26, v29, 8, 8
	s_wait_loadcnt 0x0
	v_lshlrev_b32_e32 v28, 21, v33
	v_lshrrev_b32_e32 v31, 16, v33
	v_lshlrev_b32_e32 v25, 2, v25
	v_and_or_b32 v26, 0x100, v27, v26
	v_and_b32_e32 v27, 0xff, v33
	global_load_b32 v25, v25, s[4:5]
	v_lshlrev_b32_e32 v26, 2, v26
	v_lshl_or_b32 v28, v27, 7, v28
	global_load_b32 v26, v26, s[4:5]
	v_and_b32_e32 v34, 0x1800180, v28
	v_bfe_u32 v28, v28, 24, 1
	s_delay_alu instid0(VALU_DEP_2) | instskip(NEXT) | instid1(VALU_DEP_2)
	v_lshrrev_b16 v37, 8, v34
	v_cmp_ne_u16_e32 vcc_lo, 0, v28
	v_lshrrev_b16 v28, 7, v34
	v_lshrrev_b32_e32 v34, 2, v33
	s_delay_alu instid0(VALU_DEP_4)
	v_cmp_ne_u16_e64 s2, 0, v37
	s_wait_alu 0xfffd
	v_cndmask_b32_e64 v39, 0, -1, vcc_lo
	v_bfe_i32 v28, v28, 0, 1
	v_bfe_i32 v34, v34, 0, 1
	s_wait_alu 0xf1ff
	v_cndmask_b32_e64 v38, 0, -1, s2
	v_lshlrev_b16 v39, 8, v39
	v_and_b32_e32 v37, 0xff, v28
	v_and_b32_e32 v40, 0xff, v34
	v_lshlrev_b16 v28, 8, v28
	v_lshlrev_b16 v38, 8, v38
	;; [unrolled: 1-line block ×3, first 2 shown]
	s_delay_alu instid0(VALU_DEP_4) | instskip(NEXT) | instid1(VALU_DEP_3)
	v_or_b32_e32 v40, v40, v39
	v_or_b32_e32 v37, v37, v38
	s_delay_alu instid0(VALU_DEP_2) | instskip(NEXT) | instid1(VALU_DEP_2)
	v_lshlrev_b32_e32 v40, 16, v40
	v_and_b32_e32 v37, 0xffff, v37
	s_delay_alu instid0(VALU_DEP_1) | instskip(SKIP_1) | instid1(VALU_DEP_1)
	v_or_b32_e32 v37, v37, v40
	v_lshlrev_b32_e32 v40, 17, v33
	v_lshl_or_b32 v27, v27, 3, v40
	s_delay_alu instid0(VALU_DEP_1) | instskip(SKIP_1) | instid1(VALU_DEP_2)
	v_and_b32_e32 v40, 0x1800180, v27
	v_bfe_u32 v27, v27, 24, 1
	v_lshrrev_b16 v41, 8, v40
	s_delay_alu instid0(VALU_DEP_2) | instskip(SKIP_2) | instid1(VALU_DEP_4)
	v_cmp_ne_u16_e32 vcc_lo, 0, v27
	v_lshrrev_b16 v27, 7, v40
	v_lshrrev_b32_e32 v40, 6, v33
	v_cmp_ne_u16_e64 s2, 0, v41
	s_wait_alu 0xfffd
	v_cndmask_b32_e64 v43, 0, -1, vcc_lo
	v_bfe_i32 v27, v27, 0, 1
	v_bfe_i32 v40, v40, 0, 1
	s_wait_alu 0xf1ff
	v_cndmask_b32_e64 v42, 0, -1, s2
	v_lshlrev_b16 v43, 8, v43
	v_and_b32_e32 v41, 0xff, v27
	v_and_b32_e32 v44, 0xff, v40
	v_lshlrev_b16 v27, 8, v27
	v_lshlrev_b16 v42, 8, v42
	s_delay_alu instid0(VALU_DEP_3) | instskip(NEXT) | instid1(VALU_DEP_2)
	v_or_b32_e32 v44, v44, v43
	v_or_b32_e32 v41, v41, v42
	s_delay_alu instid0(VALU_DEP_2) | instskip(NEXT) | instid1(VALU_DEP_2)
	v_lshlrev_b32_e32 v44, 16, v44
	v_and_b32_e32 v41, 0xffff, v41
	s_delay_alu instid0(VALU_DEP_1) | instskip(SKIP_2) | instid1(VALU_DEP_1)
	v_or_b32_e32 v41, v41, v44
	s_wait_loadcnt 0x1
	v_xor_b32_e32 v25, v25, v37
	v_lshrrev_b32_e32 v37, 16, v25
	v_and_b32_e32 v44, 0xffffff00, v25
	v_lshlrev_b16 v25, 8, v25
	s_wait_loadcnt 0x0
	v_xor_b32_e32 v26, v26, v41
	s_delay_alu instid0(VALU_DEP_3) | instskip(NEXT) | instid1(VALU_DEP_3)
	v_sub_nc_i16 v38, v44, v38 clamp
	v_sub_nc_i16 v25, v25, v28 clamp
	v_and_b32_e32 v28, 0xffffff00, v37
	v_lshlrev_b16 v37, 8, v37
	s_delay_alu instid0(VALU_DEP_3) | instskip(NEXT) | instid1(VALU_DEP_3)
	v_perm_b32 v25, v25, v38, 0xc0c0105
	v_sub_nc_i16 v28, v28, v39 clamp
	s_delay_alu instid0(VALU_DEP_3) | instskip(SKIP_2) | instid1(VALU_DEP_3)
	v_sub_nc_i16 v34, v37, v34 clamp
	v_lshrrev_b32_e32 v37, 11, v33
	v_lshrrev_b32_e32 v38, 10, v33
	v_perm_b32 v28, v34, v28, 0xc0c0105
	v_and_b32_e32 v34, 0xffffff00, v26
	s_delay_alu instid0(VALU_DEP_4) | instskip(NEXT) | instid1(VALU_DEP_4)
	v_bfe_i32 v37, v37, 0, 1
	v_bfe_i32 v38, v38, 0, 1
	s_delay_alu instid0(VALU_DEP_4)
	v_lshl_or_b32 v25, v28, 16, v25
	v_lshrrev_b32_e32 v28, 16, v26
	v_lshlrev_b16 v26, 8, v26
	v_sub_nc_i16 v34, v34, v42 clamp
	v_lshlrev_b16 v37, 8, v37
	v_lshrrev_b32_e32 v42, 15, v33
	s_delay_alu instid0(VALU_DEP_4) | instskip(SKIP_2) | instid1(VALU_DEP_4)
	v_sub_nc_i16 v26, v26, v27 clamp
	v_and_b32_e32 v27, 0xffffff00, v28
	v_lshlrev_b16 v28, 8, v28
	v_bfe_i32 v42, v42, 0, 1
	s_delay_alu instid0(VALU_DEP_4)
	v_perm_b32 v26, v26, v34, 0xc0c0105
	v_lshlrev_b16 v34, 8, v40
	v_sub_nc_i16 v27, v27, v43 clamp
	v_and_b32_e32 v40, 0xff, v38
	v_lshrrev_b32_e32 v43, 14, v33
	v_lshlrev_b16 v42, 8, v42
	v_sub_nc_i16 v28, v28, v34 clamp
	s_delay_alu instid0(VALU_DEP_4) | instskip(NEXT) | instid1(VALU_DEP_4)
	v_or_b32_e32 v40, v40, v37
	v_bfe_i32 v43, v43, 0, 1
	s_delay_alu instid0(VALU_DEP_3) | instskip(SKIP_1) | instid1(VALU_DEP_4)
	v_perm_b32 v27, v28, v27, 0xc0c0105
	v_lshlrev_b32_e32 v28, 6, v32
	v_lshlrev_b32_e32 v40, 16, v40
	s_delay_alu instid0(VALU_DEP_4) | instskip(NEXT) | instid1(VALU_DEP_4)
	v_and_b32_e32 v45, 0xff, v43
	v_lshl_or_b32 v26, v27, 16, v26
	v_bfe_u32 v27, v29, 16, 8
	s_delay_alu instid0(VALU_DEP_3) | instskip(NEXT) | instid1(VALU_DEP_2)
	v_or_b32_e32 v45, v45, v42
	v_and_or_b32 v27, 0x100, v28, v27
	v_lshrrev_b32_e32 v28, 24, v29
	v_lshlrev_b32_e32 v29, 5, v32
	s_delay_alu instid0(VALU_DEP_4) | instskip(NEXT) | instid1(VALU_DEP_4)
	v_lshlrev_b32_e32 v45, 16, v45
	v_lshlrev_b32_e32 v27, 2, v27
	s_delay_alu instid0(VALU_DEP_3)
	v_and_or_b32 v28, 0x100, v29, v28
	v_lshrrev_b32_e32 v29, 1, v33
	global_load_b32 v27, v27, s[4:5]
	v_lshlrev_b32_e32 v28, 2, v28
	v_and_b32_e32 v29, 0x180, v29
	global_load_b32 v28, v28, s[4:5]
	v_lshrrev_b16 v34, 8, v29
	v_lshrrev_b16 v29, 7, v29
	s_delay_alu instid0(VALU_DEP_2) | instskip(NEXT) | instid1(VALU_DEP_2)
	v_cmp_ne_u16_e32 vcc_lo, 0, v34
	v_bfe_i32 v29, v29, 0, 1
	s_wait_alu 0xfffd
	v_cndmask_b32_e64 v39, 0, -1, vcc_lo
	s_delay_alu instid0(VALU_DEP_2) | instskip(SKIP_1) | instid1(VALU_DEP_3)
	v_and_b32_e32 v34, 0xff, v29
	v_lshlrev_b16 v29, 8, v29
	v_lshlrev_b16 v39, 8, v39
	s_delay_alu instid0(VALU_DEP_1) | instskip(NEXT) | instid1(VALU_DEP_1)
	v_or_b32_e32 v34, v34, v39
	v_and_b32_e32 v34, 0xffff, v34
	s_delay_alu instid0(VALU_DEP_1) | instskip(SKIP_1) | instid1(VALU_DEP_1)
	v_or_b32_e32 v34, v34, v40
	v_lshrrev_b32_e32 v40, 5, v33
	v_and_b32_e32 v40, 0x180, v40
	s_delay_alu instid0(VALU_DEP_1) | instskip(SKIP_1) | instid1(VALU_DEP_2)
	v_lshrrev_b16 v41, 8, v40
	v_lshrrev_b16 v40, 7, v40
	v_cmp_ne_u16_e32 vcc_lo, 0, v41
	s_delay_alu instid0(VALU_DEP_2) | instskip(SKIP_2) | instid1(VALU_DEP_2)
	v_bfe_i32 v40, v40, 0, 1
	s_wait_alu 0xfffd
	v_cndmask_b32_e64 v44, 0, -1, vcc_lo
	v_and_b32_e32 v41, 0xff, v40
	s_delay_alu instid0(VALU_DEP_2) | instskip(NEXT) | instid1(VALU_DEP_1)
	v_lshlrev_b16 v44, 8, v44
	v_or_b32_e32 v41, v41, v44
	s_delay_alu instid0(VALU_DEP_1) | instskip(NEXT) | instid1(VALU_DEP_1)
	v_and_b32_e32 v41, 0xffff, v41
	v_or_b32_e32 v41, v41, v45
	s_wait_loadcnt 0x1
	v_xor_b32_e32 v27, v27, v34
	s_delay_alu instid0(VALU_DEP_1) | instskip(SKIP_4) | instid1(VALU_DEP_3)
	v_lshrrev_b32_e32 v34, 16, v27
	v_and_b32_e32 v45, 0xffffff00, v27
	v_lshlrev_b16 v27, 8, v27
	s_wait_loadcnt 0x0
	v_xor_b32_e32 v28, v28, v41
	v_sub_nc_i16 v39, v45, v39 clamp
	s_delay_alu instid0(VALU_DEP_3) | instskip(SKIP_2) | instid1(VALU_DEP_3)
	v_sub_nc_i16 v27, v27, v29 clamp
	v_and_b32_e32 v29, 0xffffff00, v34
	v_lshlrev_b16 v34, 8, v34
	v_perm_b32 v27, v27, v39, 0xc0c0105
	s_delay_alu instid0(VALU_DEP_3) | instskip(SKIP_1) | instid1(VALU_DEP_1)
	v_sub_nc_i16 v29, v29, v37 clamp
	v_lshlrev_b16 v37, 8, v38
	v_sub_nc_i16 v34, v34, v37 clamp
	v_lshlrev_b16 v37, 8, v40
	s_delay_alu instid0(VALU_DEP_2) | instskip(SKIP_1) | instid1(VALU_DEP_2)
	v_perm_b32 v29, v34, v29, 0xc0c0105
	v_and_b32_e32 v34, 0xffffff00, v28
	v_lshl_or_b32 v27, v29, 16, v27
	v_lshrrev_b32_e32 v29, 16, v28
	v_lshlrev_b16 v28, 8, v28
	s_delay_alu instid0(VALU_DEP_4) | instskip(NEXT) | instid1(VALU_DEP_2)
	v_sub_nc_i16 v34, v34, v44 clamp
	v_sub_nc_i16 v28, v28, v37 clamp
	v_lshlrev_b16 v37, 8, v43
	s_delay_alu instid0(VALU_DEP_2) | instskip(SKIP_2) | instid1(VALU_DEP_2)
	v_perm_b32 v28, v28, v34, 0xc0c0105
	v_and_b32_e32 v34, 0xffffff00, v29
	v_lshlrev_b16 v29, 8, v29
	v_sub_nc_i16 v34, v34, v42 clamp
	s_delay_alu instid0(VALU_DEP_2) | instskip(SKIP_1) | instid1(VALU_DEP_2)
	v_sub_nc_i16 v29, v29, v37 clamp
	v_lshlrev_b32_e32 v37, 3, v32
	v_perm_b32 v29, v29, v34, 0xc0c0105
	v_lshlrev_b32_e32 v34, 4, v32
	s_delay_alu instid0(VALU_DEP_2) | instskip(SKIP_1) | instid1(VALU_DEP_1)
	v_lshl_or_b32 v28, v29, 16, v28
	v_and_b32_e32 v29, 0xff, v30
	v_and_or_b32 v29, 0x100, v34, v29
	v_bfe_u32 v34, v30, 8, 8
	s_delay_alu instid0(VALU_DEP_2) | instskip(NEXT) | instid1(VALU_DEP_2)
	v_lshlrev_b32_e32 v29, 2, v29
	v_and_or_b32 v34, 0x100, v37, v34
	v_lshrrev_b32_e32 v37, 9, v33
	global_load_b32 v29, v29, s[4:5]
	v_lshlrev_b32_e32 v34, 2, v34
	v_lshl_or_b32 v37, v31, 21, v37
	global_load_b32 v34, v34, s[4:5]
	v_and_b32_e32 v38, 0x1800180, v37
	v_bfe_u32 v37, v37, 24, 1
	s_delay_alu instid0(VALU_DEP_2) | instskip(NEXT) | instid1(VALU_DEP_2)
	v_lshrrev_b16 v39, 8, v38
	v_cmp_ne_u16_e32 vcc_lo, 0, v37
	v_lshrrev_b16 v37, 7, v38
	v_lshrrev_b32_e32 v38, 18, v33
	s_delay_alu instid0(VALU_DEP_4)
	v_cmp_ne_u16_e64 s2, 0, v39
	s_wait_alu 0xfffd
	v_cndmask_b32_e64 v41, 0, -1, vcc_lo
	v_bfe_i32 v37, v37, 0, 1
	v_bfe_i32 v38, v38, 0, 1
	s_wait_alu 0xf1ff
	v_cndmask_b32_e64 v40, 0, -1, s2
	v_lshlrev_b16 v41, 8, v41
	v_and_b32_e32 v39, 0xff, v37
	v_and_b32_e32 v42, 0xff, v38
	v_lshlrev_b16 v37, 8, v37
	v_lshlrev_b16 v40, 8, v40
	;; [unrolled: 1-line block ×3, first 2 shown]
	s_delay_alu instid0(VALU_DEP_4) | instskip(NEXT) | instid1(VALU_DEP_3)
	v_or_b32_e32 v42, v42, v41
	v_or_b32_e32 v39, v39, v40
	s_delay_alu instid0(VALU_DEP_2) | instskip(NEXT) | instid1(VALU_DEP_2)
	v_lshlrev_b32_e32 v42, 16, v42
	v_and_b32_e32 v39, 0xffff, v39
	s_delay_alu instid0(VALU_DEP_1) | instskip(SKIP_1) | instid1(VALU_DEP_1)
	v_or_b32_e32 v39, v39, v42
	v_lshrrev_b32_e32 v42, 13, v33
	v_lshl_or_b32 v31, v31, 17, v42
	s_delay_alu instid0(VALU_DEP_1) | instskip(SKIP_1) | instid1(VALU_DEP_2)
	v_and_b32_e32 v42, 0x1800180, v31
	v_bfe_u32 v31, v31, 24, 1
	v_lshrrev_b16 v43, 8, v42
	s_delay_alu instid0(VALU_DEP_2) | instskip(SKIP_2) | instid1(VALU_DEP_4)
	v_cmp_ne_u16_e32 vcc_lo, 0, v31
	v_lshrrev_b16 v31, 7, v42
	v_lshrrev_b32_e32 v42, 22, v33
	v_cmp_ne_u16_e64 s2, 0, v43
	s_wait_alu 0xfffd
	v_cndmask_b32_e64 v45, 0, -1, vcc_lo
	v_bfe_i32 v31, v31, 0, 1
	v_bfe_i32 v42, v42, 0, 1
	s_wait_alu 0xf1ff
	v_cndmask_b32_e64 v44, 0, -1, s2
	v_lshlrev_b16 v45, 8, v45
	v_and_b32_e32 v43, 0xff, v31
	v_and_b32_e32 v46, 0xff, v42
	v_lshlrev_b16 v31, 8, v31
	v_lshlrev_b16 v44, 8, v44
	s_delay_alu instid0(VALU_DEP_3) | instskip(NEXT) | instid1(VALU_DEP_2)
	v_or_b32_e32 v46, v46, v45
	v_or_b32_e32 v43, v43, v44
	s_delay_alu instid0(VALU_DEP_2) | instskip(NEXT) | instid1(VALU_DEP_2)
	v_lshlrev_b32_e32 v46, 16, v46
	v_and_b32_e32 v43, 0xffff, v43
	s_delay_alu instid0(VALU_DEP_1) | instskip(SKIP_2) | instid1(VALU_DEP_1)
	v_or_b32_e32 v43, v43, v46
	s_wait_loadcnt 0x1
	v_xor_b32_e32 v29, v29, v39
	v_lshrrev_b32_e32 v39, 16, v29
	v_and_b32_e32 v46, 0xffffff00, v29
	v_lshlrev_b16 v29, 8, v29
	s_wait_loadcnt 0x0
	v_xor_b32_e32 v34, v34, v43
	v_lshrrev_b32_e32 v43, 31, v33
	v_sub_nc_i16 v40, v46, v40 clamp
	v_sub_nc_i16 v29, v29, v37 clamp
	v_and_b32_e32 v37, 0xffffff00, v39
	v_lshlrev_b16 v39, 8, v39
	s_delay_alu instid0(VALU_DEP_3) | instskip(NEXT) | instid1(VALU_DEP_3)
	v_perm_b32 v29, v29, v40, 0xc0c0105
	v_sub_nc_i16 v37, v37, v41 clamp
	s_delay_alu instid0(VALU_DEP_3) | instskip(NEXT) | instid1(VALU_DEP_1)
	v_sub_nc_i16 v38, v39, v38 clamp
	v_perm_b32 v37, v38, v37, 0xc0c0105
	v_and_b32_e32 v38, 0xffffff00, v34
	s_delay_alu instid0(VALU_DEP_2) | instskip(SKIP_2) | instid1(VALU_DEP_4)
	v_lshl_or_b32 v29, v37, 16, v29
	v_lshrrev_b32_e32 v37, 16, v34
	v_lshlrev_b16 v34, 8, v34
	v_sub_nc_i16 v38, v38, v44 clamp
	s_delay_alu instid0(VALU_DEP_2) | instskip(NEXT) | instid1(VALU_DEP_4)
	v_sub_nc_i16 v31, v34, v31 clamp
	v_and_b32_e32 v34, 0xffffff00, v37
	v_lshlrev_b16 v37, 8, v37
	s_delay_alu instid0(VALU_DEP_3) | instskip(SKIP_1) | instid1(VALU_DEP_4)
	v_perm_b32 v31, v31, v38, 0xc0c0105
	v_lshlrev_b16 v38, 8, v42
	v_sub_nc_i16 v34, v34, v45 clamp
	s_delay_alu instid0(VALU_DEP_2) | instskip(NEXT) | instid1(VALU_DEP_1)
	v_sub_nc_i16 v37, v37, v38 clamp
	v_perm_b32 v34, v37, v34, 0xc0c0105
	v_lshlrev_b32_e32 v37, 2, v32
	v_lshlrev_b32_e32 v32, 1, v32
	s_delay_alu instid0(VALU_DEP_3) | instskip(SKIP_2) | instid1(VALU_DEP_2)
	v_lshl_or_b32 v31, v34, 16, v31
	v_bfe_u32 v34, v30, 16, 8
	v_lshrrev_b32_e32 v30, 24, v30
	v_and_or_b32 v34, 0x100, v37, v34
	s_delay_alu instid0(VALU_DEP_2) | instskip(SKIP_2) | instid1(VALU_DEP_4)
	v_and_or_b32 v30, 0x100, v32, v30
	v_lshrrev_b32_e32 v32, 17, v33
	v_lshrrev_b32_e32 v37, 3, v33
	v_lshlrev_b32_e32 v34, 2, v34
	s_delay_alu instid0(VALU_DEP_4) | instskip(NEXT) | instid1(VALU_DEP_4)
	v_lshlrev_b32_e32 v30, 2, v30
	v_and_b32_e32 v32, 0x180, v32
	s_delay_alu instid0(VALU_DEP_4)
	v_bfe_u32 v37, v37, 24, 1
	s_clause 0x1
	global_load_b32 v34, v34, s[4:5]
	global_load_b32 v30, v30, s[4:5]
	v_lshrrev_b16 v38, 8, v32
	v_cmp_ne_u16_e32 vcc_lo, 0, v37
	v_lshrrev_b32_e32 v37, 26, v33
	v_lshrrev_b16 v32, 7, v32
	s_delay_alu instid0(VALU_DEP_4)
	v_cmp_ne_u16_e64 s2, 0, v38
	s_wait_alu 0xfffd
	v_cndmask_b32_e64 v41, 0, -1, vcc_lo
	v_bfe_i32 v37, v37, 0, 1
	v_bfe_i32 v32, v32, 0, 1
	v_cmp_ne_u16_e32 vcc_lo, 0, v43
	s_wait_alu 0xf1ff
	v_cndmask_b32_e64 v39, 0, -1, s2
	v_lshlrev_b16 v41, 8, v41
	v_and_b32_e32 v40, 0xff, v37
	v_and_b32_e32 v38, 0xff, v32
	s_wait_alu 0xfffd
	v_cndmask_b32_e64 v45, 0, -1, vcc_lo
	v_lshlrev_b16 v39, 8, v39
	v_lshlrev_b16 v32, 8, v32
	v_or_b32_e32 v40, v40, v41
	v_lshlrev_b16 v37, 8, v37
	v_lshlrev_b16 v45, 8, v45
	v_or_b32_e32 v38, v38, v39
	s_delay_alu instid0(VALU_DEP_4) | instskip(NEXT) | instid1(VALU_DEP_2)
	v_lshlrev_b32_e32 v40, 16, v40
	v_and_b32_e32 v38, 0xffff, v38
	s_delay_alu instid0(VALU_DEP_1) | instskip(SKIP_2) | instid1(VALU_DEP_2)
	v_or_b32_e32 v38, v38, v40
	v_lshrrev_b32_e32 v40, 21, v33
	v_lshrrev_b32_e32 v33, 30, v33
	v_lshrrev_b16 v42, 8, v40
	v_lshrrev_b16 v40, 7, v40
	s_delay_alu instid0(VALU_DEP_3) | instskip(NEXT) | instid1(VALU_DEP_3)
	v_bfe_i32 v33, v33, 0, 1
	v_bfe_i32 v42, v42, 0, 1
	s_delay_alu instid0(VALU_DEP_3) | instskip(NEXT) | instid1(VALU_DEP_3)
	v_bfe_i32 v40, v40, 0, 1
	v_and_b32_e32 v44, 0xff, v33
	v_lshlrev_b16 v33, 8, v33
	s_delay_alu instid0(VALU_DEP_4) | instskip(NEXT) | instid1(VALU_DEP_4)
	v_lshlrev_b16 v42, 8, v42
	v_and_b32_e32 v43, 0xff, v40
	s_delay_alu instid0(VALU_DEP_4) | instskip(NEXT) | instid1(VALU_DEP_2)
	v_or_b32_e32 v44, v44, v45
	v_or_b32_e32 v43, v43, v42
	s_delay_alu instid0(VALU_DEP_2) | instskip(NEXT) | instid1(VALU_DEP_2)
	v_lshlrev_b32_e32 v44, 16, v44
	v_and_b32_e32 v43, 0xffff, v43
	s_delay_alu instid0(VALU_DEP_1) | instskip(SKIP_3) | instid1(VALU_DEP_2)
	v_or_b32_e32 v43, v43, v44
	s_wait_loadcnt 0x1
	v_xor_b32_e32 v34, v34, v38
	s_wait_loadcnt 0x0
	v_xor_b32_e32 v30, v30, v43
	s_delay_alu instid0(VALU_DEP_2) | instskip(SKIP_2) | instid1(VALU_DEP_2)
	v_lshrrev_b32_e32 v38, 16, v34
	v_and_b32_e32 v44, 0xffffff00, v34
	v_lshlrev_b16 v34, 8, v34
	v_sub_nc_i16 v39, v44, v39 clamp
	s_delay_alu instid0(VALU_DEP_2) | instskip(SKIP_2) | instid1(VALU_DEP_3)
	v_sub_nc_i16 v32, v34, v32 clamp
	v_and_b32_e32 v34, 0xffffff00, v38
	v_lshlrev_b16 v38, 8, v38
	v_perm_b32 v32, v32, v39, 0xc0c0105
	s_delay_alu instid0(VALU_DEP_3) | instskip(NEXT) | instid1(VALU_DEP_3)
	v_sub_nc_i16 v34, v34, v41 clamp
	v_sub_nc_i16 v37, v38, v37 clamp
	v_lshlrev_b16 v38, 8, v40
	s_delay_alu instid0(VALU_DEP_2) | instskip(SKIP_1) | instid1(VALU_DEP_2)
	v_perm_b32 v34, v37, v34, 0xc0c0105
	v_and_b32_e32 v37, 0xffffff00, v30
	v_lshl_or_b32 v32, v34, 16, v32
	v_lshrrev_b32_e32 v34, 16, v30
	v_lshlrev_b16 v30, 8, v30
	s_delay_alu instid0(VALU_DEP_4) | instskip(NEXT) | instid1(VALU_DEP_2)
	v_sub_nc_i16 v37, v37, v42 clamp
	v_sub_nc_i16 v30, v30, v38 clamp
	s_delay_alu instid0(VALU_DEP_1) | instskip(SKIP_2) | instid1(VALU_DEP_2)
	v_perm_b32 v30, v30, v37, 0xc0c0105
	v_and_b32_e32 v37, 0xffffff00, v34
	v_lshlrev_b16 v34, 8, v34
	v_sub_nc_i16 v37, v37, v45 clamp
	s_delay_alu instid0(VALU_DEP_2) | instskip(NEXT) | instid1(VALU_DEP_1)
	v_sub_nc_i16 v33, v34, v33 clamp
	v_perm_b32 v33, v33, v37, 0xc0c0105
	v_add_co_u32 v37, vcc_lo, v35, v18
	s_wait_alu 0xfffd
	v_add_co_ci_u32_e64 v38, null, 0, v36, vcc_lo
	s_delay_alu instid0(VALU_DEP_3) | instskip(SKIP_3) | instid1(VALU_DEP_1)
	v_lshl_or_b32 v33, v33, 16, v30
	global_load_u8 v30, v[37:38], off offset:106
	s_wait_loadcnt 0x0
	v_lshrrev_b32_e32 v30, v19, v30
	v_lshlrev_b32_e32 v30, 1, v30
	s_delay_alu instid0(VALU_DEP_1)
	v_and_or_b32 v34, v30, 30, 1
	global_load_u16 v30, v[35:36], off
	s_clause 0x2
	global_load_b128 v[35:38], v[5:6], off offset:-16
	global_load_b32 v43, v[5:6], off offset:16
	global_load_b128 v[39:42], v[5:6], off
	v_add_co_u32 v5, vcc_lo, 0x480, v5
	s_wait_alu 0xfffd
	v_add_co_ci_u32_e64 v6, null, 0, v6, vcc_lo
	v_cmp_le_u32_e32 vcc_lo, s22, v15
	s_or_b32 s3, vcc_lo, s3
	s_wait_loadcnt 0x2
	v_dot4_i32_iu8 v36, v25, v36, 0 neg_lo:[1,1,0]
	v_cvt_f32_f16_e32 v30, v30
	v_cvt_f32_f16_e32 v35, v35
	s_delay_alu instid0(VALU_DEP_3) | instskip(NEXT) | instid1(VALU_DEP_2)
	v_dot4_i32_iu8 v36, v26, v37, v36 neg_lo:[1,1,0]
	v_mul_f32_e32 v35, v30, v35
	s_delay_alu instid0(VALU_DEP_2) | instskip(SKIP_1) | instid1(VALU_DEP_1)
	v_dot4_i32_iu8 v36, v27, v38, v36 neg_lo:[1,1,0]
	s_wait_loadcnt 0x0
	v_dot4_i32_iu8 v36, v28, v39, v36 neg_lo:[1,1,0]
	s_delay_alu instid0(VALU_DEP_1) | instskip(SKIP_2) | instid1(VALU_DEP_3)
	v_dot4_i32_iu8 v36, v29, v40, v36 neg_lo:[1,1,0]
	v_mad_co_u64_u32 v[39:40], null, v20, 36, v[0:1]
	v_add_nc_u32_e32 v20, 32, v20
	v_dot4_i32_iu8 v36, v31, v41, v36 neg_lo:[1,1,0]
	s_delay_alu instid0(VALU_DEP_1) | instskip(NEXT) | instid1(VALU_DEP_1)
	v_dot4_i32_iu8 v36, v32, v42, v36 neg_lo:[1,1,0]
	v_dot4_i32_iu8 v36, v33, v43, v36 neg_lo:[1,1,0]
	s_delay_alu instid0(VALU_DEP_1) | instskip(NEXT) | instid1(VALU_DEP_1)
	v_mul_lo_u32 v36, v36, v34
	v_cvt_f32_i32_e32 v36, v36
	s_delay_alu instid0(VALU_DEP_1)
	v_fmac_f32_e32 v16, v35, v36
	s_clause 0x2
	global_load_b128 v[35:38], v[39:40], off
	global_load_b32 v43, v[39:40], off offset:32
	global_load_b128 v[39:42], v[39:40], off offset:16
	s_wait_loadcnt 0x2
	v_dot4_i32_iu8 v36, v25, v36, 0 neg_lo:[1,1,0]
	v_cvt_f32_f16_e32 v35, v35
	s_delay_alu instid0(VALU_DEP_2) | instskip(NEXT) | instid1(VALU_DEP_2)
	v_dot4_i32_iu8 v36, v26, v37, v36 neg_lo:[1,1,0]
	v_mul_f32_e32 v35, v30, v35
	s_delay_alu instid0(VALU_DEP_2) | instskip(SKIP_1) | instid1(VALU_DEP_1)
	v_dot4_i32_iu8 v36, v27, v38, v36 neg_lo:[1,1,0]
	s_wait_loadcnt 0x0
	v_dot4_i32_iu8 v36, v28, v39, v36 neg_lo:[1,1,0]
	s_delay_alu instid0(VALU_DEP_1) | instskip(SKIP_2) | instid1(VALU_DEP_3)
	v_dot4_i32_iu8 v36, v29, v40, v36 neg_lo:[1,1,0]
	v_mad_co_u64_u32 v[39:40], null, v22, 36, v[0:1]
	v_add_nc_u32_e32 v22, 32, v22
	v_dot4_i32_iu8 v36, v31, v41, v36 neg_lo:[1,1,0]
	s_delay_alu instid0(VALU_DEP_1) | instskip(NEXT) | instid1(VALU_DEP_1)
	v_dot4_i32_iu8 v36, v32, v42, v36 neg_lo:[1,1,0]
	v_dot4_i32_iu8 v36, v33, v43, v36 neg_lo:[1,1,0]
	s_delay_alu instid0(VALU_DEP_1) | instskip(NEXT) | instid1(VALU_DEP_1)
	v_mul_lo_u32 v36, v36, v34
	v_cvt_f32_i32_e32 v36, v36
	s_delay_alu instid0(VALU_DEP_1)
	v_fmac_f32_e32 v14, v35, v36
	s_clause 0x2
	global_load_b128 v[35:38], v[39:40], off
	global_load_b32 v43, v[39:40], off offset:32
	global_load_b128 v[39:42], v[39:40], off offset:16
	s_wait_loadcnt 0x2
	v_dot4_i32_iu8 v36, v25, v36, 0 neg_lo:[1,1,0]
	v_cvt_f32_f16_e32 v35, v35
	s_delay_alu instid0(VALU_DEP_2) | instskip(NEXT) | instid1(VALU_DEP_2)
	v_dot4_i32_iu8 v36, v26, v37, v36 neg_lo:[1,1,0]
	v_mul_f32_e32 v35, v30, v35
	s_delay_alu instid0(VALU_DEP_2) | instskip(SKIP_1) | instid1(VALU_DEP_1)
	v_dot4_i32_iu8 v36, v27, v38, v36 neg_lo:[1,1,0]
	s_wait_loadcnt 0x0
	v_dot4_i32_iu8 v36, v28, v39, v36 neg_lo:[1,1,0]
	s_delay_alu instid0(VALU_DEP_1) | instskip(SKIP_2) | instid1(VALU_DEP_3)
	v_dot4_i32_iu8 v36, v29, v40, v36 neg_lo:[1,1,0]
	v_mad_co_u64_u32 v[39:40], null, v4, 36, v[0:1]
	v_add_nc_u32_e32 v4, 32, v4
	v_dot4_i32_iu8 v36, v31, v41, v36 neg_lo:[1,1,0]
	s_delay_alu instid0(VALU_DEP_1) | instskip(NEXT) | instid1(VALU_DEP_1)
	v_dot4_i32_iu8 v36, v32, v42, v36 neg_lo:[1,1,0]
	v_dot4_i32_iu8 v36, v33, v43, v36 neg_lo:[1,1,0]
	s_delay_alu instid0(VALU_DEP_1) | instskip(NEXT) | instid1(VALU_DEP_1)
	v_mul_lo_u32 v36, v36, v34
	v_cvt_f32_i32_e32 v36, v36
	s_delay_alu instid0(VALU_DEP_1)
	v_fmac_f32_e32 v11, v35, v36
	s_clause 0x2
	global_load_b128 v[35:38], v[39:40], off
	global_load_b32 v43, v[39:40], off offset:32
	global_load_b128 v[39:42], v[39:40], off offset:16
	s_wait_loadcnt 0x2
	v_dot4_i32_iu8 v36, v25, v36, 0 neg_lo:[1,1,0]
	s_delay_alu instid0(VALU_DEP_1) | instskip(NEXT) | instid1(VALU_DEP_1)
	v_dot4_i32_iu8 v36, v26, v37, v36 neg_lo:[1,1,0]
	v_dot4_i32_iu8 v36, v27, v38, v36 neg_lo:[1,1,0]
	s_wait_loadcnt 0x0
	s_delay_alu instid0(VALU_DEP_1) | instskip(NEXT) | instid1(VALU_DEP_1)
	v_dot4_i32_iu8 v36, v28, v39, v36 neg_lo:[1,1,0]
	v_dot4_i32_iu8 v36, v29, v40, v36 neg_lo:[1,1,0]
	s_delay_alu instid0(VALU_DEP_1) | instskip(SKIP_2) | instid1(VALU_DEP_3)
	v_dot4_i32_iu8 v36, v31, v41, v36 neg_lo:[1,1,0]
	v_mad_co_u64_u32 v[40:41], null, v21, 36, v[0:1]
	v_add_nc_u32_e32 v21, 32, v21
	v_dot4_i32_iu8 v36, v32, v42, v36 neg_lo:[1,1,0]
	s_delay_alu instid0(VALU_DEP_1)
	v_dot4_i32_iu8 v46, v33, v43, v36 neg_lo:[1,1,0]
	s_clause 0x2
	global_load_b128 v[36:39], v[40:41], off
	global_load_b32 v44, v[40:41], off offset:32
	global_load_b128 v[40:43], v[40:41], off offset:16
	s_wait_loadcnt 0x2
	v_dot4_i32_iu8 v37, v25, v37, 0 neg_lo:[1,1,0]
	s_delay_alu instid0(VALU_DEP_1) | instskip(NEXT) | instid1(VALU_DEP_1)
	v_dot4_i32_iu8 v37, v26, v38, v37 neg_lo:[1,1,0]
	v_dot4_i32_iu8 v37, v27, v39, v37 neg_lo:[1,1,0]
	s_wait_loadcnt 0x0
	s_delay_alu instid0(VALU_DEP_1) | instskip(NEXT) | instid1(VALU_DEP_1)
	v_dot4_i32_iu8 v37, v28, v40, v37 neg_lo:[1,1,0]
	v_dot4_i32_iu8 v37, v29, v41, v37 neg_lo:[1,1,0]
	s_delay_alu instid0(VALU_DEP_1) | instskip(SKIP_2) | instid1(VALU_DEP_3)
	v_dot4_i32_iu8 v37, v31, v42, v37 neg_lo:[1,1,0]
	v_mad_co_u64_u32 v[41:42], null, v3, 36, v[0:1]
	v_add_nc_u32_e32 v3, 32, v3
	v_dot4_i32_iu8 v37, v32, v43, v37 neg_lo:[1,1,0]
	s_delay_alu instid0(VALU_DEP_1)
	v_dot4_i32_iu8 v47, v33, v44, v37 neg_lo:[1,1,0]
	;; [unrolled: 20-line block ×3, first 2 shown]
	s_clause 0x2
	global_load_b128 v[38:41], v[42:43], off
	global_load_b32 v49, v[42:43], off offset:32
	global_load_b128 v[42:45], v[42:43], off offset:16
	s_wait_loadcnt 0x2
	v_dot4_i32_iu8 v25, v25, v39, 0 neg_lo:[1,1,0]
	s_delay_alu instid0(VALU_DEP_1) | instskip(SKIP_1) | instid1(VALU_DEP_2)
	v_dot4_i32_iu8 v25, v26, v40, v25 neg_lo:[1,1,0]
	v_mul_lo_u32 v26, v46, v34
	v_dot4_i32_iu8 v25, v27, v41, v25 neg_lo:[1,1,0]
	v_mul_lo_u32 v27, v47, v34
	s_delay_alu instid0(VALU_DEP_3) | instskip(SKIP_1) | instid1(VALU_DEP_3)
	v_cvt_f32_i32_e32 v26, v26
	s_wait_loadcnt 0x0
	v_dot4_i32_iu8 v25, v28, v42, v25 neg_lo:[1,1,0]
	v_mul_lo_u32 v28, v48, v34
	s_delay_alu instid0(VALU_DEP_4) | instskip(NEXT) | instid1(VALU_DEP_3)
	v_cvt_f32_i32_e32 v27, v27
	v_dot4_i32_iu8 v25, v29, v43, v25 neg_lo:[1,1,0]
	v_cvt_f32_f16_e32 v29, v35
	s_delay_alu instid0(VALU_DEP_4) | instskip(NEXT) | instid1(VALU_DEP_3)
	v_cvt_f32_i32_e32 v28, v28
	v_dot4_i32_iu8 v25, v31, v44, v25 neg_lo:[1,1,0]
	v_cvt_f32_f16_e32 v31, v36
	s_delay_alu instid0(VALU_DEP_4) | instskip(NEXT) | instid1(VALU_DEP_3)
	v_mul_f32_e32 v29, v30, v29
	v_dot4_i32_iu8 v25, v32, v45, v25 neg_lo:[1,1,0]
	v_cvt_f32_f16_e32 v32, v37
	s_delay_alu instid0(VALU_DEP_3) | instskip(NEXT) | instid1(VALU_DEP_3)
	v_dual_mul_f32 v31, v30, v31 :: v_dual_fmac_f32 v12, v29, v26
	v_dot4_i32_iu8 v25, v33, v49, v25 neg_lo:[1,1,0]
	v_cvt_f32_f16_e32 v33, v38
	s_delay_alu instid0(VALU_DEP_4) | instskip(NEXT) | instid1(VALU_DEP_4)
	v_mul_f32_e32 v32, v30, v32
	v_fmac_f32_e32 v10, v31, v27
	s_delay_alu instid0(VALU_DEP_4) | instskip(NEXT) | instid1(VALU_DEP_3)
	v_mul_lo_u32 v25, v25, v34
	v_dual_mul_f32 v33, v30, v33 :: v_dual_fmac_f32 v8, v32, v28
	s_delay_alu instid0(VALU_DEP_2) | instskip(NEXT) | instid1(VALU_DEP_1)
	v_cvt_f32_i32_e32 v25, v25
	v_fmac_f32_e32 v7, v33, v25
	s_wait_alu 0xfffe
	s_and_not1_b32 exec_lo, exec_lo, s3
	s_cbranch_execnz .LBB262_2
; %bb.3:
	s_or_b32 exec_lo, exec_lo, s3
.LBB262_4:
	s_delay_alu instid0(SALU_CYCLE_1)
	s_or_b32 exec_lo, exec_lo, s21
	s_mov_b32 s3, 0
	; wave barrier
	global_inv scope:SCOPE_SE
	s_mov_b32 s2, exec_lo
	v_cmpx_eq_u32_e32 0, v13
	s_cbranch_execz .LBB262_19
; %bb.5:
	v_mbcnt_lo_u32_b32 v4, -1, 0
	s_load_b64 s[0:1], s[0:1], 0x38
	s_mul_i32 s2, s10, s19
	s_mul_i32 s4, s18, s20
	s_wait_alu 0xfffe
	s_add_co_i32 s2, s2, ttmp9
	v_xor_b32_e32 v0, 16, v4
	v_xor_b32_e32 v1, 8, v4
	;; [unrolled: 1-line block ×3, first 2 shown]
	s_wait_alu 0xfffe
	s_add_co_i32 s2, s2, s4
	s_wait_alu 0xfffe
	s_lshl_b64 s[2:3], s[2:3], 2
	v_cmp_gt_i32_e32 vcc_lo, 32, v0
	s_wait_alu 0xfffd
	v_cndmask_b32_e32 v0, v4, v0, vcc_lo
	v_cmp_gt_i32_e32 vcc_lo, 32, v1
	s_wait_kmcnt 0x0
	s_wait_alu 0xfffe
	s_add_nc_u64 s[0:1], s[0:1], s[2:3]
	s_wait_alu 0xfffd
	v_cndmask_b32_e32 v1, v4, v1, vcc_lo
	s_delay_alu instid0(VALU_DEP_1)
	v_lshlrev_b32_e32 v1, 2, v1
	v_lshlrev_b32_e32 v0, 2, v0
	ds_bpermute_b32 v2, v0, v16
	s_wait_dscnt 0x0
	v_add_f32_e32 v3, v16, v2
	v_xor_b32_e32 v2, 4, v4
	ds_bpermute_b32 v5, v1, v3
	v_cmp_gt_i32_e32 vcc_lo, 32, v2
	s_wait_dscnt 0x0
	s_wait_alu 0xfffd
	v_dual_cndmask_b32 v2, v4, v2 :: v_dual_add_f32 v5, v3, v5
	s_delay_alu instid0(VALU_DEP_1)
	v_lshlrev_b32_e32 v2, 2, v2
	v_xor_b32_e32 v3, 2, v4
	ds_bpermute_b32 v6, v2, v5
	v_cmp_gt_i32_e32 vcc_lo, 32, v3
	s_wait_alu 0xfffd
	v_cndmask_b32_e32 v3, v4, v3, vcc_lo
	v_cmp_gt_i32_e32 vcc_lo, 32, v13
	s_wait_alu 0xfffd
	v_cndmask_b32_e32 v4, v4, v13, vcc_lo
	v_cmp_eq_u32_e32 vcc_lo, 0, v9
	s_delay_alu instid0(VALU_DEP_2)
	v_lshlrev_b32_e32 v4, 2, v4
	v_lshlrev_b32_e32 v3, 2, v3
	s_wait_dscnt 0x0
	v_add_f32_e32 v5, v5, v6
	ds_bpermute_b32 v6, v3, v5
	s_wait_dscnt 0x0
	v_add_f32_e32 v5, v5, v6
	ds_bpermute_b32 v6, v4, v5
	s_and_saveexec_b32 s2, vcc_lo
	s_cbranch_execz .LBB262_7
; %bb.6:
	s_wait_dscnt 0x0
	v_dual_add_f32 v5, v5, v6 :: v_dual_mov_b32 v6, 0
	global_store_b32 v6, v5, s[0:1]
.LBB262_7:
	s_wait_alu 0xfffe
	s_or_b32 exec_lo, exec_lo, s2
	ds_bpermute_b32 v5, v0, v14
	s_wait_dscnt 0x0
	v_add_f32_e32 v5, v14, v5
	ds_bpermute_b32 v6, v1, v5
	s_wait_dscnt 0x0
	v_add_f32_e32 v5, v5, v6
	;; [unrolled: 3-line block ×4, first 2 shown]
	ds_bpermute_b32 v6, v4, v5
	s_and_saveexec_b32 s2, vcc_lo
	s_cbranch_execz .LBB262_9
; %bb.8:
	s_mov_b32 s7, 0
	s_wait_dscnt 0x0
	v_dual_add_f32 v5, v5, v6 :: v_dual_mov_b32 v6, 0
	s_wait_alu 0xfffe
	s_lshl_b64 s[4:5], s[6:7], 2
	s_wait_alu 0xfffe
	s_add_nc_u64 s[4:5], s[0:1], s[4:5]
	global_store_b32 v6, v5, s[4:5]
.LBB262_9:
	s_wait_alu 0xfffe
	s_or_b32 exec_lo, exec_lo, s2
	ds_bpermute_b32 v5, v0, v11
	s_wait_dscnt 0x0
	v_add_f32_e32 v5, v11, v5
	ds_bpermute_b32 v6, v1, v5
	s_wait_dscnt 0x0
	v_add_f32_e32 v5, v5, v6
	;; [unrolled: 3-line block ×4, first 2 shown]
	ds_bpermute_b32 v6, v4, v5
	s_and_saveexec_b32 s2, vcc_lo
	s_cbranch_execz .LBB262_11
; %bb.10:
	s_lshl_b32 s4, s6, 1
	s_mov_b32 s5, 0
	s_wait_dscnt 0x0
	v_dual_add_f32 v5, v5, v6 :: v_dual_mov_b32 v6, 0
	s_wait_alu 0xfffe
	s_lshl_b64 s[4:5], s[4:5], 2
	s_wait_alu 0xfffe
	s_add_nc_u64 s[4:5], s[0:1], s[4:5]
	global_store_b32 v6, v5, s[4:5]
.LBB262_11:
	s_wait_alu 0xfffe
	s_or_b32 exec_lo, exec_lo, s2
	ds_bpermute_b32 v5, v0, v12
	s_wait_dscnt 0x0
	v_add_f32_e32 v5, v12, v5
	ds_bpermute_b32 v6, v1, v5
	s_wait_dscnt 0x0
	v_add_f32_e32 v5, v5, v6
	;; [unrolled: 3-line block ×4, first 2 shown]
	ds_bpermute_b32 v6, v4, v5
	s_and_saveexec_b32 s2, vcc_lo
	s_cbranch_execz .LBB262_13
; %bb.12:
	s_mul_i32 s4, s6, 3
	s_mov_b32 s5, 0
	s_wait_dscnt 0x0
	v_dual_add_f32 v5, v5, v6 :: v_dual_mov_b32 v6, 0
	s_wait_alu 0xfffe
	s_lshl_b64 s[4:5], s[4:5], 2
	s_wait_alu 0xfffe
	s_add_nc_u64 s[4:5], s[0:1], s[4:5]
	global_store_b32 v6, v5, s[4:5]
.LBB262_13:
	s_wait_alu 0xfffe
	s_or_b32 exec_lo, exec_lo, s2
	ds_bpermute_b32 v5, v0, v10
	s_wait_dscnt 0x0
	v_add_f32_e32 v5, v10, v5
	ds_bpermute_b32 v6, v1, v5
	s_wait_dscnt 0x0
	v_add_f32_e32 v5, v5, v6
	;; [unrolled: 3-line block ×4, first 2 shown]
	ds_bpermute_b32 v6, v4, v5
	s_and_saveexec_b32 s2, vcc_lo
	s_cbranch_execz .LBB262_15
; %bb.14:
	s_lshl_b32 s4, s6, 2
	s_mov_b32 s5, 0
	s_wait_dscnt 0x0
	v_dual_add_f32 v5, v5, v6 :: v_dual_mov_b32 v6, 0
	s_wait_alu 0xfffe
	s_lshl_b64 s[4:5], s[4:5], 2
	s_wait_alu 0xfffe
	s_add_nc_u64 s[4:5], s[0:1], s[4:5]
	global_store_b32 v6, v5, s[4:5]
.LBB262_15:
	s_wait_alu 0xfffe
	s_or_b32 exec_lo, exec_lo, s2
	ds_bpermute_b32 v5, v0, v8
	s_wait_dscnt 0x0
	v_add_f32_e32 v5, v8, v5
	ds_bpermute_b32 v6, v1, v5
	s_wait_dscnt 0x0
	v_add_f32_e32 v5, v5, v6
	;; [unrolled: 3-line block ×4, first 2 shown]
	ds_bpermute_b32 v6, v4, v5
	s_and_saveexec_b32 s2, vcc_lo
	s_cbranch_execz .LBB262_17
; %bb.16:
	s_mul_i32 s4, s6, 5
	s_mov_b32 s5, 0
	s_wait_dscnt 0x0
	v_dual_add_f32 v5, v5, v6 :: v_dual_mov_b32 v6, 0
	s_wait_alu 0xfffe
	s_lshl_b64 s[4:5], s[4:5], 2
	s_wait_alu 0xfffe
	s_add_nc_u64 s[4:5], s[0:1], s[4:5]
	global_store_b32 v6, v5, s[4:5]
.LBB262_17:
	s_wait_alu 0xfffe
	s_or_b32 exec_lo, exec_lo, s2
	ds_bpermute_b32 v0, v0, v7
	s_wait_dscnt 0x0
	v_add_f32_e32 v0, v7, v0
	ds_bpermute_b32 v1, v1, v0
	s_wait_dscnt 0x0
	v_add_f32_e32 v0, v0, v1
	;; [unrolled: 3-line block ×4, first 2 shown]
	ds_bpermute_b32 v1, v4, v0
	s_and_b32 exec_lo, exec_lo, vcc_lo
	s_cbranch_execz .LBB262_19
; %bb.18:
	s_mul_i32 s2, s6, 6
	s_mov_b32 s3, 0
	s_wait_dscnt 0x0
	v_dual_add_f32 v0, v0, v1 :: v_dual_mov_b32 v1, 0
	s_wait_alu 0xfffe
	s_lshl_b64 s[2:3], s[2:3], 2
	s_wait_alu 0xfffe
	s_add_nc_u64 s[0:1], s[0:1], s[2:3]
	global_store_b32 v1, v0, s[0:1]
.LBB262_19:
	s_endpgm
	.section	.rodata,"a",@progbits
	.p2align	6, 0x0
	.amdhsa_kernel _ZL13mul_mat_vec_qIL9ggml_type21ELi7ELb0ELb0EEvPKvS2_PKi31ggml_cuda_mm_fusion_args_devicePfj15HIP_vector_typeIjLj3EEjjjS8_jjjS8_jjjj
		.amdhsa_group_segment_fixed_size 0
		.amdhsa_private_segment_fixed_size 0
		.amdhsa_kernarg_size 144
		.amdhsa_user_sgpr_count 2
		.amdhsa_user_sgpr_dispatch_ptr 0
		.amdhsa_user_sgpr_queue_ptr 0
		.amdhsa_user_sgpr_kernarg_segment_ptr 1
		.amdhsa_user_sgpr_dispatch_id 0
		.amdhsa_user_sgpr_private_segment_size 0
		.amdhsa_wavefront_size32 1
		.amdhsa_uses_dynamic_stack 0
		.amdhsa_enable_private_segment 0
		.amdhsa_system_sgpr_workgroup_id_x 1
		.amdhsa_system_sgpr_workgroup_id_y 1
		.amdhsa_system_sgpr_workgroup_id_z 1
		.amdhsa_system_sgpr_workgroup_info 0
		.amdhsa_system_vgpr_workitem_id 1
		.amdhsa_next_free_vgpr 50
		.amdhsa_next_free_sgpr 26
		.amdhsa_reserve_vcc 1
		.amdhsa_float_round_mode_32 0
		.amdhsa_float_round_mode_16_64 0
		.amdhsa_float_denorm_mode_32 3
		.amdhsa_float_denorm_mode_16_64 3
		.amdhsa_fp16_overflow 0
		.amdhsa_workgroup_processor_mode 1
		.amdhsa_memory_ordered 1
		.amdhsa_forward_progress 1
		.amdhsa_inst_pref_size 46
		.amdhsa_round_robin_scheduling 0
		.amdhsa_exception_fp_ieee_invalid_op 0
		.amdhsa_exception_fp_denorm_src 0
		.amdhsa_exception_fp_ieee_div_zero 0
		.amdhsa_exception_fp_ieee_overflow 0
		.amdhsa_exception_fp_ieee_underflow 0
		.amdhsa_exception_fp_ieee_inexact 0
		.amdhsa_exception_int_div_zero 0
	.end_amdhsa_kernel
	.section	.text._ZL13mul_mat_vec_qIL9ggml_type21ELi7ELb0ELb0EEvPKvS2_PKi31ggml_cuda_mm_fusion_args_devicePfj15HIP_vector_typeIjLj3EEjjjS8_jjjS8_jjjj,"axG",@progbits,_ZL13mul_mat_vec_qIL9ggml_type21ELi7ELb0ELb0EEvPKvS2_PKi31ggml_cuda_mm_fusion_args_devicePfj15HIP_vector_typeIjLj3EEjjjS8_jjjS8_jjjj,comdat
.Lfunc_end262:
	.size	_ZL13mul_mat_vec_qIL9ggml_type21ELi7ELb0ELb0EEvPKvS2_PKi31ggml_cuda_mm_fusion_args_devicePfj15HIP_vector_typeIjLj3EEjjjS8_jjjS8_jjjj, .Lfunc_end262-_ZL13mul_mat_vec_qIL9ggml_type21ELi7ELb0ELb0EEvPKvS2_PKi31ggml_cuda_mm_fusion_args_devicePfj15HIP_vector_typeIjLj3EEjjjS8_jjjS8_jjjj
                                        ; -- End function
	.set _ZL13mul_mat_vec_qIL9ggml_type21ELi7ELb0ELb0EEvPKvS2_PKi31ggml_cuda_mm_fusion_args_devicePfj15HIP_vector_typeIjLj3EEjjjS8_jjjS8_jjjj.num_vgpr, 50
	.set _ZL13mul_mat_vec_qIL9ggml_type21ELi7ELb0ELb0EEvPKvS2_PKi31ggml_cuda_mm_fusion_args_devicePfj15HIP_vector_typeIjLj3EEjjjS8_jjjS8_jjjj.num_agpr, 0
	.set _ZL13mul_mat_vec_qIL9ggml_type21ELi7ELb0ELb0EEvPKvS2_PKi31ggml_cuda_mm_fusion_args_devicePfj15HIP_vector_typeIjLj3EEjjjS8_jjjS8_jjjj.numbered_sgpr, 26
	.set _ZL13mul_mat_vec_qIL9ggml_type21ELi7ELb0ELb0EEvPKvS2_PKi31ggml_cuda_mm_fusion_args_devicePfj15HIP_vector_typeIjLj3EEjjjS8_jjjS8_jjjj.num_named_barrier, 0
	.set _ZL13mul_mat_vec_qIL9ggml_type21ELi7ELb0ELb0EEvPKvS2_PKi31ggml_cuda_mm_fusion_args_devicePfj15HIP_vector_typeIjLj3EEjjjS8_jjjS8_jjjj.private_seg_size, 0
	.set _ZL13mul_mat_vec_qIL9ggml_type21ELi7ELb0ELb0EEvPKvS2_PKi31ggml_cuda_mm_fusion_args_devicePfj15HIP_vector_typeIjLj3EEjjjS8_jjjS8_jjjj.uses_vcc, 1
	.set _ZL13mul_mat_vec_qIL9ggml_type21ELi7ELb0ELb0EEvPKvS2_PKi31ggml_cuda_mm_fusion_args_devicePfj15HIP_vector_typeIjLj3EEjjjS8_jjjS8_jjjj.uses_flat_scratch, 0
	.set _ZL13mul_mat_vec_qIL9ggml_type21ELi7ELb0ELb0EEvPKvS2_PKi31ggml_cuda_mm_fusion_args_devicePfj15HIP_vector_typeIjLj3EEjjjS8_jjjS8_jjjj.has_dyn_sized_stack, 0
	.set _ZL13mul_mat_vec_qIL9ggml_type21ELi7ELb0ELb0EEvPKvS2_PKi31ggml_cuda_mm_fusion_args_devicePfj15HIP_vector_typeIjLj3EEjjjS8_jjjS8_jjjj.has_recursion, 0
	.set _ZL13mul_mat_vec_qIL9ggml_type21ELi7ELb0ELb0EEvPKvS2_PKi31ggml_cuda_mm_fusion_args_devicePfj15HIP_vector_typeIjLj3EEjjjS8_jjjS8_jjjj.has_indirect_call, 0
	.section	.AMDGPU.csdata,"",@progbits
; Kernel info:
; codeLenInByte = 5844
; TotalNumSgprs: 28
; NumVgprs: 50
; ScratchSize: 0
; MemoryBound: 0
; FloatMode: 240
; IeeeMode: 1
; LDSByteSize: 0 bytes/workgroup (compile time only)
; SGPRBlocks: 0
; VGPRBlocks: 6
; NumSGPRsForWavesPerEU: 28
; NumVGPRsForWavesPerEU: 50
; Occupancy: 16
; WaveLimiterHint : 0
; COMPUTE_PGM_RSRC2:SCRATCH_EN: 0
; COMPUTE_PGM_RSRC2:USER_SGPR: 2
; COMPUTE_PGM_RSRC2:TRAP_HANDLER: 0
; COMPUTE_PGM_RSRC2:TGID_X_EN: 1
; COMPUTE_PGM_RSRC2:TGID_Y_EN: 1
; COMPUTE_PGM_RSRC2:TGID_Z_EN: 1
; COMPUTE_PGM_RSRC2:TIDIG_COMP_CNT: 1
	.section	.text._ZL13mul_mat_vec_qIL9ggml_type21ELi8ELb0ELb0EEvPKvS2_PKi31ggml_cuda_mm_fusion_args_devicePfj15HIP_vector_typeIjLj3EEjjjS8_jjjS8_jjjj,"axG",@progbits,_ZL13mul_mat_vec_qIL9ggml_type21ELi8ELb0ELb0EEvPKvS2_PKi31ggml_cuda_mm_fusion_args_devicePfj15HIP_vector_typeIjLj3EEjjjS8_jjjS8_jjjj,comdat
	.globl	_ZL13mul_mat_vec_qIL9ggml_type21ELi8ELb0ELb0EEvPKvS2_PKi31ggml_cuda_mm_fusion_args_devicePfj15HIP_vector_typeIjLj3EEjjjS8_jjjS8_jjjj ; -- Begin function _ZL13mul_mat_vec_qIL9ggml_type21ELi8ELb0ELb0EEvPKvS2_PKi31ggml_cuda_mm_fusion_args_devicePfj15HIP_vector_typeIjLj3EEjjjS8_jjjS8_jjjj
	.p2align	8
	.type	_ZL13mul_mat_vec_qIL9ggml_type21ELi8ELb0ELb0EEvPKvS2_PKi31ggml_cuda_mm_fusion_args_devicePfj15HIP_vector_typeIjLj3EEjjjS8_jjjS8_jjjj,@function
_ZL13mul_mat_vec_qIL9ggml_type21ELi8ELb0ELb0EEvPKvS2_PKi31ggml_cuda_mm_fusion_args_devicePfj15HIP_vector_typeIjLj3EEjjjS8_jjjS8_jjjj: ; @_ZL13mul_mat_vec_qIL9ggml_type21ELi8ELb0ELb0EEvPKvS2_PKi31ggml_cuda_mm_fusion_args_devicePfj15HIP_vector_typeIjLj3EEjjjS8_jjjS8_jjjj
; %bb.0:
	s_clause 0x5
	s_load_b96 s[16:18], s[0:1], 0x80
	s_load_b32 s3, s[0:1], 0x40
	s_load_b128 s[4:7], s[0:1], 0x50
	s_load_b32 s2, s[0:1], 0x60
	s_load_b128 s[8:11], s[0:1], 0x68
	s_load_b32 s23, s[0:1], 0x78
	v_bfe_u32 v11, v0, 10, 10
	v_dual_mov_b32 v5, 0 :: v_dual_and_b32 v8, 0x3ff, v0
	v_dual_mov_b32 v4, 0 :: v_dual_mov_b32 v7, 0
	v_dual_mov_b32 v6, 0 :: v_dual_mov_b32 v9, 0
	s_delay_alu instid0(VALU_DEP_3)
	v_lshl_or_b32 v0, v11, 5, v8
	v_mov_b32_e32 v10, 0
	v_mov_b32_e32 v12, 0
	v_mov_b32_e32 v14, 0
	s_and_b32 s19, ttmp7, 0xffff
	v_lshrrev_b32_e32 v13, 3, v0
	s_lshr_b32 s20, ttmp7, 16
	s_mov_b32 s21, exec_lo
	s_wait_kmcnt 0x0
	s_lshr_b32 s22, s3, 8
	s_delay_alu instid0(SALU_CYCLE_1)
	v_cmpx_gt_u32_e64 s22, v13
	s_cbranch_execz .LBB263_4
; %bb.1:
	s_mul_hi_u32 s3, s7, s19
	v_lshl_add_u32 v0, v11, 5, v8
	s_add_co_i32 s3, s19, s3
	s_mul_i32 s24, s9, s19
	s_lshr_b32 s7, s3, s2
	s_mov_b32 s3, 0
	v_lshrrev_b32_e32 v0, 3, v0
	s_mov_b32 s25, s3
	s_load_b128 s[12:15], s[0:1], 0x0
	s_mul_u64 s[24:25], s[24:25], 36
	s_mul_i32 s2, s17, s20
	v_mad_co_u64_u32 v[0:1], null, 0x120, v0, s[24:25]
	v_dual_mov_b32 v7, 0 :: v_dual_lshlrev_b32 v4, 1, v8
	v_and_b32_e32 v15, 7, v8
	s_mul_hi_u32 s9, s11, s20
	s_mul_u64 s[26:27], s[2:3], 36
	s_delay_alu instid0(VALU_DEP_2) | instskip(NEXT) | instid1(VALU_DEP_4)
	v_and_b32_e32 v5, 14, v4
	v_mad_co_u64_u32 v[0:1], null, s2, 36, v[0:1]
	v_bfe_u32 v16, v4, 2, 2
	v_mov_b32_e32 v4, 0
	s_add_co_i32 s9, s20, s9
	s_mul_i32 s7, s7, s8
	s_lshr_b32 s9, s9, s23
	v_lshlrev_b32_e32 v6, 1, v5
	s_delay_alu instid0(VALU_DEP_4)
	v_mad_co_u64_u32 v[2:3], null, v15, 36, v[0:1]
	s_mul_i32 s11, s9, s16
	s_wait_kmcnt 0x0
	s_add_nc_u64 s[8:9], s[14:15], s[26:27]
	s_mul_i32 s4, s4, ttmp9
	s_add_nc_u64 s[8:9], s[8:9], s[24:25]
	v_dual_mov_b32 v14, 0 :: v_dual_and_b32 v17, 4, v6
	v_add_co_u32 v2, vcc_lo, s14, v2
	s_delay_alu instid0(VALU_DEP_1) | instskip(SKIP_1) | instid1(VALU_DEP_3)
	v_add_co_ci_u32_e64 v3, null, s15, v3, vcc_lo
	v_mad_co_u64_u32 v[0:1], null, v15, 36, s[8:9]
	v_add_co_u32 v2, vcc_lo, v2, 16
	v_dual_mov_b32 v9, 0 :: v_dual_lshlrev_b32 v18, 3, v13
	s_wait_alu 0xfffd
	v_add_co_ci_u32_e64 v3, null, 0, v3, vcc_lo
	v_dual_mov_b32 v12, 0 :: v_dual_lshlrev_b32 v19, 1, v6
	v_mov_b32_e32 v6, 0
	v_dual_mov_b32 v5, 0 :: v_dual_lshlrev_b32 v20, 1, v5
	v_mov_b32_e32 v10, 0
	s_add_co_i32 s7, s7, s4
	s_mul_i32 s14, s5, 5
	s_add_co_i32 s4, s11, s7
	s_mul_i32 s7, s5, 7
	s_mul_i32 s11, s5, 6
	s_lshl_b32 s15, s5, 2
	s_mul_i32 s16, s5, 3
	s_lshl_b32 s17, s5, 1
.LBB263_2:                              ; =>This Inner Loop Header: Depth=1
	v_add_nc_u32_e32 v21, s4, v13
	s_getpc_b64 s[8:9]
	s_wait_alu 0xfffe
	s_sext_i32_i16 s9, s9
	s_add_co_u32 s8, s8, _ZL9iq3s_grid@rel32@lo+12
	s_wait_alu 0xfffe
	s_add_co_ci_u32 s9, s9, _ZL9iq3s_grid@rel32@hi+24
	v_add_nc_u32_e32 v13, 4, v13
	v_mad_co_i64_i32 v[31:32], null, 0x6e, v21, s[12:13]
	s_delay_alu instid0(VALU_DEP_1) | instskip(SKIP_1) | instid1(VALU_DEP_2)
	v_add_co_u32 v21, vcc_lo, v31, v19
	s_wait_alu 0xfffd
	v_add_co_ci_u32_e64 v22, null, 0, v32, vcc_lo
	global_load_b64 v[26:27], v[21:22], off offset:2
	v_add_co_u32 v21, vcc_lo, v31, v15
	s_wait_alu 0xfffd
	v_add_co_ci_u32_e64 v22, null, 0, v32, vcc_lo
	global_load_u8 v28, v[21:22], off offset:66
	v_add_co_u32 v21, vcc_lo, v31, v20
	s_wait_alu 0xfffd
	v_add_co_ci_u32_e64 v22, null, 0, v32, vcc_lo
	global_load_b32 v29, v[21:22], off offset:74
	s_wait_loadcnt 0x2
	v_and_b32_e32 v21, 0xff, v26
	s_wait_loadcnt 0x1
	v_lshlrev_b32_e32 v22, 8, v28
	v_lshlrev_b32_e32 v23, 7, v28
	s_delay_alu instid0(VALU_DEP_2)
	v_and_or_b32 v21, 0x100, v22, v21
	v_bfe_u32 v22, v26, 8, 8
	s_wait_loadcnt 0x0
	v_lshlrev_b32_e32 v24, 21, v29
	v_lshrrev_b32_e32 v25, 16, v29
	v_lshlrev_b32_e32 v21, 2, v21
	v_and_or_b32 v22, 0x100, v23, v22
	v_and_b32_e32 v23, 0xff, v29
	global_load_b32 v21, v21, s[8:9]
	v_lshlrev_b32_e32 v22, 2, v22
	v_lshl_or_b32 v24, v23, 7, v24
	global_load_b32 v22, v22, s[8:9]
	v_and_b32_e32 v30, 0x1800180, v24
	v_bfe_u32 v24, v24, 24, 1
	s_delay_alu instid0(VALU_DEP_2) | instskip(NEXT) | instid1(VALU_DEP_2)
	v_lshrrev_b16 v33, 8, v30
	v_cmp_ne_u16_e32 vcc_lo, 0, v24
	v_lshrrev_b16 v24, 7, v30
	v_lshrrev_b32_e32 v30, 2, v29
	s_delay_alu instid0(VALU_DEP_4)
	v_cmp_ne_u16_e64 s2, 0, v33
	s_wait_alu 0xfffd
	v_cndmask_b32_e64 v35, 0, -1, vcc_lo
	v_bfe_i32 v24, v24, 0, 1
	v_bfe_i32 v30, v30, 0, 1
	s_wait_alu 0xf1ff
	v_cndmask_b32_e64 v34, 0, -1, s2
	v_lshlrev_b16 v35, 8, v35
	v_and_b32_e32 v33, 0xff, v24
	v_and_b32_e32 v36, 0xff, v30
	v_lshlrev_b16 v24, 8, v24
	v_lshlrev_b16 v34, 8, v34
	;; [unrolled: 1-line block ×3, first 2 shown]
	s_delay_alu instid0(VALU_DEP_4) | instskip(NEXT) | instid1(VALU_DEP_3)
	v_or_b32_e32 v36, v36, v35
	v_or_b32_e32 v33, v33, v34
	s_delay_alu instid0(VALU_DEP_2) | instskip(NEXT) | instid1(VALU_DEP_2)
	v_lshlrev_b32_e32 v36, 16, v36
	v_and_b32_e32 v33, 0xffff, v33
	s_delay_alu instid0(VALU_DEP_1) | instskip(SKIP_1) | instid1(VALU_DEP_1)
	v_or_b32_e32 v33, v33, v36
	v_lshlrev_b32_e32 v36, 17, v29
	v_lshl_or_b32 v23, v23, 3, v36
	s_delay_alu instid0(VALU_DEP_1) | instskip(SKIP_1) | instid1(VALU_DEP_2)
	v_and_b32_e32 v36, 0x1800180, v23
	v_bfe_u32 v23, v23, 24, 1
	v_lshrrev_b16 v37, 8, v36
	s_delay_alu instid0(VALU_DEP_2) | instskip(SKIP_2) | instid1(VALU_DEP_4)
	v_cmp_ne_u16_e32 vcc_lo, 0, v23
	v_lshrrev_b16 v23, 7, v36
	v_lshrrev_b32_e32 v36, 6, v29
	v_cmp_ne_u16_e64 s2, 0, v37
	s_wait_alu 0xfffd
	v_cndmask_b32_e64 v39, 0, -1, vcc_lo
	v_bfe_i32 v23, v23, 0, 1
	v_bfe_i32 v36, v36, 0, 1
	s_wait_alu 0xf1ff
	v_cndmask_b32_e64 v38, 0, -1, s2
	v_lshlrev_b16 v39, 8, v39
	v_and_b32_e32 v37, 0xff, v23
	v_and_b32_e32 v40, 0xff, v36
	v_lshlrev_b16 v23, 8, v23
	v_lshlrev_b16 v38, 8, v38
	s_delay_alu instid0(VALU_DEP_3) | instskip(NEXT) | instid1(VALU_DEP_2)
	v_or_b32_e32 v40, v40, v39
	v_or_b32_e32 v37, v37, v38
	s_delay_alu instid0(VALU_DEP_2) | instskip(NEXT) | instid1(VALU_DEP_2)
	v_lshlrev_b32_e32 v40, 16, v40
	v_and_b32_e32 v37, 0xffff, v37
	s_delay_alu instid0(VALU_DEP_1) | instskip(SKIP_2) | instid1(VALU_DEP_1)
	v_or_b32_e32 v37, v37, v40
	s_wait_loadcnt 0x1
	v_xor_b32_e32 v21, v21, v33
	v_lshrrev_b32_e32 v33, 16, v21
	v_and_b32_e32 v40, 0xffffff00, v21
	v_lshlrev_b16 v21, 8, v21
	s_wait_loadcnt 0x0
	v_xor_b32_e32 v22, v22, v37
	s_delay_alu instid0(VALU_DEP_3) | instskip(NEXT) | instid1(VALU_DEP_3)
	v_sub_nc_i16 v34, v40, v34 clamp
	v_sub_nc_i16 v21, v21, v24 clamp
	v_and_b32_e32 v24, 0xffffff00, v33
	v_lshlrev_b16 v33, 8, v33
	s_delay_alu instid0(VALU_DEP_3) | instskip(NEXT) | instid1(VALU_DEP_3)
	v_perm_b32 v21, v21, v34, 0xc0c0105
	v_sub_nc_i16 v24, v24, v35 clamp
	s_delay_alu instid0(VALU_DEP_3) | instskip(SKIP_2) | instid1(VALU_DEP_3)
	v_sub_nc_i16 v30, v33, v30 clamp
	v_lshrrev_b32_e32 v33, 11, v29
	v_lshrrev_b32_e32 v34, 10, v29
	v_perm_b32 v24, v30, v24, 0xc0c0105
	v_and_b32_e32 v30, 0xffffff00, v22
	s_delay_alu instid0(VALU_DEP_4) | instskip(NEXT) | instid1(VALU_DEP_4)
	v_bfe_i32 v33, v33, 0, 1
	v_bfe_i32 v34, v34, 0, 1
	s_delay_alu instid0(VALU_DEP_4)
	v_lshl_or_b32 v21, v24, 16, v21
	v_lshrrev_b32_e32 v24, 16, v22
	v_lshlrev_b16 v22, 8, v22
	v_sub_nc_i16 v30, v30, v38 clamp
	v_lshlrev_b16 v33, 8, v33
	v_lshrrev_b32_e32 v38, 15, v29
	s_delay_alu instid0(VALU_DEP_4) | instskip(SKIP_2) | instid1(VALU_DEP_4)
	v_sub_nc_i16 v22, v22, v23 clamp
	v_and_b32_e32 v23, 0xffffff00, v24
	v_lshlrev_b16 v24, 8, v24
	v_bfe_i32 v38, v38, 0, 1
	s_delay_alu instid0(VALU_DEP_4)
	v_perm_b32 v22, v22, v30, 0xc0c0105
	v_lshlrev_b16 v30, 8, v36
	v_sub_nc_i16 v23, v23, v39 clamp
	v_and_b32_e32 v36, 0xff, v34
	v_lshrrev_b32_e32 v39, 14, v29
	v_lshlrev_b16 v38, 8, v38
	v_sub_nc_i16 v24, v24, v30 clamp
	s_delay_alu instid0(VALU_DEP_4) | instskip(NEXT) | instid1(VALU_DEP_4)
	v_or_b32_e32 v36, v36, v33
	v_bfe_i32 v39, v39, 0, 1
	s_delay_alu instid0(VALU_DEP_3) | instskip(SKIP_1) | instid1(VALU_DEP_4)
	v_perm_b32 v23, v24, v23, 0xc0c0105
	v_lshlrev_b32_e32 v24, 6, v28
	v_lshlrev_b32_e32 v36, 16, v36
	s_delay_alu instid0(VALU_DEP_4) | instskip(NEXT) | instid1(VALU_DEP_4)
	v_and_b32_e32 v41, 0xff, v39
	v_lshl_or_b32 v22, v23, 16, v22
	v_bfe_u32 v23, v26, 16, 8
	s_delay_alu instid0(VALU_DEP_3) | instskip(NEXT) | instid1(VALU_DEP_2)
	v_or_b32_e32 v41, v41, v38
	v_and_or_b32 v23, 0x100, v24, v23
	v_lshrrev_b32_e32 v24, 24, v26
	v_lshlrev_b32_e32 v26, 5, v28
	s_delay_alu instid0(VALU_DEP_4) | instskip(NEXT) | instid1(VALU_DEP_4)
	v_lshlrev_b32_e32 v41, 16, v41
	v_lshlrev_b32_e32 v23, 2, v23
	s_delay_alu instid0(VALU_DEP_3)
	v_and_or_b32 v24, 0x100, v26, v24
	v_lshrrev_b32_e32 v26, 1, v29
	global_load_b32 v23, v23, s[8:9]
	v_lshlrev_b32_e32 v24, 2, v24
	v_and_b32_e32 v26, 0x180, v26
	global_load_b32 v24, v24, s[8:9]
	v_lshrrev_b16 v30, 8, v26
	v_lshrrev_b16 v26, 7, v26
	s_delay_alu instid0(VALU_DEP_2) | instskip(NEXT) | instid1(VALU_DEP_2)
	v_cmp_ne_u16_e32 vcc_lo, 0, v30
	v_bfe_i32 v26, v26, 0, 1
	s_wait_alu 0xfffd
	v_cndmask_b32_e64 v35, 0, -1, vcc_lo
	s_delay_alu instid0(VALU_DEP_2) | instskip(SKIP_1) | instid1(VALU_DEP_3)
	v_and_b32_e32 v30, 0xff, v26
	v_lshlrev_b16 v26, 8, v26
	v_lshlrev_b16 v35, 8, v35
	s_delay_alu instid0(VALU_DEP_1) | instskip(NEXT) | instid1(VALU_DEP_1)
	v_or_b32_e32 v30, v30, v35
	v_and_b32_e32 v30, 0xffff, v30
	s_delay_alu instid0(VALU_DEP_1) | instskip(SKIP_1) | instid1(VALU_DEP_1)
	v_or_b32_e32 v30, v30, v36
	v_lshrrev_b32_e32 v36, 5, v29
	v_and_b32_e32 v36, 0x180, v36
	s_delay_alu instid0(VALU_DEP_1) | instskip(SKIP_1) | instid1(VALU_DEP_2)
	v_lshrrev_b16 v37, 8, v36
	v_lshrrev_b16 v36, 7, v36
	v_cmp_ne_u16_e32 vcc_lo, 0, v37
	s_delay_alu instid0(VALU_DEP_2) | instskip(SKIP_2) | instid1(VALU_DEP_2)
	v_bfe_i32 v36, v36, 0, 1
	s_wait_alu 0xfffd
	v_cndmask_b32_e64 v40, 0, -1, vcc_lo
	v_and_b32_e32 v37, 0xff, v36
	s_delay_alu instid0(VALU_DEP_2) | instskip(NEXT) | instid1(VALU_DEP_1)
	v_lshlrev_b16 v40, 8, v40
	v_or_b32_e32 v37, v37, v40
	s_delay_alu instid0(VALU_DEP_1) | instskip(NEXT) | instid1(VALU_DEP_1)
	v_and_b32_e32 v37, 0xffff, v37
	v_or_b32_e32 v37, v37, v41
	s_wait_loadcnt 0x1
	v_xor_b32_e32 v23, v23, v30
	s_delay_alu instid0(VALU_DEP_1) | instskip(SKIP_4) | instid1(VALU_DEP_3)
	v_lshrrev_b32_e32 v30, 16, v23
	v_and_b32_e32 v41, 0xffffff00, v23
	v_lshlrev_b16 v23, 8, v23
	s_wait_loadcnt 0x0
	v_xor_b32_e32 v24, v24, v37
	v_sub_nc_i16 v35, v41, v35 clamp
	s_delay_alu instid0(VALU_DEP_3) | instskip(SKIP_2) | instid1(VALU_DEP_3)
	v_sub_nc_i16 v23, v23, v26 clamp
	v_and_b32_e32 v26, 0xffffff00, v30
	v_lshlrev_b16 v30, 8, v30
	v_perm_b32 v23, v23, v35, 0xc0c0105
	s_delay_alu instid0(VALU_DEP_3) | instskip(SKIP_1) | instid1(VALU_DEP_1)
	v_sub_nc_i16 v26, v26, v33 clamp
	v_lshlrev_b16 v33, 8, v34
	v_sub_nc_i16 v30, v30, v33 clamp
	v_lshlrev_b16 v33, 8, v36
	s_delay_alu instid0(VALU_DEP_2) | instskip(SKIP_1) | instid1(VALU_DEP_2)
	v_perm_b32 v26, v30, v26, 0xc0c0105
	v_and_b32_e32 v30, 0xffffff00, v24
	v_lshl_or_b32 v23, v26, 16, v23
	v_lshrrev_b32_e32 v26, 16, v24
	v_lshlrev_b16 v24, 8, v24
	s_delay_alu instid0(VALU_DEP_4) | instskip(NEXT) | instid1(VALU_DEP_2)
	v_sub_nc_i16 v30, v30, v40 clamp
	v_sub_nc_i16 v24, v24, v33 clamp
	v_lshlrev_b16 v33, 8, v39
	s_delay_alu instid0(VALU_DEP_2) | instskip(SKIP_2) | instid1(VALU_DEP_2)
	v_perm_b32 v24, v24, v30, 0xc0c0105
	v_and_b32_e32 v30, 0xffffff00, v26
	v_lshlrev_b16 v26, 8, v26
	v_sub_nc_i16 v30, v30, v38 clamp
	s_delay_alu instid0(VALU_DEP_2) | instskip(SKIP_1) | instid1(VALU_DEP_2)
	v_sub_nc_i16 v26, v26, v33 clamp
	v_lshlrev_b32_e32 v33, 3, v28
	v_perm_b32 v26, v26, v30, 0xc0c0105
	v_lshlrev_b32_e32 v30, 4, v28
	s_delay_alu instid0(VALU_DEP_2) | instskip(SKIP_1) | instid1(VALU_DEP_1)
	v_lshl_or_b32 v24, v26, 16, v24
	v_and_b32_e32 v26, 0xff, v27
	v_and_or_b32 v26, 0x100, v30, v26
	v_bfe_u32 v30, v27, 8, 8
	s_delay_alu instid0(VALU_DEP_2) | instskip(NEXT) | instid1(VALU_DEP_2)
	v_lshlrev_b32_e32 v26, 2, v26
	v_and_or_b32 v30, 0x100, v33, v30
	v_lshrrev_b32_e32 v33, 9, v29
	global_load_b32 v26, v26, s[8:9]
	v_lshlrev_b32_e32 v30, 2, v30
	v_lshl_or_b32 v33, v25, 21, v33
	global_load_b32 v30, v30, s[8:9]
	v_and_b32_e32 v34, 0x1800180, v33
	v_bfe_u32 v33, v33, 24, 1
	s_delay_alu instid0(VALU_DEP_2) | instskip(NEXT) | instid1(VALU_DEP_2)
	v_lshrrev_b16 v35, 8, v34
	v_cmp_ne_u16_e32 vcc_lo, 0, v33
	v_lshrrev_b16 v33, 7, v34
	v_lshrrev_b32_e32 v34, 18, v29
	s_delay_alu instid0(VALU_DEP_4)
	v_cmp_ne_u16_e64 s2, 0, v35
	s_wait_alu 0xfffd
	v_cndmask_b32_e64 v37, 0, -1, vcc_lo
	v_bfe_i32 v33, v33, 0, 1
	v_bfe_i32 v34, v34, 0, 1
	s_wait_alu 0xf1ff
	v_cndmask_b32_e64 v36, 0, -1, s2
	v_lshlrev_b16 v37, 8, v37
	v_and_b32_e32 v35, 0xff, v33
	v_and_b32_e32 v38, 0xff, v34
	v_lshlrev_b16 v33, 8, v33
	v_lshlrev_b16 v36, 8, v36
	;; [unrolled: 1-line block ×3, first 2 shown]
	s_delay_alu instid0(VALU_DEP_4) | instskip(NEXT) | instid1(VALU_DEP_3)
	v_or_b32_e32 v38, v38, v37
	v_or_b32_e32 v35, v35, v36
	s_delay_alu instid0(VALU_DEP_2) | instskip(NEXT) | instid1(VALU_DEP_2)
	v_lshlrev_b32_e32 v38, 16, v38
	v_and_b32_e32 v35, 0xffff, v35
	s_delay_alu instid0(VALU_DEP_1) | instskip(SKIP_1) | instid1(VALU_DEP_1)
	v_or_b32_e32 v35, v35, v38
	v_lshrrev_b32_e32 v38, 13, v29
	v_lshl_or_b32 v25, v25, 17, v38
	s_delay_alu instid0(VALU_DEP_1) | instskip(SKIP_1) | instid1(VALU_DEP_2)
	v_and_b32_e32 v38, 0x1800180, v25
	v_bfe_u32 v25, v25, 24, 1
	v_lshrrev_b16 v39, 8, v38
	s_delay_alu instid0(VALU_DEP_2) | instskip(SKIP_2) | instid1(VALU_DEP_4)
	v_cmp_ne_u16_e32 vcc_lo, 0, v25
	v_lshrrev_b16 v25, 7, v38
	v_lshrrev_b32_e32 v38, 22, v29
	v_cmp_ne_u16_e64 s2, 0, v39
	s_wait_alu 0xfffd
	v_cndmask_b32_e64 v41, 0, -1, vcc_lo
	v_bfe_i32 v39, v25, 0, 1
	v_bfe_i32 v38, v38, 0, 1
	s_wait_alu 0xf1ff
	v_cndmask_b32_e64 v40, 0, -1, s2
	v_lshlrev_b16 v41, 8, v41
	v_and_b32_e32 v25, 0xff, v39
	v_and_b32_e32 v42, 0xff, v38
	s_delay_alu instid0(VALU_DEP_4) | instskip(NEXT) | instid1(VALU_DEP_2)
	v_lshlrev_b16 v40, 8, v40
	v_or_b32_e32 v42, v42, v41
	s_delay_alu instid0(VALU_DEP_2) | instskip(NEXT) | instid1(VALU_DEP_2)
	v_or_b32_e32 v25, v25, v40
	v_lshlrev_b32_e32 v42, 16, v42
	s_delay_alu instid0(VALU_DEP_2) | instskip(NEXT) | instid1(VALU_DEP_1)
	v_and_b32_e32 v25, 0xffff, v25
	v_or_b32_e32 v42, v25, v42
	s_wait_loadcnt 0x1
	v_xor_b32_e32 v25, v26, v35
	s_delay_alu instid0(VALU_DEP_1) | instskip(SKIP_2) | instid1(VALU_DEP_2)
	v_lshrrev_b32_e32 v26, 16, v25
	v_and_b32_e32 v35, 0xffffff00, v25
	v_lshlrev_b16 v25, 8, v25
	v_sub_nc_i16 v35, v35, v36 clamp
	s_delay_alu instid0(VALU_DEP_2) | instskip(SKIP_2) | instid1(VALU_DEP_3)
	v_sub_nc_i16 v25, v25, v33 clamp
	v_and_b32_e32 v33, 0xffffff00, v26
	v_lshlrev_b16 v26, 8, v26
	v_perm_b32 v25, v25, v35, 0xc0c0105
	s_delay_alu instid0(VALU_DEP_3) | instskip(NEXT) | instid1(VALU_DEP_3)
	v_sub_nc_i16 v33, v33, v37 clamp
	v_sub_nc_i16 v26, v26, v34 clamp
	v_lshlrev_b16 v34, 8, v39
	v_lshrrev_b32_e32 v39, 31, v29
	s_delay_alu instid0(VALU_DEP_3) | instskip(NEXT) | instid1(VALU_DEP_1)
	v_perm_b32 v26, v26, v33, 0xc0c0105
	v_lshl_or_b32 v25, v26, 16, v25
	s_wait_loadcnt 0x0
	v_xor_b32_e32 v26, v30, v42
	s_delay_alu instid0(VALU_DEP_1) | instskip(SKIP_2) | instid1(VALU_DEP_2)
	v_lshrrev_b32_e32 v30, 16, v26
	v_and_b32_e32 v33, 0xffffff00, v26
	v_lshlrev_b16 v26, 8, v26
	v_sub_nc_i16 v33, v33, v40 clamp
	s_delay_alu instid0(VALU_DEP_2) | instskip(SKIP_1) | instid1(VALU_DEP_2)
	v_sub_nc_i16 v26, v26, v34 clamp
	v_lshlrev_b16 v34, 8, v38
	v_perm_b32 v26, v26, v33, 0xc0c0105
	v_and_b32_e32 v33, 0xffffff00, v30
	v_lshlrev_b16 v30, 8, v30
	s_delay_alu instid0(VALU_DEP_2) | instskip(NEXT) | instid1(VALU_DEP_2)
	v_sub_nc_i16 v33, v33, v41 clamp
	v_sub_nc_i16 v30, v30, v34 clamp
	s_delay_alu instid0(VALU_DEP_1) | instskip(SKIP_2) | instid1(VALU_DEP_3)
	v_perm_b32 v30, v30, v33, 0xc0c0105
	v_lshlrev_b32_e32 v33, 2, v28
	v_lshlrev_b32_e32 v28, 1, v28
	v_lshl_or_b32 v26, v30, 16, v26
	v_bfe_u32 v30, v27, 16, 8
	v_lshrrev_b32_e32 v27, 24, v27
	s_delay_alu instid0(VALU_DEP_2) | instskip(NEXT) | instid1(VALU_DEP_2)
	v_and_or_b32 v30, 0x100, v33, v30
	v_and_or_b32 v27, 0x100, v28, v27
	v_lshrrev_b32_e32 v28, 17, v29
	v_lshrrev_b32_e32 v33, 3, v29
	s_delay_alu instid0(VALU_DEP_4) | instskip(NEXT) | instid1(VALU_DEP_4)
	v_lshlrev_b32_e32 v30, 2, v30
	v_lshlrev_b32_e32 v27, 2, v27
	s_delay_alu instid0(VALU_DEP_4) | instskip(NEXT) | instid1(VALU_DEP_4)
	v_and_b32_e32 v28, 0x180, v28
	v_bfe_u32 v33, v33, 24, 1
	s_clause 0x1
	global_load_b32 v30, v30, s[8:9]
	global_load_b32 v27, v27, s[8:9]
	v_lshrrev_b16 v34, 8, v28
	v_cmp_ne_u16_e32 vcc_lo, 0, v33
	v_lshrrev_b32_e32 v33, 26, v29
	v_lshrrev_b16 v28, 7, v28
	s_delay_alu instid0(VALU_DEP_4)
	v_cmp_ne_u16_e64 s2, 0, v34
	s_wait_alu 0xfffd
	v_cndmask_b32_e64 v37, 0, -1, vcc_lo
	v_bfe_i32 v33, v33, 0, 1
	v_bfe_i32 v28, v28, 0, 1
	v_cmp_ne_u16_e32 vcc_lo, 0, v39
	s_wait_alu 0xf1ff
	v_cndmask_b32_e64 v35, 0, -1, s2
	v_lshlrev_b16 v37, 8, v37
	v_and_b32_e32 v36, 0xff, v33
	v_and_b32_e32 v34, 0xff, v28
	s_wait_alu 0xfffd
	v_cndmask_b32_e64 v41, 0, -1, vcc_lo
	v_lshlrev_b16 v35, 8, v35
	v_lshlrev_b16 v28, 8, v28
	v_or_b32_e32 v36, v36, v37
	v_lshlrev_b16 v33, 8, v33
	v_lshlrev_b16 v41, 8, v41
	v_or_b32_e32 v34, v34, v35
	s_delay_alu instid0(VALU_DEP_4) | instskip(NEXT) | instid1(VALU_DEP_2)
	v_lshlrev_b32_e32 v36, 16, v36
	v_and_b32_e32 v34, 0xffff, v34
	s_delay_alu instid0(VALU_DEP_1) | instskip(SKIP_2) | instid1(VALU_DEP_2)
	v_or_b32_e32 v34, v34, v36
	v_lshrrev_b32_e32 v36, 21, v29
	v_lshrrev_b32_e32 v29, 30, v29
	v_lshrrev_b16 v38, 8, v36
	v_lshrrev_b16 v36, 7, v36
	s_delay_alu instid0(VALU_DEP_3) | instskip(NEXT) | instid1(VALU_DEP_3)
	v_bfe_i32 v29, v29, 0, 1
	v_bfe_i32 v38, v38, 0, 1
	s_delay_alu instid0(VALU_DEP_3) | instskip(NEXT) | instid1(VALU_DEP_3)
	v_bfe_i32 v36, v36, 0, 1
	v_and_b32_e32 v40, 0xff, v29
	v_lshlrev_b16 v29, 8, v29
	s_delay_alu instid0(VALU_DEP_4) | instskip(NEXT) | instid1(VALU_DEP_4)
	v_lshlrev_b16 v38, 8, v38
	v_and_b32_e32 v39, 0xff, v36
	s_delay_alu instid0(VALU_DEP_4) | instskip(NEXT) | instid1(VALU_DEP_2)
	v_or_b32_e32 v40, v40, v41
	v_or_b32_e32 v39, v39, v38
	s_delay_alu instid0(VALU_DEP_2) | instskip(NEXT) | instid1(VALU_DEP_2)
	v_lshlrev_b32_e32 v40, 16, v40
	v_and_b32_e32 v39, 0xffff, v39
	s_delay_alu instid0(VALU_DEP_1) | instskip(SKIP_3) | instid1(VALU_DEP_2)
	v_or_b32_e32 v39, v39, v40
	s_wait_loadcnt 0x1
	v_xor_b32_e32 v30, v30, v34
	s_wait_loadcnt 0x0
	v_xor_b32_e32 v27, v27, v39
	s_delay_alu instid0(VALU_DEP_2) | instskip(SKIP_2) | instid1(VALU_DEP_2)
	v_lshrrev_b32_e32 v34, 16, v30
	v_and_b32_e32 v40, 0xffffff00, v30
	v_lshlrev_b16 v30, 8, v30
	v_sub_nc_i16 v35, v40, v35 clamp
	s_delay_alu instid0(VALU_DEP_2) | instskip(SKIP_2) | instid1(VALU_DEP_3)
	v_sub_nc_i16 v28, v30, v28 clamp
	v_and_b32_e32 v30, 0xffffff00, v34
	v_lshlrev_b16 v34, 8, v34
	v_perm_b32 v28, v28, v35, 0xc0c0105
	s_delay_alu instid0(VALU_DEP_3) | instskip(NEXT) | instid1(VALU_DEP_3)
	v_sub_nc_i16 v30, v30, v37 clamp
	v_sub_nc_i16 v33, v34, v33 clamp
	v_lshlrev_b16 v34, 8, v36
	s_delay_alu instid0(VALU_DEP_2) | instskip(SKIP_1) | instid1(VALU_DEP_2)
	v_perm_b32 v30, v33, v30, 0xc0c0105
	v_and_b32_e32 v33, 0xffffff00, v27
	v_lshl_or_b32 v28, v30, 16, v28
	v_lshrrev_b32_e32 v30, 16, v27
	v_lshlrev_b16 v27, 8, v27
	s_delay_alu instid0(VALU_DEP_4) | instskip(NEXT) | instid1(VALU_DEP_2)
	v_sub_nc_i16 v33, v33, v38 clamp
	v_sub_nc_i16 v27, v27, v34 clamp
	s_delay_alu instid0(VALU_DEP_1) | instskip(SKIP_2) | instid1(VALU_DEP_2)
	v_perm_b32 v27, v27, v33, 0xc0c0105
	v_and_b32_e32 v33, 0xffffff00, v30
	v_lshlrev_b16 v30, 8, v30
	v_sub_nc_i16 v33, v33, v41 clamp
	s_delay_alu instid0(VALU_DEP_2) | instskip(NEXT) | instid1(VALU_DEP_1)
	v_sub_nc_i16 v29, v30, v29 clamp
	v_perm_b32 v29, v29, v33, 0xc0c0105
	v_add_co_u32 v33, vcc_lo, v31, v16
	s_wait_alu 0xfffd
	v_add_co_ci_u32_e64 v34, null, 0, v32, vcc_lo
	s_delay_alu instid0(VALU_DEP_3) | instskip(SKIP_3) | instid1(VALU_DEP_1)
	v_lshl_or_b32 v29, v29, 16, v27
	global_load_u8 v27, v[33:34], off offset:106
	s_wait_loadcnt 0x0
	v_lshrrev_b32_e32 v27, v17, v27
	v_lshlrev_b32_e32 v27, 1, v27
	s_delay_alu instid0(VALU_DEP_1)
	v_and_or_b32 v30, v27, 30, 1
	global_load_u16 v27, v[31:32], off
	s_clause 0x2
	global_load_b128 v[31:34], v[2:3], off offset:-16
	global_load_b32 v39, v[2:3], off offset:16
	global_load_b128 v[35:38], v[2:3], off
	v_add_co_u32 v2, vcc_lo, 0x480, v2
	s_wait_alu 0xfffd
	v_add_co_ci_u32_e64 v3, null, 0, v3, vcc_lo
	v_cmp_le_u32_e32 vcc_lo, s22, v13
	s_or_b32 s3, vcc_lo, s3
	s_wait_loadcnt 0x2
	v_dot4_i32_iu8 v32, v21, v32, 0 neg_lo:[1,1,0]
	v_cvt_f32_f16_e32 v27, v27
	v_cvt_f32_f16_e32 v31, v31
	s_delay_alu instid0(VALU_DEP_3) | instskip(NEXT) | instid1(VALU_DEP_2)
	v_dot4_i32_iu8 v32, v22, v33, v32 neg_lo:[1,1,0]
	v_mul_f32_e32 v31, v27, v31
	s_delay_alu instid0(VALU_DEP_2) | instskip(SKIP_1) | instid1(VALU_DEP_1)
	v_dot4_i32_iu8 v32, v23, v34, v32 neg_lo:[1,1,0]
	s_wait_loadcnt 0x0
	v_dot4_i32_iu8 v32, v24, v35, v32 neg_lo:[1,1,0]
	s_delay_alu instid0(VALU_DEP_1) | instskip(NEXT) | instid1(VALU_DEP_1)
	v_dot4_i32_iu8 v32, v25, v36, v32 neg_lo:[1,1,0]
	v_dot4_i32_iu8 v32, v26, v37, v32 neg_lo:[1,1,0]
	s_delay_alu instid0(VALU_DEP_1) | instskip(NEXT) | instid1(VALU_DEP_1)
	v_dot4_i32_iu8 v32, v28, v38, v32 neg_lo:[1,1,0]
	v_dot4_i32_iu8 v42, v29, v39, v32 neg_lo:[1,1,0]
	v_add_nc_u32_e32 v32, s5, v18
	s_delay_alu instid0(VALU_DEP_1)
	v_mad_co_u64_u32 v[36:37], null, v32, 36, v[0:1]
	s_clause 0x2
	global_load_b128 v[32:35], v[36:37], off
	global_load_b32 v40, v[36:37], off offset:32
	global_load_b128 v[36:39], v[36:37], off offset:16
	s_wait_loadcnt 0x2
	v_dot4_i32_iu8 v33, v21, v33, 0 neg_lo:[1,1,0]
	v_cvt_f32_f16_e32 v32, v32
	s_delay_alu instid0(VALU_DEP_2) | instskip(NEXT) | instid1(VALU_DEP_2)
	v_dot4_i32_iu8 v33, v22, v34, v33 neg_lo:[1,1,0]
	v_mul_f32_e32 v32, v27, v32
	s_delay_alu instid0(VALU_DEP_2) | instskip(SKIP_1) | instid1(VALU_DEP_1)
	v_dot4_i32_iu8 v33, v23, v35, v33 neg_lo:[1,1,0]
	s_wait_loadcnt 0x0
	v_dot4_i32_iu8 v33, v24, v36, v33 neg_lo:[1,1,0]
	s_delay_alu instid0(VALU_DEP_1) | instskip(NEXT) | instid1(VALU_DEP_1)
	v_dot4_i32_iu8 v33, v25, v37, v33 neg_lo:[1,1,0]
	v_dot4_i32_iu8 v33, v26, v38, v33 neg_lo:[1,1,0]
	s_delay_alu instid0(VALU_DEP_1) | instskip(NEXT) | instid1(VALU_DEP_1)
	v_dot4_i32_iu8 v33, v28, v39, v33 neg_lo:[1,1,0]
	v_dot4_i32_iu8 v43, v29, v40, v33 neg_lo:[1,1,0]
	v_add_nc_u32_e32 v33, s17, v18
	s_delay_alu instid0(VALU_DEP_1)
	v_mad_co_u64_u32 v[37:38], null, v33, 36, v[0:1]
	s_clause 0x2
	global_load_b128 v[33:36], v[37:38], off
	global_load_b32 v41, v[37:38], off offset:32
	global_load_b128 v[37:40], v[37:38], off offset:16
	s_wait_loadcnt 0x2
	v_dot4_i32_iu8 v34, v21, v34, 0 neg_lo:[1,1,0]
	v_cvt_f32_f16_e32 v33, v33
	s_delay_alu instid0(VALU_DEP_2) | instskip(NEXT) | instid1(VALU_DEP_2)
	v_dot4_i32_iu8 v34, v22, v35, v34 neg_lo:[1,1,0]
	v_mul_f32_e32 v33, v27, v33
	s_delay_alu instid0(VALU_DEP_2) | instskip(SKIP_1) | instid1(VALU_DEP_1)
	v_dot4_i32_iu8 v34, v23, v36, v34 neg_lo:[1,1,0]
	s_wait_loadcnt 0x0
	v_dot4_i32_iu8 v34, v24, v37, v34 neg_lo:[1,1,0]
	s_delay_alu instid0(VALU_DEP_1) | instskip(NEXT) | instid1(VALU_DEP_1)
	v_dot4_i32_iu8 v34, v25, v38, v34 neg_lo:[1,1,0]
	v_dot4_i32_iu8 v34, v26, v39, v34 neg_lo:[1,1,0]
	s_delay_alu instid0(VALU_DEP_1) | instskip(NEXT) | instid1(VALU_DEP_1)
	v_dot4_i32_iu8 v34, v28, v40, v34 neg_lo:[1,1,0]
	v_dot4_i32_iu8 v44, v29, v41, v34 neg_lo:[1,1,0]
	v_add_nc_u32_e32 v34, s16, v18
	s_delay_alu instid0(VALU_DEP_1)
	v_mad_co_u64_u32 v[38:39], null, v34, 36, v[0:1]
	s_clause 0x2
	global_load_b128 v[34:37], v[38:39], off
	global_load_b32 v45, v[38:39], off offset:32
	global_load_b128 v[38:41], v[38:39], off offset:16
	s_wait_loadcnt 0x2
	v_dot4_i32_iu8 v35, v21, v35, 0 neg_lo:[1,1,0]
	v_cvt_f32_f16_e32 v34, v34
	s_delay_alu instid0(VALU_DEP_2) | instskip(SKIP_1) | instid1(VALU_DEP_3)
	v_dot4_i32_iu8 v35, v22, v36, v35 neg_lo:[1,1,0]
	v_mul_lo_u32 v36, v42, v30
	v_mul_f32_e32 v34, v27, v34
	s_delay_alu instid0(VALU_DEP_3) | instskip(SKIP_1) | instid1(VALU_DEP_4)
	v_dot4_i32_iu8 v35, v23, v37, v35 neg_lo:[1,1,0]
	v_mul_lo_u32 v37, v43, v30
	v_cvt_f32_i32_e32 v36, v36
	s_wait_loadcnt 0x0
	s_delay_alu instid0(VALU_DEP_3) | instskip(SKIP_1) | instid1(VALU_DEP_3)
	v_dot4_i32_iu8 v35, v24, v38, v35 neg_lo:[1,1,0]
	v_mul_lo_u32 v38, v44, v30
	v_fmac_f32_e32 v14, v31, v36
	s_delay_alu instid0(VALU_DEP_3) | instskip(SKIP_3) | instid1(VALU_DEP_4)
	v_dot4_i32_iu8 v35, v25, v39, v35 neg_lo:[1,1,0]
	v_add_nc_u32_e32 v31, s15, v18
	v_cvt_f32_i32_e32 v37, v37
	v_cvt_f32_i32_e32 v38, v38
	v_dot4_i32_iu8 v35, v26, v40, v35 neg_lo:[1,1,0]
	s_delay_alu instid0(VALU_DEP_3) | instskip(NEXT) | instid1(VALU_DEP_3)
	v_fmac_f32_e32 v12, v32, v37
	v_fmac_f32_e32 v10, v33, v38
	s_delay_alu instid0(VALU_DEP_3) | instskip(NEXT) | instid1(VALU_DEP_1)
	v_dot4_i32_iu8 v35, v28, v41, v35 neg_lo:[1,1,0]
	v_dot4_i32_iu8 v35, v29, v45, v35 neg_lo:[1,1,0]
	s_delay_alu instid0(VALU_DEP_1) | instskip(NEXT) | instid1(VALU_DEP_1)
	v_mul_lo_u32 v35, v35, v30
	v_cvt_f32_i32_e32 v35, v35
	s_delay_alu instid0(VALU_DEP_1)
	v_fmac_f32_e32 v9, v34, v35
	v_mad_co_u64_u32 v[35:36], null, v31, 36, v[0:1]
	s_clause 0x2
	global_load_b128 v[31:34], v[35:36], off
	global_load_b32 v39, v[35:36], off offset:32
	global_load_b128 v[35:38], v[35:36], off offset:16
	s_wait_loadcnt 0x2
	v_dot4_i32_iu8 v32, v21, v32, 0 neg_lo:[1,1,0]
	s_delay_alu instid0(VALU_DEP_1) | instskip(NEXT) | instid1(VALU_DEP_1)
	v_dot4_i32_iu8 v32, v22, v33, v32 neg_lo:[1,1,0]
	v_dot4_i32_iu8 v32, v23, v34, v32 neg_lo:[1,1,0]
	s_wait_loadcnt 0x0
	s_delay_alu instid0(VALU_DEP_1) | instskip(NEXT) | instid1(VALU_DEP_1)
	v_dot4_i32_iu8 v32, v24, v35, v32 neg_lo:[1,1,0]
	v_dot4_i32_iu8 v32, v25, v36, v32 neg_lo:[1,1,0]
	s_delay_alu instid0(VALU_DEP_1) | instskip(NEXT) | instid1(VALU_DEP_1)
	v_dot4_i32_iu8 v32, v26, v37, v32 neg_lo:[1,1,0]
	v_dot4_i32_iu8 v32, v28, v38, v32 neg_lo:[1,1,0]
	s_delay_alu instid0(VALU_DEP_1) | instskip(SKIP_1) | instid1(VALU_DEP_1)
	v_dot4_i32_iu8 v42, v29, v39, v32 neg_lo:[1,1,0]
	v_add_nc_u32_e32 v32, s14, v18
	v_mad_co_u64_u32 v[36:37], null, v32, 36, v[0:1]
	s_clause 0x2
	global_load_b128 v[32:35], v[36:37], off
	global_load_b32 v40, v[36:37], off offset:32
	global_load_b128 v[36:39], v[36:37], off offset:16
	s_wait_loadcnt 0x2
	v_dot4_i32_iu8 v33, v21, v33, 0 neg_lo:[1,1,0]
	s_delay_alu instid0(VALU_DEP_1) | instskip(NEXT) | instid1(VALU_DEP_1)
	v_dot4_i32_iu8 v33, v22, v34, v33 neg_lo:[1,1,0]
	v_dot4_i32_iu8 v33, v23, v35, v33 neg_lo:[1,1,0]
	s_wait_loadcnt 0x0
	s_delay_alu instid0(VALU_DEP_1) | instskip(NEXT) | instid1(VALU_DEP_1)
	v_dot4_i32_iu8 v33, v24, v36, v33 neg_lo:[1,1,0]
	v_dot4_i32_iu8 v33, v25, v37, v33 neg_lo:[1,1,0]
	s_delay_alu instid0(VALU_DEP_1) | instskip(NEXT) | instid1(VALU_DEP_1)
	v_dot4_i32_iu8 v33, v26, v38, v33 neg_lo:[1,1,0]
	v_dot4_i32_iu8 v33, v28, v39, v33 neg_lo:[1,1,0]
	s_delay_alu instid0(VALU_DEP_1) | instskip(SKIP_1) | instid1(VALU_DEP_1)
	v_dot4_i32_iu8 v43, v29, v40, v33 neg_lo:[1,1,0]
	v_add_nc_u32_e32 v33, s11, v18
	v_mad_co_u64_u32 v[37:38], null, v33, 36, v[0:1]
	s_clause 0x2
	global_load_b128 v[33:36], v[37:38], off
	global_load_b32 v41, v[37:38], off offset:32
	global_load_b128 v[37:40], v[37:38], off offset:16
	s_wait_loadcnt 0x2
	v_dot4_i32_iu8 v34, v21, v34, 0 neg_lo:[1,1,0]
	s_delay_alu instid0(VALU_DEP_1) | instskip(NEXT) | instid1(VALU_DEP_1)
	v_dot4_i32_iu8 v34, v22, v35, v34 neg_lo:[1,1,0]
	v_dot4_i32_iu8 v34, v23, v36, v34 neg_lo:[1,1,0]
	s_wait_loadcnt 0x0
	s_delay_alu instid0(VALU_DEP_1) | instskip(NEXT) | instid1(VALU_DEP_1)
	v_dot4_i32_iu8 v34, v24, v37, v34 neg_lo:[1,1,0]
	v_dot4_i32_iu8 v34, v25, v38, v34 neg_lo:[1,1,0]
	s_delay_alu instid0(VALU_DEP_1) | instskip(NEXT) | instid1(VALU_DEP_1)
	v_dot4_i32_iu8 v34, v26, v39, v34 neg_lo:[1,1,0]
	v_dot4_i32_iu8 v34, v28, v40, v34 neg_lo:[1,1,0]
	s_delay_alu instid0(VALU_DEP_1) | instskip(SKIP_2) | instid1(VALU_DEP_2)
	v_dot4_i32_iu8 v44, v29, v41, v34 neg_lo:[1,1,0]
	v_add_nc_u32_e32 v34, s7, v18
	v_add_nc_u32_e32 v18, 32, v18
	v_mad_co_u64_u32 v[38:39], null, v34, 36, v[0:1]
	s_clause 0x2
	global_load_b128 v[34:37], v[38:39], off
	global_load_b32 v45, v[38:39], off offset:32
	global_load_b128 v[38:41], v[38:39], off offset:16
	s_wait_loadcnt 0x2
	v_dot4_i32_iu8 v21, v21, v35, 0 neg_lo:[1,1,0]
	s_delay_alu instid0(VALU_DEP_1) | instskip(SKIP_1) | instid1(VALU_DEP_2)
	v_dot4_i32_iu8 v21, v22, v36, v21 neg_lo:[1,1,0]
	v_mul_lo_u32 v22, v42, v30
	v_dot4_i32_iu8 v21, v23, v37, v21 neg_lo:[1,1,0]
	v_mul_lo_u32 v23, v43, v30
	s_delay_alu instid0(VALU_DEP_3) | instskip(SKIP_1) | instid1(VALU_DEP_3)
	v_cvt_f32_i32_e32 v22, v22
	s_wait_loadcnt 0x0
	v_dot4_i32_iu8 v21, v24, v38, v21 neg_lo:[1,1,0]
	v_mul_lo_u32 v24, v44, v30
	s_delay_alu instid0(VALU_DEP_4) | instskip(NEXT) | instid1(VALU_DEP_3)
	v_cvt_f32_i32_e32 v23, v23
	v_dot4_i32_iu8 v21, v25, v39, v21 neg_lo:[1,1,0]
	v_cvt_f32_f16_e32 v25, v31
	s_delay_alu instid0(VALU_DEP_4) | instskip(NEXT) | instid1(VALU_DEP_3)
	v_cvt_f32_i32_e32 v24, v24
	v_dot4_i32_iu8 v21, v26, v40, v21 neg_lo:[1,1,0]
	v_cvt_f32_f16_e32 v26, v32
	s_delay_alu instid0(VALU_DEP_4) | instskip(NEXT) | instid1(VALU_DEP_3)
	v_mul_f32_e32 v25, v27, v25
	v_dot4_i32_iu8 v21, v28, v41, v21 neg_lo:[1,1,0]
	v_cvt_f32_f16_e32 v28, v33
	s_delay_alu instid0(VALU_DEP_4) | instskip(NEXT) | instid1(VALU_DEP_4)
	v_mul_f32_e32 v26, v27, v26
	v_fmac_f32_e32 v7, v25, v22
	s_delay_alu instid0(VALU_DEP_4) | instskip(SKIP_3) | instid1(VALU_DEP_4)
	v_dot4_i32_iu8 v21, v29, v45, v21 neg_lo:[1,1,0]
	v_cvt_f32_f16_e32 v29, v34
	v_mul_f32_e32 v28, v27, v28
	v_fmac_f32_e32 v6, v26, v23
	v_mul_lo_u32 v21, v21, v30
	s_delay_alu instid0(VALU_DEP_4) | instskip(NEXT) | instid1(VALU_DEP_4)
	v_mul_f32_e32 v29, v27, v29
	v_fmac_f32_e32 v5, v28, v24
	s_delay_alu instid0(VALU_DEP_3) | instskip(NEXT) | instid1(VALU_DEP_1)
	v_cvt_f32_i32_e32 v21, v21
	v_fmac_f32_e32 v4, v29, v21
	s_wait_alu 0xfffe
	s_and_not1_b32 exec_lo, exec_lo, s3
	s_cbranch_execnz .LBB263_2
; %bb.3:
	s_or_b32 exec_lo, exec_lo, s3
.LBB263_4:
	s_delay_alu instid0(SALU_CYCLE_1)
	s_or_b32 exec_lo, exec_lo, s21
	s_mov_b32 s3, 0
	; wave barrier
	global_inv scope:SCOPE_SE
	s_mov_b32 s2, exec_lo
	v_cmpx_eq_u32_e32 0, v11
	s_cbranch_execz .LBB263_21
; %bb.5:
	v_mbcnt_lo_u32_b32 v11, -1, 0
	s_load_b64 s[0:1], s[0:1], 0x38
	s_mul_i32 s2, s10, s19
	s_mul_i32 s4, s18, s20
	s_wait_alu 0xfffe
	s_add_co_i32 s2, s2, ttmp9
	v_xor_b32_e32 v0, 16, v11
	v_xor_b32_e32 v1, 8, v11
	;; [unrolled: 1-line block ×3, first 2 shown]
	s_wait_alu 0xfffe
	s_add_co_i32 s2, s2, s4
	s_wait_alu 0xfffe
	s_lshl_b64 s[2:3], s[2:3], 2
	v_cmp_gt_i32_e32 vcc_lo, 32, v0
	s_wait_alu 0xfffd
	v_cndmask_b32_e32 v0, v11, v0, vcc_lo
	v_cmp_gt_i32_e32 vcc_lo, 32, v1
	s_wait_kmcnt 0x0
	s_wait_alu 0xfffe
	s_add_nc_u64 s[0:1], s[0:1], s[2:3]
	s_wait_alu 0xfffd
	v_cndmask_b32_e32 v1, v11, v1, vcc_lo
	s_delay_alu instid0(VALU_DEP_1)
	v_lshlrev_b32_e32 v1, 2, v1
	v_lshlrev_b32_e32 v0, 2, v0
	ds_bpermute_b32 v2, v0, v14
	s_wait_dscnt 0x0
	v_add_f32_e32 v3, v14, v2
	v_xor_b32_e32 v2, 4, v11
	ds_bpermute_b32 v13, v1, v3
	v_cmp_gt_i32_e32 vcc_lo, 32, v2
	s_wait_alu 0xfffd
	v_cndmask_b32_e32 v2, v11, v2, vcc_lo
	s_wait_dscnt 0x0
	v_add_f32_e32 v13, v3, v13
	v_xor_b32_e32 v3, 2, v11
	s_delay_alu instid0(VALU_DEP_1) | instskip(SKIP_3) | instid1(VALU_DEP_2)
	v_cmp_gt_i32_e32 vcc_lo, 32, v3
	s_wait_alu 0xfffd
	v_cndmask_b32_e32 v3, v11, v3, vcc_lo
	v_cmp_gt_i32_e32 vcc_lo, 32, v15
	v_lshlrev_b32_e32 v3, 2, v3
	s_wait_alu 0xfffd
	v_dual_cndmask_b32 v11, v11, v15 :: v_dual_lshlrev_b32 v2, 2, v2
	v_cmp_eq_u32_e32 vcc_lo, 0, v8
	ds_bpermute_b32 v14, v2, v13
	v_lshlrev_b32_e32 v11, 2, v11
	s_wait_dscnt 0x0
	v_add_f32_e32 v13, v13, v14
	ds_bpermute_b32 v14, v3, v13
	s_wait_dscnt 0x0
	v_add_f32_e32 v13, v13, v14
	ds_bpermute_b32 v14, v11, v13
	s_and_saveexec_b32 s2, vcc_lo
	s_cbranch_execz .LBB263_7
; %bb.6:
	s_wait_dscnt 0x0
	v_dual_add_f32 v8, v13, v14 :: v_dual_mov_b32 v13, 0
	global_store_b32 v13, v8, s[0:1]
.LBB263_7:
	s_wait_alu 0xfffe
	s_or_b32 exec_lo, exec_lo, s2
	ds_bpermute_b32 v8, v0, v12
	s_wait_dscnt 0x0
	v_add_f32_e32 v8, v12, v8
	ds_bpermute_b32 v12, v1, v8
	s_wait_dscnt 0x0
	v_add_f32_e32 v8, v8, v12
	;; [unrolled: 3-line block ×4, first 2 shown]
	ds_bpermute_b32 v12, v11, v8
	s_and_saveexec_b32 s2, vcc_lo
	s_cbranch_execz .LBB263_9
; %bb.8:
	s_mov_b32 s7, 0
	s_wait_dscnt 0x0
	v_add_f32_e32 v8, v8, v12
	v_mov_b32_e32 v12, 0
	s_wait_alu 0xfffe
	s_lshl_b64 s[4:5], s[6:7], 2
	s_wait_alu 0xfffe
	s_add_nc_u64 s[4:5], s[0:1], s[4:5]
	global_store_b32 v12, v8, s[4:5]
.LBB263_9:
	s_wait_alu 0xfffe
	s_or_b32 exec_lo, exec_lo, s2
	ds_bpermute_b32 v8, v0, v10
	s_wait_dscnt 0x0
	v_add_f32_e32 v8, v10, v8
	ds_bpermute_b32 v10, v1, v8
	s_wait_dscnt 0x0
	v_add_f32_e32 v8, v8, v10
	;; [unrolled: 3-line block ×4, first 2 shown]
	ds_bpermute_b32 v10, v11, v8
	s_and_saveexec_b32 s2, vcc_lo
	s_cbranch_execz .LBB263_11
; %bb.10:
	s_lshl_b32 s4, s6, 1
	s_mov_b32 s5, 0
	s_wait_dscnt 0x0
	v_add_f32_e32 v8, v8, v10
	v_mov_b32_e32 v10, 0
	s_wait_alu 0xfffe
	s_lshl_b64 s[4:5], s[4:5], 2
	s_wait_alu 0xfffe
	s_add_nc_u64 s[4:5], s[0:1], s[4:5]
	global_store_b32 v10, v8, s[4:5]
.LBB263_11:
	s_wait_alu 0xfffe
	s_or_b32 exec_lo, exec_lo, s2
	ds_bpermute_b32 v8, v0, v9
	s_wait_dscnt 0x0
	v_add_f32_e32 v8, v9, v8
	ds_bpermute_b32 v9, v1, v8
	s_wait_dscnt 0x0
	v_add_f32_e32 v8, v8, v9
	;; [unrolled: 3-line block ×4, first 2 shown]
	ds_bpermute_b32 v9, v11, v8
	s_and_saveexec_b32 s2, vcc_lo
	s_cbranch_execz .LBB263_13
; %bb.12:
	s_mul_i32 s4, s6, 3
	s_mov_b32 s5, 0
	s_wait_dscnt 0x0
	v_dual_add_f32 v8, v8, v9 :: v_dual_mov_b32 v9, 0
	s_wait_alu 0xfffe
	s_lshl_b64 s[4:5], s[4:5], 2
	s_wait_alu 0xfffe
	s_add_nc_u64 s[4:5], s[0:1], s[4:5]
	global_store_b32 v9, v8, s[4:5]
.LBB263_13:
	s_wait_alu 0xfffe
	s_or_b32 exec_lo, exec_lo, s2
	ds_bpermute_b32 v8, v0, v7
	s_wait_dscnt 0x0
	v_add_f32_e32 v7, v7, v8
	ds_bpermute_b32 v8, v1, v7
	s_wait_dscnt 0x0
	v_add_f32_e32 v7, v7, v8
	ds_bpermute_b32 v8, v2, v7
	s_wait_dscnt 0x0
	v_add_f32_e32 v7, v7, v8
	ds_bpermute_b32 v8, v3, v7
	s_wait_dscnt 0x0
	v_add_f32_e32 v7, v7, v8
	ds_bpermute_b32 v8, v11, v7
	s_and_saveexec_b32 s2, vcc_lo
	s_cbranch_execz .LBB263_15
; %bb.14:
	s_lshl_b32 s4, s6, 2
	s_mov_b32 s5, 0
	s_wait_dscnt 0x0
	v_dual_add_f32 v7, v7, v8 :: v_dual_mov_b32 v8, 0
	s_wait_alu 0xfffe
	s_lshl_b64 s[4:5], s[4:5], 2
	s_wait_alu 0xfffe
	s_add_nc_u64 s[4:5], s[0:1], s[4:5]
	global_store_b32 v8, v7, s[4:5]
.LBB263_15:
	s_wait_alu 0xfffe
	s_or_b32 exec_lo, exec_lo, s2
	ds_bpermute_b32 v7, v0, v6
	s_wait_dscnt 0x0
	v_add_f32_e32 v6, v6, v7
	ds_bpermute_b32 v7, v1, v6
	s_wait_dscnt 0x0
	v_add_f32_e32 v6, v6, v7
	;; [unrolled: 3-line block ×4, first 2 shown]
	ds_bpermute_b32 v7, v11, v6
	s_and_saveexec_b32 s2, vcc_lo
	s_cbranch_execz .LBB263_17
; %bb.16:
	s_mul_i32 s4, s6, 5
	s_mov_b32 s5, 0
	s_wait_dscnt 0x0
	v_dual_add_f32 v6, v6, v7 :: v_dual_mov_b32 v7, 0
	s_wait_alu 0xfffe
	s_lshl_b64 s[4:5], s[4:5], 2
	s_wait_alu 0xfffe
	s_add_nc_u64 s[4:5], s[0:1], s[4:5]
	global_store_b32 v7, v6, s[4:5]
.LBB263_17:
	s_wait_alu 0xfffe
	s_or_b32 exec_lo, exec_lo, s2
	ds_bpermute_b32 v6, v0, v5
	s_wait_dscnt 0x0
	v_add_f32_e32 v5, v5, v6
	ds_bpermute_b32 v6, v1, v5
	s_wait_dscnt 0x0
	v_add_f32_e32 v5, v5, v6
	;; [unrolled: 3-line block ×4, first 2 shown]
	ds_bpermute_b32 v6, v11, v5
	s_and_saveexec_b32 s2, vcc_lo
	s_cbranch_execz .LBB263_19
; %bb.18:
	s_mul_i32 s4, s6, 6
	s_mov_b32 s5, 0
	s_wait_dscnt 0x0
	v_dual_add_f32 v5, v5, v6 :: v_dual_mov_b32 v6, 0
	s_wait_alu 0xfffe
	s_lshl_b64 s[4:5], s[4:5], 2
	s_wait_alu 0xfffe
	s_add_nc_u64 s[4:5], s[0:1], s[4:5]
	global_store_b32 v6, v5, s[4:5]
.LBB263_19:
	s_wait_alu 0xfffe
	s_or_b32 exec_lo, exec_lo, s2
	ds_bpermute_b32 v0, v0, v4
	s_wait_dscnt 0x0
	v_add_f32_e32 v0, v4, v0
	ds_bpermute_b32 v1, v1, v0
	s_wait_dscnt 0x0
	v_add_f32_e32 v0, v0, v1
	;; [unrolled: 3-line block ×4, first 2 shown]
	ds_bpermute_b32 v1, v11, v0
	s_and_b32 exec_lo, exec_lo, vcc_lo
	s_cbranch_execz .LBB263_21
; %bb.20:
	s_mul_i32 s2, s6, 7
	s_mov_b32 s3, 0
	s_wait_dscnt 0x0
	v_dual_add_f32 v0, v0, v1 :: v_dual_mov_b32 v1, 0
	s_wait_alu 0xfffe
	s_lshl_b64 s[2:3], s[2:3], 2
	s_wait_alu 0xfffe
	s_add_nc_u64 s[0:1], s[0:1], s[2:3]
	global_store_b32 v1, v0, s[0:1]
.LBB263_21:
	s_endpgm
	.section	.rodata,"a",@progbits
	.p2align	6, 0x0
	.amdhsa_kernel _ZL13mul_mat_vec_qIL9ggml_type21ELi8ELb0ELb0EEvPKvS2_PKi31ggml_cuda_mm_fusion_args_devicePfj15HIP_vector_typeIjLj3EEjjjS8_jjjS8_jjjj
		.amdhsa_group_segment_fixed_size 0
		.amdhsa_private_segment_fixed_size 0
		.amdhsa_kernarg_size 144
		.amdhsa_user_sgpr_count 2
		.amdhsa_user_sgpr_dispatch_ptr 0
		.amdhsa_user_sgpr_queue_ptr 0
		.amdhsa_user_sgpr_kernarg_segment_ptr 1
		.amdhsa_user_sgpr_dispatch_id 0
		.amdhsa_user_sgpr_private_segment_size 0
		.amdhsa_wavefront_size32 1
		.amdhsa_uses_dynamic_stack 0
		.amdhsa_enable_private_segment 0
		.amdhsa_system_sgpr_workgroup_id_x 1
		.amdhsa_system_sgpr_workgroup_id_y 1
		.amdhsa_system_sgpr_workgroup_id_z 1
		.amdhsa_system_sgpr_workgroup_info 0
		.amdhsa_system_vgpr_workitem_id 1
		.amdhsa_next_free_vgpr 46
		.amdhsa_next_free_sgpr 28
		.amdhsa_reserve_vcc 1
		.amdhsa_float_round_mode_32 0
		.amdhsa_float_round_mode_16_64 0
		.amdhsa_float_denorm_mode_32 3
		.amdhsa_float_denorm_mode_16_64 3
		.amdhsa_fp16_overflow 0
		.amdhsa_workgroup_processor_mode 1
		.amdhsa_memory_ordered 1
		.amdhsa_forward_progress 1
		.amdhsa_inst_pref_size 48
		.amdhsa_round_robin_scheduling 0
		.amdhsa_exception_fp_ieee_invalid_op 0
		.amdhsa_exception_fp_denorm_src 0
		.amdhsa_exception_fp_ieee_div_zero 0
		.amdhsa_exception_fp_ieee_overflow 0
		.amdhsa_exception_fp_ieee_underflow 0
		.amdhsa_exception_fp_ieee_inexact 0
		.amdhsa_exception_int_div_zero 0
	.end_amdhsa_kernel
	.section	.text._ZL13mul_mat_vec_qIL9ggml_type21ELi8ELb0ELb0EEvPKvS2_PKi31ggml_cuda_mm_fusion_args_devicePfj15HIP_vector_typeIjLj3EEjjjS8_jjjS8_jjjj,"axG",@progbits,_ZL13mul_mat_vec_qIL9ggml_type21ELi8ELb0ELb0EEvPKvS2_PKi31ggml_cuda_mm_fusion_args_devicePfj15HIP_vector_typeIjLj3EEjjjS8_jjjS8_jjjj,comdat
.Lfunc_end263:
	.size	_ZL13mul_mat_vec_qIL9ggml_type21ELi8ELb0ELb0EEvPKvS2_PKi31ggml_cuda_mm_fusion_args_devicePfj15HIP_vector_typeIjLj3EEjjjS8_jjjS8_jjjj, .Lfunc_end263-_ZL13mul_mat_vec_qIL9ggml_type21ELi8ELb0ELb0EEvPKvS2_PKi31ggml_cuda_mm_fusion_args_devicePfj15HIP_vector_typeIjLj3EEjjjS8_jjjS8_jjjj
                                        ; -- End function
	.set _ZL13mul_mat_vec_qIL9ggml_type21ELi8ELb0ELb0EEvPKvS2_PKi31ggml_cuda_mm_fusion_args_devicePfj15HIP_vector_typeIjLj3EEjjjS8_jjjS8_jjjj.num_vgpr, 46
	.set _ZL13mul_mat_vec_qIL9ggml_type21ELi8ELb0ELb0EEvPKvS2_PKi31ggml_cuda_mm_fusion_args_devicePfj15HIP_vector_typeIjLj3EEjjjS8_jjjS8_jjjj.num_agpr, 0
	.set _ZL13mul_mat_vec_qIL9ggml_type21ELi8ELb0ELb0EEvPKvS2_PKi31ggml_cuda_mm_fusion_args_devicePfj15HIP_vector_typeIjLj3EEjjjS8_jjjS8_jjjj.numbered_sgpr, 28
	.set _ZL13mul_mat_vec_qIL9ggml_type21ELi8ELb0ELb0EEvPKvS2_PKi31ggml_cuda_mm_fusion_args_devicePfj15HIP_vector_typeIjLj3EEjjjS8_jjjS8_jjjj.num_named_barrier, 0
	.set _ZL13mul_mat_vec_qIL9ggml_type21ELi8ELb0ELb0EEvPKvS2_PKi31ggml_cuda_mm_fusion_args_devicePfj15HIP_vector_typeIjLj3EEjjjS8_jjjS8_jjjj.private_seg_size, 0
	.set _ZL13mul_mat_vec_qIL9ggml_type21ELi8ELb0ELb0EEvPKvS2_PKi31ggml_cuda_mm_fusion_args_devicePfj15HIP_vector_typeIjLj3EEjjjS8_jjjS8_jjjj.uses_vcc, 1
	.set _ZL13mul_mat_vec_qIL9ggml_type21ELi8ELb0ELb0EEvPKvS2_PKi31ggml_cuda_mm_fusion_args_devicePfj15HIP_vector_typeIjLj3EEjjjS8_jjjS8_jjjj.uses_flat_scratch, 0
	.set _ZL13mul_mat_vec_qIL9ggml_type21ELi8ELb0ELb0EEvPKvS2_PKi31ggml_cuda_mm_fusion_args_devicePfj15HIP_vector_typeIjLj3EEjjjS8_jjjS8_jjjj.has_dyn_sized_stack, 0
	.set _ZL13mul_mat_vec_qIL9ggml_type21ELi8ELb0ELb0EEvPKvS2_PKi31ggml_cuda_mm_fusion_args_devicePfj15HIP_vector_typeIjLj3EEjjjS8_jjjS8_jjjj.has_recursion, 0
	.set _ZL13mul_mat_vec_qIL9ggml_type21ELi8ELb0ELb0EEvPKvS2_PKi31ggml_cuda_mm_fusion_args_devicePfj15HIP_vector_typeIjLj3EEjjjS8_jjjS8_jjjj.has_indirect_call, 0
	.section	.AMDGPU.csdata,"",@progbits
; Kernel info:
; codeLenInByte = 6136
; TotalNumSgprs: 30
; NumVgprs: 46
; ScratchSize: 0
; MemoryBound: 0
; FloatMode: 240
; IeeeMode: 1
; LDSByteSize: 0 bytes/workgroup (compile time only)
; SGPRBlocks: 0
; VGPRBlocks: 5
; NumSGPRsForWavesPerEU: 30
; NumVGPRsForWavesPerEU: 46
; Occupancy: 16
; WaveLimiterHint : 0
; COMPUTE_PGM_RSRC2:SCRATCH_EN: 0
; COMPUTE_PGM_RSRC2:USER_SGPR: 2
; COMPUTE_PGM_RSRC2:TRAP_HANDLER: 0
; COMPUTE_PGM_RSRC2:TGID_X_EN: 1
; COMPUTE_PGM_RSRC2:TGID_Y_EN: 1
; COMPUTE_PGM_RSRC2:TGID_Z_EN: 1
; COMPUTE_PGM_RSRC2:TIDIG_COMP_CNT: 1
	.section	.AMDGPU.gpr_maximums,"",@progbits
	.set amdgpu.max_num_vgpr, 0
	.set amdgpu.max_num_agpr, 0
	.set amdgpu.max_num_sgpr, 0
	.section	.AMDGPU.csdata,"",@progbits
	.type	_ZL11iq2xxs_grid,@object        ; @_ZL11iq2xxs_grid
	.section	.rodata,"a",@progbits
	.p2align	4, 0x0
_ZL11iq2xxs_grid:
	.quad	578721382704613384              ; 0x808080808080808
	.quad	578721382704613419              ; 0x80808080808082b
	.quad	578721382704617753              ; 0x808080808081919
	.quad	578721382704622344              ; 0x808080808082b08
	.quad	578721382704622379              ; 0x808080808082b2b
	.quad	578721382705727513              ; 0x808080808190819
	.quad	578721382705731848              ; 0x808080808191908
	.quad	578721382706907144              ; 0x8080808082b0808
	.quad	578721382706907179              ; 0x8080808082b082b
	.quad	578721382706916104              ; 0x8080808082b2b08
	.quad	578721382706916139              ; 0x8080808082b2b2b
	.quad	578721382989826073              ; 0x808080819080819
	.quad	578721382989830408              ; 0x808080819081908
	.quad	578721382990940168              ; 0x808080819190808
	.quad	578721382990949128              ; 0x808080819192b08
	.quad	578721382992119833              ; 0x8080808192b0819
	.quad	578721382992124168              ; 0x8080808192b1908
	.quad	578721383291815944              ; 0x80808082b080808
	.quad	578721383291815979              ; 0x80808082b08082b
	.quad	578721383291824939              ; 0x80808082b082b2b
	.quad	578721383294109739              ; 0x80808082b2b082b
	.quad	578721455719057433              ; 0x808081908080819
	.quad	578721455719061768              ; 0x808081908081908
	.quad	578721455720171528              ; 0x808081908190808
	.quad	578721455720175897              ; 0x808081908191919
	.quad	578721456004270088              ; 0x808081919080808
	.quad	578721456306264328              ; 0x80808192b081908
	.quad	578721456307383048              ; 0x80808192b192b08
	.quad	578721533028468744              ; 0x808082b08080808
	.quad	578721533028468779              ; 0x808082b0808082b
	.quad	578721533030762539              ; 0x808082b082b082b
	.quad	578721533615671339              ; 0x808082b2b08082b
	.quad	578740074402285593              ; 0x808190808080819
	.quad	578740074402289928              ; 0x808190808081908
	.quad	578740074403399688              ; 0x808190808190808
	.quad	578740074404579353              ; 0x8081908082b0819
	.quad	578740074404583688              ; 0x8081908082b1908
	.quad	578740074687498248              ; 0x808190819080808
	.quad	578740074687498283              ; 0x80819081908082b
	.quad	578740074687507208              ; 0x808190819082b08
	.quad	578740074689792008              ; 0x8081908192b0808
	.quad	578740074989488153              ; 0x80819082b080819
	.quad	578740074989492488              ; 0x80819082b081908
	.quad	578740074990602248              ; 0x80819082b190808
	.quad	578740074991786248              ; 0x80819082b2b1908
	.quad	578740147416729608              ; 0x808191908080808
	.quad	578740147416729643              ; 0x80819190808082b
	.quad	578740147416738568              ; 0x808191908082b08
	.quad	578740147419023368              ; 0x8081919082b0808
	.quad	578740147701946667              ; 0x80819191908192b
	.quad	578740147704245017              ; 0x8081919192b2b19
	.quad	578740148003932168              ; 0x80819192b080808
	.quad	578740148005046297              ; 0x80819192b190819
	.quad	578740224726149913              ; 0x808192b08082b19
	.quad	578740224727255048              ; 0x808192b08190808
	.quad	578740225011353608              ; 0x808192b19080808
	.quad	578740225313347848              ; 0x808192b2b081908
	.quad	578740225315641608              ; 0x808192b2b2b1908
	.quad	578759865611585544              ; 0x8082b0808080808
	.quad	578759865611589913              ; 0x8082b0808081919
	.quad	578759865611594504              ; 0x8082b0808082b08
	.quad	578759865612704008              ; 0x8082b0808191908
	.quad	578759865613888264              ; 0x8082b08082b2b08
	.quad	578759865896798233              ; 0x8082b0819080819
	.quad	578759865896802568              ; 0x8082b0819081908
	.quad	578759865897912328              ; 0x8082b0819190808
	.quad	578759865897912363              ; 0x8082b081919082b
	.quad	578759866198797064              ; 0x8082b082b082b08
	.quad	578759938626033928              ; 0x8082b1908081908
	.quad	578759938911242248              ; 0x8082b1919080808
	.quad	578760015935440939              ; 0x8082b2b0808082b
	.quad	578760015936559368              ; 0x8082b2b08191908
	.quad	583506457308694553              ; 0x819080808080819
	.quad	583506457308698888              ; 0x819080808081908
	.quad	583506457309808648              ; 0x819080808190808
	.quad	583506457310988313              ; 0x8190808082b0819
	.quad	583506457593907208              ; 0x819080819080808
	.quad	583506457596200968              ; 0x8190808192b0808
	.quad	583506457895901448              ; 0x81908082b081908
	.quad	583506457897011208              ; 0x81908082b190808
	.quad	583506457897015577              ; 0x81908082b191919
	.quad	583506530323138568              ; 0x819081908080808
	.quad	583506530323147528              ; 0x819081908082b08
	.quad	583506530325432328              ; 0x8190819082b0808
	.quad	583506530609465352              ; 0x819081919190808
	.quad	583506530609474347              ; 0x819081919192b2b
	.quad	583506530910341128              ; 0x81908192b080808
	.quad	583506607634848008              ; 0x819082b082b1908
	.quad	583506607917766937              ; 0x819082b19081919
	.quad	583525149006366728              ; 0x819190808080808
	.quad	583525149006375688              ; 0x819190808082b08
	.quad	583525149008660488              ; 0x8191908082b0808
	.quad	583525149008664857              ; 0x8191908082b1919
	.quad	583525149291588377              ; 0x819190819082b19
	.quad	583525149593569288              ; 0x81919082b080808
	.quad	583525222021933832              ; 0x819191908192b08
	.quad	583525222308317227              ; 0x8191919192b082b
	.quad	583525299330222088              ; 0x819192b08080808
	.quad	583525299331340587              ; 0x819192b0819192b
	.quad	583544940215666713              ; 0x8192b0808080819
	.quad	583544940215671048              ; 0x8192b0808081908
	.quad	583544940216780808              ; 0x8192b0808190808
	.quad	583544940500879368              ; 0x8192b0819080808
	.quad	583544940802869273              ; 0x8192b082b080819
	.quad	583545013230110728              ; 0x8192b1908080808
	.quad	583545013230115097              ; 0x8192b1908081919
	.quad	583545013819607048              ; 0x8192b192b2b0808
	.quad	583545090825848857              ; 0x8192b2b19190819
	.quad	588573006889486344              ; 0x82b080808080808
	.quad	588573006889486379              ; 0x82b08080808082b
	.quad	588573006889495339              ; 0x82b080808082b2b
	.quad	588573007174703368              ; 0x82b080819081908
	.quad	588573007176992793              ; 0x82b0808192b0819
	.quad	588573007476688904              ; 0x82b08082b080808
	.quad	588573007476688939              ; 0x82b08082b08082b
	.quad	588573079906233113              ; 0x82b0819082b2b19
	.quad	588573080189152008              ; 0x82b081919082b08
	.quad	588573157213341704              ; 0x82b082b08080808
	.quad	588573157213341739              ; 0x82b082b0808082b
	.quad	588591698587158553              ; 0x82b190808080819
	.quad	588591698587162888              ; 0x82b190808081908
	.quad	588591698588272648              ; 0x82b190808190808
	.quad	588591698872371208              ; 0x82b190819080808
	.quad	588591698873489707              ; 0x82b19081919192b
	.quad	588591771601602568              ; 0x82b191908080808
	.quad	588591771886815257              ; 0x82b191919080819
	.quad	588591771889113352              ; 0x82b1919192b1908
	.quad	588591849499330568              ; 0x82b192b2b190808
	.quad	588611489796467464              ; 0x82b2b0808082b08
	.quad	588611489798752264              ; 0x82b2b08082b0808
	.quad	588611490384779528              ; 0x82b2b082b191908
	.quad	588611640405530888              ; 0x82b2b2b19081908
	.quad	1803700481349388313             ; 0x1908080808080819
	.quad	1803700481349392648             ; 0x1908080808081908
	;; [unrolled: 1-line block ×124, first 2 shown]
	.size	_ZL11iq2xxs_grid, 2048

	.type	_ZL10iq2xs_grid,@object         ; @_ZL10iq2xs_grid
	.p2align	4, 0x0
_ZL10iq2xs_grid:
	.quad	578721382704613384              ; 0x808080808080808
	.quad	578721382704613419              ; 0x80808080808082b
	;; [unrolled: 1-line block ×254, first 2 shown]
	.quad	1803700481349388313             ; 0x1908080808080819
	.quad	1803700481349392648             ; 0x1908080808081908
	;; [unrolled: 1-line block ×258, first 2 shown]
	.size	_ZL10iq2xs_grid, 4096

	.type	_ZL9iq2s_grid,@object           ; @_ZL9iq2s_grid
	.p2align	4, 0x0
_ZL9iq2s_grid:
	.quad	578721382704613384              ; 0x808080808080808
	.quad	578721382704613419              ; 0x80808080808082b
	;; [unrolled: 1-line block ×471, first 2 shown]
	.quad	1803700481349388313             ; 0x1908080808080819
	.quad	1803700481349392648             ; 0x1908080808081908
	;; [unrolled: 1-line block ×553, first 2 shown]
	.size	_ZL9iq2s_grid, 8192

	.type	_ZL11iq3xxs_grid,@object        ; @_ZL11iq3xxs_grid
	.p2align	4, 0x0
_ZL11iq3xxs_grid:
	.long	67372036                        ; 0x4040404
	.long	67372052                        ; 0x4040414
	;; [unrolled: 1-line block ×58, first 2 shown]
	.long	201589772                       ; 0xc04040c
	.long	201589788                       ; 0xc04041c
	;; [unrolled: 1-line block ×177, first 2 shown]
	.long	1040450588                      ; 0x3e04041c
	.long	1040450604                      ; 0x3e04042c
	;; [unrolled: 1-line block ×21, first 2 shown]
	.size	_ZL11iq3xxs_grid, 1024

	.type	_ZL13iq1s_grid_gpu,@object      ; @_ZL13iq1s_grid_gpu
	.p2align	4, 0x0
_ZL13iq1s_grid_gpu:
	.long	0                               ; 0x0
	.long	2                               ; 0x2
	.long	257                             ; 0x101
	.long	512                             ; 0x200
	;; [unrolled: 1-line block ×3, first 2 shown]
	.long	65537                           ; 0x10001
	.long	65793                           ; 0x10101
	.long	131072                          ; 0x20000
	.long	131074                          ; 0x20002
	;; [unrolled: 1-line block ×4, first 2 shown]
	.long	16777473                        ; 0x1000101
	.long	16842753                        ; 0x1010001
	;; [unrolled: 1-line block ×14, first 2 shown]
	.long	272                             ; 0x110
	.long	273                             ; 0x111
	.long	65553                           ; 0x10011
	.long	65808                           ; 0x10110
	;; [unrolled: 1-line block ×5, first 2 shown]
	.long	131345                          ; 0x20111
	.long	16777233                        ; 0x1000011
	.long	16777490                        ; 0x1000112
	;; [unrolled: 1-line block ×15, first 2 shown]
	.long	32                              ; 0x20
	.long	34                              ; 0x22
	.long	544                             ; 0x220
	.long	546                             ; 0x222
	.long	65825                           ; 0x10121
	.long	131104                          ; 0x20020
	.long	131106                          ; 0x20022
	;; [unrolled: 1-line block ×4, first 2 shown]
	.long	16777505                        ; 0x1000121
	.long	16842785                        ; 0x1010021
	.long	16843297                        ; 0x1010221
	.long	16908576                        ; 0x1020120
	.long	16908833                        ; 0x1020221
	.long	33554464                        ; 0x2000020
	.long	33554466                        ; 0x2000022
	.long	33554976                        ; 0x2000220
	.long	33554978                        ; 0x2000222
	.long	33620001                        ; 0x2010021
	.long	33620257                        ; 0x2010121
	.long	33620513                        ; 0x2010221
	.long	33685536                        ; 0x2020020
	.long	33685538                        ; 0x2020022
	.long	33686048                        ; 0x2020220
	.long	33686050                        ; 0x2020222
	.long	69633                           ; 0x11001
	.long	69888                           ; 0x11100
	;; [unrolled: 1-line block ×3, first 2 shown]
	.long	135425                          ; 0x21101
	.long	16781313                        ; 0x1001001
	.long	16781825                        ; 0x1001201
	;; [unrolled: 1-line block ×9, first 2 shown]
	.long	4113                            ; 0x1011
	.long	4368                            ; 0x1110
	;; [unrolled: 1-line block ×4, first 2 shown]
	.long	69905                           ; 0x11111
	.long	70160                           ; 0x11210
	;; [unrolled: 1-line block ×3, first 2 shown]
	.long	135697                          ; 0x21211
	.long	16781328                        ; 0x1001010
	.long	16781585                        ; 0x1001111
	;; [unrolled: 1-line block ×24, first 2 shown]
	.long	69920                           ; 0x11120
	.long	70177                           ; 0x11221
	.long	16781345                        ; 0x1001021
	.long	16781600                        ; 0x1001120
	;; [unrolled: 1-line block ×14, first 2 shown]
	.long	8192                            ; 0x2000
	.long	8194                            ; 0x2002
	;; [unrolled: 1-line block ×4, first 2 shown]
	.long	73985                           ; 0x12101
	.long	139264                          ; 0x22000
	.long	139266                          ; 0x22002
	;; [unrolled: 1-line block ×4, first 2 shown]
	.long	16785665                        ; 0x1002101
	.long	16850945                        ; 0x1012001
	;; [unrolled: 1-line block ×13, first 2 shown]
	.long	8465                            ; 0x2111
	.long	73745                           ; 0x12011
	.long	74000                           ; 0x12110
	;; [unrolled: 1-line block ×3, first 2 shown]
	.long	139536                          ; 0x22110
	.long	139537                          ; 0x22111
	.long	16785425                        ; 0x1002011
	.long	16850960                        ; 0x1012010
	;; [unrolled: 1-line block ×12, first 2 shown]
	.long	8224                            ; 0x2020
	.long	8226                            ; 0x2022
	;; [unrolled: 1-line block ×4, first 2 shown]
	.long	74017                           ; 0x12121
	.long	139296                          ; 0x22020
	.long	139298                          ; 0x22022
	;; [unrolled: 1-line block ×4, first 2 shown]
	.long	16785697                        ; 0x1002121
	.long	16850977                        ; 0x1012021
	;; [unrolled: 1-line block ×15, first 2 shown]
	.long	1114112                         ; 0x110000
	.long	1114113                         ; 0x110001
	;; [unrolled: 1-line block ×6, first 2 shown]
	.long	17825793                        ; 0x1100001
	.long	17826048                        ; 0x1100100
	;; [unrolled: 1-line block ×14, first 2 shown]
	.long	1048593                         ; 0x100011
	.long	1048848                         ; 0x100110
	;; [unrolled: 1-line block ×11, first 2 shown]
	.long	17826065                        ; 0x1100111
	.long	17826322                        ; 0x1100212
	;; [unrolled: 1-line block ×16, first 2 shown]
	.long	1114145                         ; 0x110021
	.long	1114400                         ; 0x110120
	;; [unrolled: 1-line block ×4, first 2 shown]
	.long	17825824                        ; 0x1100020
	.long	17826082                        ; 0x1100122
	;; [unrolled: 1-line block ×14, first 2 shown]
	.long	1052673                         ; 0x101001
	.long	1052930                         ; 0x101102
	;; [unrolled: 1-line block ×9, first 2 shown]
	.long	17829889                        ; 0x1101001
	.long	17830145                        ; 0x1101101
	;; [unrolled: 1-line block ×25, first 2 shown]
	.long	1052690                         ; 0x101012
	.long	1052945                         ; 0x101111
	;; [unrolled: 1-line block ×13, first 2 shown]
	.long	17829905                        ; 0x1101011
	.long	17830160                        ; 0x1101110
	;; [unrolled: 1-line block ×32, first 2 shown]
	.long	1052705                         ; 0x101021
	.long	1052960                         ; 0x101120
	;; [unrolled: 1-line block ×10, first 2 shown]
	.long	17829920                        ; 0x1101020
	.long	17829922                        ; 0x1101022
	;; [unrolled: 1-line block ×23, first 2 shown]
	.long	1122305                         ; 0x112001
	.long	1122562                         ; 0x112102
	.long	1188097                         ; 0x122101
	.long	17833985                        ; 0x1102001
	.long	17834240                        ; 0x1102100
	;; [unrolled: 1-line block ×17, first 2 shown]
	.long	1122320                         ; 0x112010
	.long	1122322                         ; 0x112012
	;; [unrolled: 1-line block ×6, first 2 shown]
	.long	17834002                        ; 0x1102012
	.long	17834256                        ; 0x1102110
	;; [unrolled: 1-line block ×21, first 2 shown]
	.long	1057313                         ; 0x102221
	.long	1122594                         ; 0x112122
	;; [unrolled: 1-line block ×4, first 2 shown]
	.long	17834272                        ; 0x1102120
	.long	17834274                        ; 0x1102122
	;; [unrolled: 1-line block ×14, first 2 shown]
	.long	2097152                         ; 0x200000
	.long	2097154                         ; 0x200002
	;; [unrolled: 1-line block ×10, first 2 shown]
	.long	18874625                        ; 0x1200101
	.long	18939905                        ; 0x1210001
	;; [unrolled: 1-line block ×15, first 2 shown]
	.long	2097425                         ; 0x200111
	.long	2162705                         ; 0x210011
	;; [unrolled: 1-line block ×5, first 2 shown]
	.long	18874386                        ; 0x1200012
	.long	18874640                        ; 0x1200110
	;; [unrolled: 1-line block ×15, first 2 shown]
	.long	2097185                         ; 0x200021
	.long	2097696                         ; 0x200220
	;; [unrolled: 1-line block ×9, first 2 shown]
	.long	18874657                        ; 0x1200121
	.long	18939937                        ; 0x1210021
	;; [unrolled: 1-line block ×14, first 2 shown]
	.long	2101505                         ; 0x201101
	.long	2167040                         ; 0x211100
	;; [unrolled: 1-line block ×5, first 2 shown]
	.long	18878720                        ; 0x1201100
	.long	18878721                        ; 0x1201101
	;; [unrolled: 1-line block ×15, first 2 shown]
	.long	2101777                         ; 0x201211
	.long	2167057                         ; 0x211111
	;; [unrolled: 1-line block ×4, first 2 shown]
	.long	18878480                        ; 0x1201010
	.long	18878737                        ; 0x1201111
	;; [unrolled: 1-line block ×20, first 2 shown]
	.long	2101537                         ; 0x201121
	.long	2166816                         ; 0x211020
	;; [unrolled: 1-line block ×5, first 2 shown]
	.long	18878497                        ; 0x1201021
	.long	18879009                        ; 0x1201221
	;; [unrolled: 1-line block ×10, first 2 shown]
	.long	2105344                         ; 0x202000
	.long	2105346                         ; 0x202002
	;; [unrolled: 1-line block ×9, first 2 shown]
	.long	18882817                        ; 0x1202101
	.long	18948097                        ; 0x1212001
	;; [unrolled: 1-line block ×12, first 2 shown]
	.long	2105873                         ; 0x202211
	.long	2170897                         ; 0x212011
	;; [unrolled: 1-line block ×5, first 2 shown]
	.long	18882834                        ; 0x1202112
	.long	18883089                        ; 0x1202211
	;; [unrolled: 1-line block ×14, first 2 shown]
	.long	2105376                         ; 0x202020
	.long	2105378                         ; 0x202022
	;; [unrolled: 1-line block ×8, first 2 shown]
	.long	18882849                        ; 0x1202121
	.long	18948129                        ; 0x1212021
	;; [unrolled: 1-line block ×14, first 2 shown]
	.long	268435713                       ; 0x10000101
	.long	268500993                       ; 0x10010001
	;; [unrolled: 1-line block ×1419, first 2 shown]
	.size	_ZL13iq1s_grid_gpu, 8192

	.type	_ZL9iq3s_grid,@object           ; @_ZL9iq3s_grid
	.p2align	4, 0x0
_ZL9iq3s_grid:
	.long	16843009                        ; 0x1010101
	.long	16843011                        ; 0x1010103
	;; [unrolled: 1-line block ×281, first 2 shown]
	.long	117506309                       ; 0x7010105
	.long	117506819                       ; 0x7010303
	;; [unrolled: 1-line block ×231, first 2 shown]
	.size	_ZL9iq3s_grid, 2048

	.type	__hip_cuid_466eb0ca948b0a65,@object ; @__hip_cuid_466eb0ca948b0a65
	.section	.bss,"aw",@nobits
	.globl	__hip_cuid_466eb0ca948b0a65
__hip_cuid_466eb0ca948b0a65:
	.byte	0                               ; 0x0
	.size	__hip_cuid_466eb0ca948b0a65, 1

	.ident	"AMD clang version 22.0.0git (https://github.com/RadeonOpenCompute/llvm-project roc-7.2.4 26084 f58b06dce1f9c15707c5f808fd002e18c2accf7e)"
	.section	".note.GNU-stack","",@progbits
	.addrsig
	.addrsig_sym __hip_cuid_466eb0ca948b0a65
	.amdgpu_metadata
---
amdhsa.kernels:
  - .args:
      - .address_space:  global
        .offset:         0
        .size:           8
        .value_kind:     global_buffer
      - .address_space:  global
        .offset:         8
        .size:           8
        .value_kind:     global_buffer
      - .address_space:  global
        .offset:         16
        .size:           8
        .value_kind:     global_buffer
      - .address_space:  global
        .offset:         24
        .size:           8
        .value_kind:     global_buffer
      - .offset:         32
        .size:           4
        .value_kind:     by_value
      - .offset:         36
        .size:           12
        .value_kind:     by_value
      - .offset:         48
        .size:           4
        .value_kind:     by_value
      - .offset:         52
        .size:           4
        .value_kind:     by_value
      - .offset:         56
        .size:           4
        .value_kind:     by_value
      - .offset:         60
        .size:           4
        .value_kind:     by_value
      - .offset:         64
        .size:           4
        .value_kind:     by_value
      - .offset:         68
        .size:           4
        .value_kind:     by_value
      - .offset:         72
        .size:           4
        .value_kind:     by_value
      - .offset:         76
        .size:           4
        .value_kind:     by_value
      - .offset:         80
        .size:           4
        .value_kind:     by_value
    .group_segment_fixed_size: 0
    .kernarg_segment_align: 8
    .kernarg_segment_size: 84
    .language:       OpenCL C
    .language_version:
      - 2
      - 0
    .max_flat_workgroup_size: 256
    .name:           _ZL17mul_mat_vec_q_moeIL9ggml_type41ELi2EEvPKvS2_PKiPfj15HIP_vector_typeIjLj3EEjjjjjjjjj
    .private_segment_fixed_size: 0
    .sgpr_count:     26
    .sgpr_spill_count: 0
    .symbol:         _ZL17mul_mat_vec_q_moeIL9ggml_type41ELi2EEvPKvS2_PKiPfj15HIP_vector_typeIjLj3EEjjjjjjjjj.kd
    .uniform_work_group_size: 1
    .uses_dynamic_stack: false
    .vgpr_count:     87
    .vgpr_spill_count: 0
    .wavefront_size: 32
    .workgroup_processor_mode: 1
  - .args:
      - .address_space:  global
        .offset:         0
        .size:           8
        .value_kind:     global_buffer
      - .address_space:  global
        .offset:         8
        .size:           8
        .value_kind:     global_buffer
      - .address_space:  global
        .offset:         16
        .size:           8
        .value_kind:     global_buffer
      - .offset:         24
        .size:           32
        .value_kind:     by_value
      - .address_space:  global
        .offset:         56
        .size:           8
        .value_kind:     global_buffer
      - .offset:         64
        .size:           4
        .value_kind:     by_value
      - .offset:         68
        .size:           12
        .value_kind:     by_value
      - .offset:         80
        .size:           4
        .value_kind:     by_value
      - .offset:         84
        .size:           4
        .value_kind:     by_value
      - .offset:         88
        .size:           4
        .value_kind:     by_value
      - .offset:         92
        .size:           12
        .value_kind:     by_value
      - .offset:         104
        .size:           4
        .value_kind:     by_value
      - .offset:         108
        .size:           4
        .value_kind:     by_value
      - .offset:         112
        .size:           4
        .value_kind:     by_value
      - .offset:         116
        .size:           12
        .value_kind:     by_value
      - .offset:         128
        .size:           4
        .value_kind:     by_value
      - .offset:         132
        .size:           4
        .value_kind:     by_value
      - .offset:         136
        .size:           4
        .value_kind:     by_value
      - .offset:         140
        .size:           4
        .value_kind:     by_value
    .group_segment_fixed_size: 0
    .kernarg_segment_align: 8
    .kernarg_segment_size: 144
    .language:       OpenCL C
    .language_version:
      - 2
      - 0
    .max_flat_workgroup_size: 32
    .name:           _ZL13mul_mat_vec_qIL9ggml_type41ELi1ELb1ELb1EEvPKvS2_PKi31ggml_cuda_mm_fusion_args_devicePfj15HIP_vector_typeIjLj3EEjjjS8_jjjS8_jjjj
    .private_segment_fixed_size: 0
    .sgpr_count:     40
    .sgpr_spill_count: 0
    .symbol:         _ZL13mul_mat_vec_qIL9ggml_type41ELi1ELb1ELb1EEvPKvS2_PKi31ggml_cuda_mm_fusion_args_devicePfj15HIP_vector_typeIjLj3EEjjjS8_jjjS8_jjjj.kd
    .uniform_work_group_size: 1
    .uses_dynamic_stack: false
    .vgpr_count:     56
    .vgpr_spill_count: 0
    .wavefront_size: 32
    .workgroup_processor_mode: 1
  - .args:
      - .address_space:  global
        .offset:         0
        .size:           8
        .value_kind:     global_buffer
      - .address_space:  global
        .offset:         8
        .size:           8
        .value_kind:     global_buffer
      - .address_space:  global
        .offset:         16
        .size:           8
        .value_kind:     global_buffer
      - .offset:         24
        .size:           32
        .value_kind:     by_value
      - .address_space:  global
        .offset:         56
        .size:           8
        .value_kind:     global_buffer
      - .offset:         64
        .size:           4
        .value_kind:     by_value
      - .offset:         68
        .size:           12
        .value_kind:     by_value
      - .offset:         80
        .size:           4
        .value_kind:     by_value
      - .offset:         84
        .size:           4
        .value_kind:     by_value
      - .offset:         88
        .size:           4
        .value_kind:     by_value
      - .offset:         92
        .size:           12
        .value_kind:     by_value
      - .offset:         104
        .size:           4
        .value_kind:     by_value
      - .offset:         108
        .size:           4
        .value_kind:     by_value
      - .offset:         112
        .size:           4
        .value_kind:     by_value
      - .offset:         116
        .size:           12
        .value_kind:     by_value
      - .offset:         128
        .size:           4
        .value_kind:     by_value
      - .offset:         132
        .size:           4
        .value_kind:     by_value
      - .offset:         136
        .size:           4
        .value_kind:     by_value
      - .offset:         140
        .size:           4
        .value_kind:     by_value
    .group_segment_fixed_size: 0
    .kernarg_segment_align: 8
    .kernarg_segment_size: 144
    .language:       OpenCL C
    .language_version:
      - 2
      - 0
    .max_flat_workgroup_size: 32
    .name:           _ZL13mul_mat_vec_qIL9ggml_type41ELi1ELb0ELb1EEvPKvS2_PKi31ggml_cuda_mm_fusion_args_devicePfj15HIP_vector_typeIjLj3EEjjjS8_jjjS8_jjjj
    .private_segment_fixed_size: 0
    .sgpr_count:     24
    .sgpr_spill_count: 0
    .symbol:         _ZL13mul_mat_vec_qIL9ggml_type41ELi1ELb0ELb1EEvPKvS2_PKi31ggml_cuda_mm_fusion_args_devicePfj15HIP_vector_typeIjLj3EEjjjS8_jjjS8_jjjj.kd
    .uniform_work_group_size: 1
    .uses_dynamic_stack: false
    .vgpr_count:     50
    .vgpr_spill_count: 0
    .wavefront_size: 32
    .workgroup_processor_mode: 1
  - .args:
      - .address_space:  global
        .offset:         0
        .size:           8
        .value_kind:     global_buffer
      - .address_space:  global
        .offset:         8
        .size:           8
        .value_kind:     global_buffer
      - .address_space:  global
        .offset:         16
        .size:           8
        .value_kind:     global_buffer
      - .offset:         24
        .size:           32
        .value_kind:     by_value
      - .address_space:  global
        .offset:         56
        .size:           8
        .value_kind:     global_buffer
      - .offset:         64
        .size:           4
        .value_kind:     by_value
      - .offset:         68
        .size:           12
        .value_kind:     by_value
      - .offset:         80
        .size:           4
        .value_kind:     by_value
      - .offset:         84
        .size:           4
        .value_kind:     by_value
      - .offset:         88
        .size:           4
        .value_kind:     by_value
      - .offset:         92
        .size:           12
        .value_kind:     by_value
      - .offset:         104
        .size:           4
        .value_kind:     by_value
      - .offset:         108
        .size:           4
        .value_kind:     by_value
      - .offset:         112
        .size:           4
        .value_kind:     by_value
      - .offset:         116
        .size:           12
        .value_kind:     by_value
      - .offset:         128
        .size:           4
        .value_kind:     by_value
      - .offset:         132
        .size:           4
        .value_kind:     by_value
      - .offset:         136
        .size:           4
        .value_kind:     by_value
      - .offset:         140
        .size:           4
        .value_kind:     by_value
    .group_segment_fixed_size: 0
    .kernarg_segment_align: 8
    .kernarg_segment_size: 144
    .language:       OpenCL C
    .language_version:
      - 2
      - 0
    .max_flat_workgroup_size: 32
    .name:           _ZL13mul_mat_vec_qIL9ggml_type41ELi1ELb1ELb0EEvPKvS2_PKi31ggml_cuda_mm_fusion_args_devicePfj15HIP_vector_typeIjLj3EEjjjS8_jjjS8_jjjj
    .private_segment_fixed_size: 0
    .sgpr_count:     40
    .sgpr_spill_count: 0
    .symbol:         _ZL13mul_mat_vec_qIL9ggml_type41ELi1ELb1ELb0EEvPKvS2_PKi31ggml_cuda_mm_fusion_args_devicePfj15HIP_vector_typeIjLj3EEjjjS8_jjjS8_jjjj.kd
    .uniform_work_group_size: 1
    .uses_dynamic_stack: false
    .vgpr_count:     56
    .vgpr_spill_count: 0
    .wavefront_size: 32
    .workgroup_processor_mode: 1
  - .args:
      - .address_space:  global
        .offset:         0
        .size:           8
        .value_kind:     global_buffer
      - .address_space:  global
        .offset:         8
        .size:           8
        .value_kind:     global_buffer
      - .address_space:  global
        .offset:         16
        .size:           8
        .value_kind:     global_buffer
      - .offset:         24
        .size:           32
        .value_kind:     by_value
      - .address_space:  global
        .offset:         56
        .size:           8
        .value_kind:     global_buffer
      - .offset:         64
        .size:           4
        .value_kind:     by_value
      - .offset:         68
        .size:           12
        .value_kind:     by_value
      - .offset:         80
        .size:           4
        .value_kind:     by_value
      - .offset:         84
        .size:           4
        .value_kind:     by_value
      - .offset:         88
        .size:           4
        .value_kind:     by_value
      - .offset:         92
        .size:           12
        .value_kind:     by_value
      - .offset:         104
        .size:           4
        .value_kind:     by_value
      - .offset:         108
        .size:           4
        .value_kind:     by_value
      - .offset:         112
        .size:           4
        .value_kind:     by_value
      - .offset:         116
        .size:           12
        .value_kind:     by_value
      - .offset:         128
        .size:           4
        .value_kind:     by_value
      - .offset:         132
        .size:           4
        .value_kind:     by_value
      - .offset:         136
        .size:           4
        .value_kind:     by_value
      - .offset:         140
        .size:           4
        .value_kind:     by_value
    .group_segment_fixed_size: 0
    .kernarg_segment_align: 8
    .kernarg_segment_size: 144
    .language:       OpenCL C
    .language_version:
      - 2
      - 0
    .max_flat_workgroup_size: 32
    .name:           _ZL13mul_mat_vec_qIL9ggml_type41ELi1ELb0ELb0EEvPKvS2_PKi31ggml_cuda_mm_fusion_args_devicePfj15HIP_vector_typeIjLj3EEjjjS8_jjjS8_jjjj
    .private_segment_fixed_size: 0
    .sgpr_count:     24
    .sgpr_spill_count: 0
    .symbol:         _ZL13mul_mat_vec_qIL9ggml_type41ELi1ELb0ELb0EEvPKvS2_PKi31ggml_cuda_mm_fusion_args_devicePfj15HIP_vector_typeIjLj3EEjjjS8_jjjS8_jjjj.kd
    .uniform_work_group_size: 1
    .uses_dynamic_stack: false
    .vgpr_count:     50
    .vgpr_spill_count: 0
    .wavefront_size: 32
    .workgroup_processor_mode: 1
  - .args:
      - .address_space:  global
        .offset:         0
        .size:           8
        .value_kind:     global_buffer
      - .address_space:  global
        .offset:         8
        .size:           8
        .value_kind:     global_buffer
      - .address_space:  global
        .offset:         16
        .size:           8
        .value_kind:     global_buffer
      - .offset:         24
        .size:           32
        .value_kind:     by_value
      - .address_space:  global
        .offset:         56
        .size:           8
        .value_kind:     global_buffer
      - .offset:         64
        .size:           4
        .value_kind:     by_value
      - .offset:         68
        .size:           12
        .value_kind:     by_value
      - .offset:         80
        .size:           4
        .value_kind:     by_value
      - .offset:         84
        .size:           4
        .value_kind:     by_value
      - .offset:         88
        .size:           4
        .value_kind:     by_value
      - .offset:         92
        .size:           12
        .value_kind:     by_value
      - .offset:         104
        .size:           4
        .value_kind:     by_value
      - .offset:         108
        .size:           4
        .value_kind:     by_value
      - .offset:         112
        .size:           4
        .value_kind:     by_value
      - .offset:         116
        .size:           12
        .value_kind:     by_value
      - .offset:         128
        .size:           4
        .value_kind:     by_value
      - .offset:         132
        .size:           4
        .value_kind:     by_value
      - .offset:         136
        .size:           4
        .value_kind:     by_value
      - .offset:         140
        .size:           4
        .value_kind:     by_value
    .group_segment_fixed_size: 0
    .kernarg_segment_align: 8
    .kernarg_segment_size: 144
    .language:       OpenCL C
    .language_version:
      - 2
      - 0
    .max_flat_workgroup_size: 32
    .name:           _ZL13mul_mat_vec_qIL9ggml_type41ELi2ELb0ELb0EEvPKvS2_PKi31ggml_cuda_mm_fusion_args_devicePfj15HIP_vector_typeIjLj3EEjjjS8_jjjS8_jjjj
    .private_segment_fixed_size: 0
    .sgpr_count:     30
    .sgpr_spill_count: 0
    .symbol:         _ZL13mul_mat_vec_qIL9ggml_type41ELi2ELb0ELb0EEvPKvS2_PKi31ggml_cuda_mm_fusion_args_devicePfj15HIP_vector_typeIjLj3EEjjjS8_jjjS8_jjjj.kd
    .uniform_work_group_size: 1
    .uses_dynamic_stack: false
    .vgpr_count:     64
    .vgpr_spill_count: 0
    .wavefront_size: 32
    .workgroup_processor_mode: 1
  - .args:
      - .address_space:  global
        .offset:         0
        .size:           8
        .value_kind:     global_buffer
      - .address_space:  global
        .offset:         8
        .size:           8
        .value_kind:     global_buffer
      - .address_space:  global
        .offset:         16
        .size:           8
        .value_kind:     global_buffer
      - .offset:         24
        .size:           32
        .value_kind:     by_value
      - .address_space:  global
        .offset:         56
        .size:           8
        .value_kind:     global_buffer
      - .offset:         64
        .size:           4
        .value_kind:     by_value
      - .offset:         68
        .size:           12
        .value_kind:     by_value
      - .offset:         80
        .size:           4
        .value_kind:     by_value
      - .offset:         84
        .size:           4
        .value_kind:     by_value
      - .offset:         88
        .size:           4
        .value_kind:     by_value
      - .offset:         92
        .size:           12
        .value_kind:     by_value
      - .offset:         104
        .size:           4
        .value_kind:     by_value
      - .offset:         108
        .size:           4
        .value_kind:     by_value
      - .offset:         112
        .size:           4
        .value_kind:     by_value
      - .offset:         116
        .size:           12
        .value_kind:     by_value
      - .offset:         128
        .size:           4
        .value_kind:     by_value
      - .offset:         132
        .size:           4
        .value_kind:     by_value
      - .offset:         136
        .size:           4
        .value_kind:     by_value
      - .offset:         140
        .size:           4
        .value_kind:     by_value
    .group_segment_fixed_size: 0
    .kernarg_segment_align: 8
    .kernarg_segment_size: 144
    .language:       OpenCL C
    .language_version:
      - 2
      - 0
    .max_flat_workgroup_size: 32
    .name:           _ZL13mul_mat_vec_qIL9ggml_type41ELi3ELb0ELb0EEvPKvS2_PKi31ggml_cuda_mm_fusion_args_devicePfj15HIP_vector_typeIjLj3EEjjjS8_jjjS8_jjjj
    .private_segment_fixed_size: 0
    .sgpr_count:     32
    .sgpr_spill_count: 0
    .symbol:         _ZL13mul_mat_vec_qIL9ggml_type41ELi3ELb0ELb0EEvPKvS2_PKi31ggml_cuda_mm_fusion_args_devicePfj15HIP_vector_typeIjLj3EEjjjS8_jjjS8_jjjj.kd
    .uniform_work_group_size: 1
    .uses_dynamic_stack: false
    .vgpr_count:     75
    .vgpr_spill_count: 0
    .wavefront_size: 32
    .workgroup_processor_mode: 1
  - .args:
      - .address_space:  global
        .offset:         0
        .size:           8
        .value_kind:     global_buffer
      - .address_space:  global
        .offset:         8
        .size:           8
        .value_kind:     global_buffer
      - .address_space:  global
        .offset:         16
        .size:           8
        .value_kind:     global_buffer
      - .offset:         24
        .size:           32
        .value_kind:     by_value
      - .address_space:  global
        .offset:         56
        .size:           8
        .value_kind:     global_buffer
      - .offset:         64
        .size:           4
        .value_kind:     by_value
      - .offset:         68
        .size:           12
        .value_kind:     by_value
      - .offset:         80
        .size:           4
        .value_kind:     by_value
      - .offset:         84
        .size:           4
        .value_kind:     by_value
      - .offset:         88
        .size:           4
        .value_kind:     by_value
      - .offset:         92
        .size:           12
        .value_kind:     by_value
      - .offset:         104
        .size:           4
        .value_kind:     by_value
      - .offset:         108
        .size:           4
        .value_kind:     by_value
      - .offset:         112
        .size:           4
        .value_kind:     by_value
      - .offset:         116
        .size:           12
        .value_kind:     by_value
      - .offset:         128
        .size:           4
        .value_kind:     by_value
      - .offset:         132
        .size:           4
        .value_kind:     by_value
      - .offset:         136
        .size:           4
        .value_kind:     by_value
      - .offset:         140
        .size:           4
        .value_kind:     by_value
    .group_segment_fixed_size: 0
    .kernarg_segment_align: 8
    .kernarg_segment_size: 144
    .language:       OpenCL C
    .language_version:
      - 2
      - 0
    .max_flat_workgroup_size: 32
    .name:           _ZL13mul_mat_vec_qIL9ggml_type41ELi4ELb0ELb0EEvPKvS2_PKi31ggml_cuda_mm_fusion_args_devicePfj15HIP_vector_typeIjLj3EEjjjS8_jjjS8_jjjj
    .private_segment_fixed_size: 0
    .sgpr_count:     28
    .sgpr_spill_count: 0
    .symbol:         _ZL13mul_mat_vec_qIL9ggml_type41ELi4ELb0ELb0EEvPKvS2_PKi31ggml_cuda_mm_fusion_args_devicePfj15HIP_vector_typeIjLj3EEjjjS8_jjjS8_jjjj.kd
    .uniform_work_group_size: 1
    .uses_dynamic_stack: false
    .vgpr_count:     86
    .vgpr_spill_count: 0
    .wavefront_size: 32
    .workgroup_processor_mode: 1
  - .args:
      - .address_space:  global
        .offset:         0
        .size:           8
        .value_kind:     global_buffer
      - .address_space:  global
        .offset:         8
        .size:           8
        .value_kind:     global_buffer
      - .address_space:  global
        .offset:         16
        .size:           8
        .value_kind:     global_buffer
      - .offset:         24
        .size:           32
        .value_kind:     by_value
      - .address_space:  global
        .offset:         56
        .size:           8
        .value_kind:     global_buffer
      - .offset:         64
        .size:           4
        .value_kind:     by_value
      - .offset:         68
        .size:           12
        .value_kind:     by_value
      - .offset:         80
        .size:           4
        .value_kind:     by_value
      - .offset:         84
        .size:           4
        .value_kind:     by_value
      - .offset:         88
        .size:           4
        .value_kind:     by_value
      - .offset:         92
        .size:           12
        .value_kind:     by_value
      - .offset:         104
        .size:           4
        .value_kind:     by_value
      - .offset:         108
        .size:           4
        .value_kind:     by_value
      - .offset:         112
        .size:           4
        .value_kind:     by_value
      - .offset:         116
        .size:           12
        .value_kind:     by_value
      - .offset:         128
        .size:           4
        .value_kind:     by_value
      - .offset:         132
        .size:           4
        .value_kind:     by_value
      - .offset:         136
        .size:           4
        .value_kind:     by_value
      - .offset:         140
        .size:           4
        .value_kind:     by_value
    .group_segment_fixed_size: 0
    .kernarg_segment_align: 8
    .kernarg_segment_size: 144
    .language:       OpenCL C
    .language_version:
      - 2
      - 0
    .max_flat_workgroup_size: 32
    .name:           _ZL13mul_mat_vec_qIL9ggml_type41ELi5ELb0ELb0EEvPKvS2_PKi31ggml_cuda_mm_fusion_args_devicePfj15HIP_vector_typeIjLj3EEjjjS8_jjjS8_jjjj
    .private_segment_fixed_size: 0
    .sgpr_count:     31
    .sgpr_spill_count: 0
    .symbol:         _ZL13mul_mat_vec_qIL9ggml_type41ELi5ELb0ELb0EEvPKvS2_PKi31ggml_cuda_mm_fusion_args_devicePfj15HIP_vector_typeIjLj3EEjjjS8_jjjS8_jjjj.kd
    .uniform_work_group_size: 1
    .uses_dynamic_stack: false
    .vgpr_count:     88
    .vgpr_spill_count: 0
    .wavefront_size: 32
    .workgroup_processor_mode: 1
  - .args:
      - .address_space:  global
        .offset:         0
        .size:           8
        .value_kind:     global_buffer
      - .address_space:  global
        .offset:         8
        .size:           8
        .value_kind:     global_buffer
      - .address_space:  global
        .offset:         16
        .size:           8
        .value_kind:     global_buffer
      - .offset:         24
        .size:           32
        .value_kind:     by_value
      - .address_space:  global
        .offset:         56
        .size:           8
        .value_kind:     global_buffer
      - .offset:         64
        .size:           4
        .value_kind:     by_value
      - .offset:         68
        .size:           12
        .value_kind:     by_value
      - .offset:         80
        .size:           4
        .value_kind:     by_value
      - .offset:         84
        .size:           4
        .value_kind:     by_value
      - .offset:         88
        .size:           4
        .value_kind:     by_value
      - .offset:         92
        .size:           12
        .value_kind:     by_value
      - .offset:         104
        .size:           4
        .value_kind:     by_value
      - .offset:         108
        .size:           4
        .value_kind:     by_value
      - .offset:         112
        .size:           4
        .value_kind:     by_value
      - .offset:         116
        .size:           12
        .value_kind:     by_value
      - .offset:         128
        .size:           4
        .value_kind:     by_value
      - .offset:         132
        .size:           4
        .value_kind:     by_value
      - .offset:         136
        .size:           4
        .value_kind:     by_value
      - .offset:         140
        .size:           4
        .value_kind:     by_value
    .group_segment_fixed_size: 0
    .kernarg_segment_align: 8
    .kernarg_segment_size: 144
    .language:       OpenCL C
    .language_version:
      - 2
      - 0
    .max_flat_workgroup_size: 32
    .name:           _ZL13mul_mat_vec_qIL9ggml_type41ELi6ELb0ELb0EEvPKvS2_PKi31ggml_cuda_mm_fusion_args_devicePfj15HIP_vector_typeIjLj3EEjjjS8_jjjS8_jjjj
    .private_segment_fixed_size: 0
    .sgpr_count:     32
    .sgpr_spill_count: 0
    .symbol:         _ZL13mul_mat_vec_qIL9ggml_type41ELi6ELb0ELb0EEvPKvS2_PKi31ggml_cuda_mm_fusion_args_devicePfj15HIP_vector_typeIjLj3EEjjjS8_jjjS8_jjjj.kd
    .uniform_work_group_size: 1
    .uses_dynamic_stack: false
    .vgpr_count:     86
    .vgpr_spill_count: 0
    .wavefront_size: 32
    .workgroup_processor_mode: 1
  - .args:
      - .address_space:  global
        .offset:         0
        .size:           8
        .value_kind:     global_buffer
      - .address_space:  global
        .offset:         8
        .size:           8
        .value_kind:     global_buffer
      - .address_space:  global
        .offset:         16
        .size:           8
        .value_kind:     global_buffer
      - .offset:         24
        .size:           32
        .value_kind:     by_value
      - .address_space:  global
        .offset:         56
        .size:           8
        .value_kind:     global_buffer
      - .offset:         64
        .size:           4
        .value_kind:     by_value
      - .offset:         68
        .size:           12
        .value_kind:     by_value
      - .offset:         80
        .size:           4
        .value_kind:     by_value
      - .offset:         84
        .size:           4
        .value_kind:     by_value
      - .offset:         88
        .size:           4
        .value_kind:     by_value
      - .offset:         92
        .size:           12
        .value_kind:     by_value
      - .offset:         104
        .size:           4
        .value_kind:     by_value
      - .offset:         108
        .size:           4
        .value_kind:     by_value
      - .offset:         112
        .size:           4
        .value_kind:     by_value
      - .offset:         116
        .size:           12
        .value_kind:     by_value
      - .offset:         128
        .size:           4
        .value_kind:     by_value
      - .offset:         132
        .size:           4
        .value_kind:     by_value
      - .offset:         136
        .size:           4
        .value_kind:     by_value
      - .offset:         140
        .size:           4
        .value_kind:     by_value
    .group_segment_fixed_size: 0
    .kernarg_segment_align: 8
    .kernarg_segment_size: 144
    .language:       OpenCL C
    .language_version:
      - 2
      - 0
    .max_flat_workgroup_size: 32
    .name:           _ZL13mul_mat_vec_qIL9ggml_type41ELi7ELb0ELb0EEvPKvS2_PKi31ggml_cuda_mm_fusion_args_devicePfj15HIP_vector_typeIjLj3EEjjjS8_jjjS8_jjjj
    .private_segment_fixed_size: 0
    .sgpr_count:     32
    .sgpr_spill_count: 0
    .symbol:         _ZL13mul_mat_vec_qIL9ggml_type41ELi7ELb0ELb0EEvPKvS2_PKi31ggml_cuda_mm_fusion_args_devicePfj15HIP_vector_typeIjLj3EEjjjS8_jjjS8_jjjj.kd
    .uniform_work_group_size: 1
    .uses_dynamic_stack: false
    .vgpr_count:     92
    .vgpr_spill_count: 0
    .wavefront_size: 32
    .workgroup_processor_mode: 1
  - .args:
      - .address_space:  global
        .offset:         0
        .size:           8
        .value_kind:     global_buffer
      - .address_space:  global
        .offset:         8
        .size:           8
        .value_kind:     global_buffer
      - .address_space:  global
        .offset:         16
        .size:           8
        .value_kind:     global_buffer
      - .offset:         24
        .size:           32
        .value_kind:     by_value
      - .address_space:  global
        .offset:         56
        .size:           8
        .value_kind:     global_buffer
      - .offset:         64
        .size:           4
        .value_kind:     by_value
      - .offset:         68
        .size:           12
        .value_kind:     by_value
      - .offset:         80
        .size:           4
        .value_kind:     by_value
      - .offset:         84
        .size:           4
        .value_kind:     by_value
      - .offset:         88
        .size:           4
        .value_kind:     by_value
      - .offset:         92
        .size:           12
        .value_kind:     by_value
      - .offset:         104
        .size:           4
        .value_kind:     by_value
      - .offset:         108
        .size:           4
        .value_kind:     by_value
      - .offset:         112
        .size:           4
        .value_kind:     by_value
      - .offset:         116
        .size:           12
        .value_kind:     by_value
      - .offset:         128
        .size:           4
        .value_kind:     by_value
      - .offset:         132
        .size:           4
        .value_kind:     by_value
      - .offset:         136
        .size:           4
        .value_kind:     by_value
      - .offset:         140
        .size:           4
        .value_kind:     by_value
    .group_segment_fixed_size: 0
    .kernarg_segment_align: 8
    .kernarg_segment_size: 144
    .language:       OpenCL C
    .language_version:
      - 2
      - 0
    .max_flat_workgroup_size: 32
    .name:           _ZL13mul_mat_vec_qIL9ggml_type41ELi8ELb0ELb0EEvPKvS2_PKi31ggml_cuda_mm_fusion_args_devicePfj15HIP_vector_typeIjLj3EEjjjS8_jjjS8_jjjj
    .private_segment_fixed_size: 0
    .sgpr_count:     30
    .sgpr_spill_count: 0
    .symbol:         _ZL13mul_mat_vec_qIL9ggml_type41ELi8ELb0ELb0EEvPKvS2_PKi31ggml_cuda_mm_fusion_args_devicePfj15HIP_vector_typeIjLj3EEjjjS8_jjjS8_jjjj.kd
    .uniform_work_group_size: 1
    .uses_dynamic_stack: false
    .vgpr_count:     94
    .vgpr_spill_count: 0
    .wavefront_size: 32
    .workgroup_processor_mode: 1
  - .args:
      - .address_space:  global
        .offset:         0
        .size:           8
        .value_kind:     global_buffer
      - .address_space:  global
        .offset:         8
        .size:           8
        .value_kind:     global_buffer
      - .address_space:  global
        .offset:         16
        .size:           8
        .value_kind:     global_buffer
      - .address_space:  global
        .offset:         24
        .size:           8
        .value_kind:     global_buffer
      - .offset:         32
        .size:           4
        .value_kind:     by_value
      - .offset:         36
        .size:           12
        .value_kind:     by_value
      - .offset:         48
        .size:           4
        .value_kind:     by_value
      - .offset:         52
        .size:           4
        .value_kind:     by_value
      - .offset:         56
        .size:           4
        .value_kind:     by_value
      - .offset:         60
        .size:           4
        .value_kind:     by_value
      - .offset:         64
        .size:           4
        .value_kind:     by_value
      - .offset:         68
        .size:           4
        .value_kind:     by_value
      - .offset:         72
        .size:           4
        .value_kind:     by_value
      - .offset:         76
        .size:           4
        .value_kind:     by_value
      - .offset:         80
        .size:           4
        .value_kind:     by_value
    .group_segment_fixed_size: 0
    .kernarg_segment_align: 8
    .kernarg_segment_size: 84
    .language:       OpenCL C
    .language_version:
      - 2
      - 0
    .max_flat_workgroup_size: 224
    .name:           _ZL17mul_mat_vec_q_moeIL9ggml_type2ELi2EEvPKvS2_PKiPfj15HIP_vector_typeIjLj3EEjjjjjjjjj
    .private_segment_fixed_size: 0
    .sgpr_count:     26
    .sgpr_spill_count: 0
    .symbol:         _ZL17mul_mat_vec_q_moeIL9ggml_type2ELi2EEvPKvS2_PKiPfj15HIP_vector_typeIjLj3EEjjjjjjjjj.kd
    .uniform_work_group_size: 1
    .uses_dynamic_stack: false
    .vgpr_count:     25
    .vgpr_spill_count: 0
    .wavefront_size: 32
    .workgroup_processor_mode: 1
  - .args:
      - .address_space:  global
        .offset:         0
        .size:           8
        .value_kind:     global_buffer
      - .address_space:  global
        .offset:         8
        .size:           8
        .value_kind:     global_buffer
      - .address_space:  global
        .offset:         16
        .size:           8
        .value_kind:     global_buffer
      - .offset:         24
        .size:           32
        .value_kind:     by_value
      - .address_space:  global
        .offset:         56
        .size:           8
        .value_kind:     global_buffer
      - .offset:         64
        .size:           4
        .value_kind:     by_value
      - .offset:         68
        .size:           12
        .value_kind:     by_value
      - .offset:         80
        .size:           4
        .value_kind:     by_value
      - .offset:         84
        .size:           4
        .value_kind:     by_value
      - .offset:         88
        .size:           4
        .value_kind:     by_value
      - .offset:         92
        .size:           12
        .value_kind:     by_value
      - .offset:         104
        .size:           4
        .value_kind:     by_value
      - .offset:         108
        .size:           4
        .value_kind:     by_value
      - .offset:         112
        .size:           4
        .value_kind:     by_value
      - .offset:         116
        .size:           12
        .value_kind:     by_value
      - .offset:         128
        .size:           4
        .value_kind:     by_value
      - .offset:         132
        .size:           4
        .value_kind:     by_value
      - .offset:         136
        .size:           4
        .value_kind:     by_value
      - .offset:         140
        .size:           4
        .value_kind:     by_value
    .group_segment_fixed_size: 1792
    .kernarg_segment_align: 8
    .kernarg_segment_size: 144
    .language:       OpenCL C
    .language_version:
      - 2
      - 0
    .max_flat_workgroup_size: 256
    .name:           _ZL13mul_mat_vec_qIL9ggml_type2ELi1ELb1ELb1EEvPKvS2_PKi31ggml_cuda_mm_fusion_args_devicePfj15HIP_vector_typeIjLj3EEjjjS8_jjjS8_jjjj
    .private_segment_fixed_size: 0
    .sgpr_count:     40
    .sgpr_spill_count: 0
    .symbol:         _ZL13mul_mat_vec_qIL9ggml_type2ELi1ELb1ELb1EEvPKvS2_PKi31ggml_cuda_mm_fusion_args_devicePfj15HIP_vector_typeIjLj3EEjjjS8_jjjS8_jjjj.kd
    .uniform_work_group_size: 1
    .uses_dynamic_stack: false
    .vgpr_count:     27
    .vgpr_spill_count: 0
    .wavefront_size: 32
    .workgroup_processor_mode: 1
  - .args:
      - .address_space:  global
        .offset:         0
        .size:           8
        .value_kind:     global_buffer
      - .address_space:  global
        .offset:         8
        .size:           8
        .value_kind:     global_buffer
      - .address_space:  global
        .offset:         16
        .size:           8
        .value_kind:     global_buffer
      - .offset:         24
        .size:           32
        .value_kind:     by_value
      - .address_space:  global
        .offset:         56
        .size:           8
        .value_kind:     global_buffer
      - .offset:         64
        .size:           4
        .value_kind:     by_value
      - .offset:         68
        .size:           12
        .value_kind:     by_value
      - .offset:         80
        .size:           4
        .value_kind:     by_value
      - .offset:         84
        .size:           4
        .value_kind:     by_value
      - .offset:         88
        .size:           4
        .value_kind:     by_value
      - .offset:         92
        .size:           12
        .value_kind:     by_value
      - .offset:         104
        .size:           4
        .value_kind:     by_value
      - .offset:         108
        .size:           4
        .value_kind:     by_value
      - .offset:         112
        .size:           4
        .value_kind:     by_value
      - .offset:         116
        .size:           12
        .value_kind:     by_value
      - .offset:         128
        .size:           4
        .value_kind:     by_value
      - .offset:         132
        .size:           4
        .value_kind:     by_value
      - .offset:         136
        .size:           4
        .value_kind:     by_value
      - .offset:         140
        .size:           4
        .value_kind:     by_value
    .group_segment_fixed_size: 896
    .kernarg_segment_align: 8
    .kernarg_segment_size: 144
    .language:       OpenCL C
    .language_version:
      - 2
      - 0
    .max_flat_workgroup_size: 256
    .name:           _ZL13mul_mat_vec_qIL9ggml_type2ELi1ELb0ELb1EEvPKvS2_PKi31ggml_cuda_mm_fusion_args_devicePfj15HIP_vector_typeIjLj3EEjjjS8_jjjS8_jjjj
    .private_segment_fixed_size: 0
    .sgpr_count:     26
    .sgpr_spill_count: 0
    .symbol:         _ZL13mul_mat_vec_qIL9ggml_type2ELi1ELb0ELb1EEvPKvS2_PKi31ggml_cuda_mm_fusion_args_devicePfj15HIP_vector_typeIjLj3EEjjjS8_jjjS8_jjjj.kd
    .uniform_work_group_size: 1
    .uses_dynamic_stack: false
    .vgpr_count:     18
    .vgpr_spill_count: 0
    .wavefront_size: 32
    .workgroup_processor_mode: 1
  - .args:
      - .address_space:  global
        .offset:         0
        .size:           8
        .value_kind:     global_buffer
      - .address_space:  global
        .offset:         8
        .size:           8
        .value_kind:     global_buffer
      - .address_space:  global
        .offset:         16
        .size:           8
        .value_kind:     global_buffer
      - .offset:         24
        .size:           32
        .value_kind:     by_value
      - .address_space:  global
        .offset:         56
        .size:           8
        .value_kind:     global_buffer
      - .offset:         64
        .size:           4
        .value_kind:     by_value
      - .offset:         68
        .size:           12
        .value_kind:     by_value
      - .offset:         80
        .size:           4
        .value_kind:     by_value
      - .offset:         84
        .size:           4
        .value_kind:     by_value
      - .offset:         88
        .size:           4
        .value_kind:     by_value
      - .offset:         92
        .size:           12
        .value_kind:     by_value
      - .offset:         104
        .size:           4
        .value_kind:     by_value
      - .offset:         108
        .size:           4
        .value_kind:     by_value
      - .offset:         112
        .size:           4
        .value_kind:     by_value
      - .offset:         116
        .size:           12
        .value_kind:     by_value
      - .offset:         128
        .size:           4
        .value_kind:     by_value
      - .offset:         132
        .size:           4
        .value_kind:     by_value
      - .offset:         136
        .size:           4
        .value_kind:     by_value
      - .offset:         140
        .size:           4
        .value_kind:     by_value
    .group_segment_fixed_size: 1792
    .kernarg_segment_align: 8
    .kernarg_segment_size: 144
    .language:       OpenCL C
    .language_version:
      - 2
      - 0
    .max_flat_workgroup_size: 256
    .name:           _ZL13mul_mat_vec_qIL9ggml_type2ELi1ELb1ELb0EEvPKvS2_PKi31ggml_cuda_mm_fusion_args_devicePfj15HIP_vector_typeIjLj3EEjjjS8_jjjS8_jjjj
    .private_segment_fixed_size: 0
    .sgpr_count:     40
    .sgpr_spill_count: 0
    .symbol:         _ZL13mul_mat_vec_qIL9ggml_type2ELi1ELb1ELb0EEvPKvS2_PKi31ggml_cuda_mm_fusion_args_devicePfj15HIP_vector_typeIjLj3EEjjjS8_jjjS8_jjjj.kd
    .uniform_work_group_size: 1
    .uses_dynamic_stack: false
    .vgpr_count:     27
    .vgpr_spill_count: 0
    .wavefront_size: 32
    .workgroup_processor_mode: 1
  - .args:
      - .address_space:  global
        .offset:         0
        .size:           8
        .value_kind:     global_buffer
      - .address_space:  global
        .offset:         8
        .size:           8
        .value_kind:     global_buffer
      - .address_space:  global
        .offset:         16
        .size:           8
        .value_kind:     global_buffer
      - .offset:         24
        .size:           32
        .value_kind:     by_value
      - .address_space:  global
        .offset:         56
        .size:           8
        .value_kind:     global_buffer
      - .offset:         64
        .size:           4
        .value_kind:     by_value
      - .offset:         68
        .size:           12
        .value_kind:     by_value
      - .offset:         80
        .size:           4
        .value_kind:     by_value
      - .offset:         84
        .size:           4
        .value_kind:     by_value
      - .offset:         88
        .size:           4
        .value_kind:     by_value
      - .offset:         92
        .size:           12
        .value_kind:     by_value
      - .offset:         104
        .size:           4
        .value_kind:     by_value
      - .offset:         108
        .size:           4
        .value_kind:     by_value
      - .offset:         112
        .size:           4
        .value_kind:     by_value
      - .offset:         116
        .size:           12
        .value_kind:     by_value
      - .offset:         128
        .size:           4
        .value_kind:     by_value
      - .offset:         132
        .size:           4
        .value_kind:     by_value
      - .offset:         136
        .size:           4
        .value_kind:     by_value
      - .offset:         140
        .size:           4
        .value_kind:     by_value
    .group_segment_fixed_size: 896
    .kernarg_segment_align: 8
    .kernarg_segment_size: 144
    .language:       OpenCL C
    .language_version:
      - 2
      - 0
    .max_flat_workgroup_size: 256
    .name:           _ZL13mul_mat_vec_qIL9ggml_type2ELi1ELb0ELb0EEvPKvS2_PKi31ggml_cuda_mm_fusion_args_devicePfj15HIP_vector_typeIjLj3EEjjjS8_jjjS8_jjjj
    .private_segment_fixed_size: 0
    .sgpr_count:     26
    .sgpr_spill_count: 0
    .symbol:         _ZL13mul_mat_vec_qIL9ggml_type2ELi1ELb0ELb0EEvPKvS2_PKi31ggml_cuda_mm_fusion_args_devicePfj15HIP_vector_typeIjLj3EEjjjS8_jjjS8_jjjj.kd
    .uniform_work_group_size: 1
    .uses_dynamic_stack: false
    .vgpr_count:     18
    .vgpr_spill_count: 0
    .wavefront_size: 32
    .workgroup_processor_mode: 1
  - .args:
      - .address_space:  global
        .offset:         0
        .size:           8
        .value_kind:     global_buffer
      - .address_space:  global
        .offset:         8
        .size:           8
        .value_kind:     global_buffer
      - .address_space:  global
        .offset:         16
        .size:           8
        .value_kind:     global_buffer
      - .offset:         24
        .size:           32
        .value_kind:     by_value
      - .address_space:  global
        .offset:         56
        .size:           8
        .value_kind:     global_buffer
      - .offset:         64
        .size:           4
        .value_kind:     by_value
      - .offset:         68
        .size:           12
        .value_kind:     by_value
      - .offset:         80
        .size:           4
        .value_kind:     by_value
      - .offset:         84
        .size:           4
        .value_kind:     by_value
      - .offset:         88
        .size:           4
        .value_kind:     by_value
      - .offset:         92
        .size:           12
        .value_kind:     by_value
      - .offset:         104
        .size:           4
        .value_kind:     by_value
      - .offset:         108
        .size:           4
        .value_kind:     by_value
      - .offset:         112
        .size:           4
        .value_kind:     by_value
      - .offset:         116
        .size:           12
        .value_kind:     by_value
      - .offset:         128
        .size:           4
        .value_kind:     by_value
      - .offset:         132
        .size:           4
        .value_kind:     by_value
      - .offset:         136
        .size:           4
        .value_kind:     by_value
      - .offset:         140
        .size:           4
        .value_kind:     by_value
    .group_segment_fixed_size: 0
    .kernarg_segment_align: 8
    .kernarg_segment_size: 144
    .language:       OpenCL C
    .language_version:
      - 2
      - 0
    .max_flat_workgroup_size: 32
    .name:           _ZL13mul_mat_vec_qIL9ggml_type2ELi2ELb0ELb0EEvPKvS2_PKi31ggml_cuda_mm_fusion_args_devicePfj15HIP_vector_typeIjLj3EEjjjS8_jjjS8_jjjj
    .private_segment_fixed_size: 0
    .sgpr_count:     32
    .sgpr_spill_count: 0
    .symbol:         _ZL13mul_mat_vec_qIL9ggml_type2ELi2ELb0ELb0EEvPKvS2_PKi31ggml_cuda_mm_fusion_args_devicePfj15HIP_vector_typeIjLj3EEjjjS8_jjjS8_jjjj.kd
    .uniform_work_group_size: 1
    .uses_dynamic_stack: false
    .vgpr_count:     25
    .vgpr_spill_count: 0
    .wavefront_size: 32
    .workgroup_processor_mode: 1
  - .args:
      - .address_space:  global
        .offset:         0
        .size:           8
        .value_kind:     global_buffer
      - .address_space:  global
        .offset:         8
        .size:           8
        .value_kind:     global_buffer
      - .address_space:  global
        .offset:         16
        .size:           8
        .value_kind:     global_buffer
      - .offset:         24
        .size:           32
        .value_kind:     by_value
      - .address_space:  global
        .offset:         56
        .size:           8
        .value_kind:     global_buffer
      - .offset:         64
        .size:           4
        .value_kind:     by_value
      - .offset:         68
        .size:           12
        .value_kind:     by_value
      - .offset:         80
        .size:           4
        .value_kind:     by_value
      - .offset:         84
        .size:           4
        .value_kind:     by_value
      - .offset:         88
        .size:           4
        .value_kind:     by_value
      - .offset:         92
        .size:           12
        .value_kind:     by_value
      - .offset:         104
        .size:           4
        .value_kind:     by_value
      - .offset:         108
        .size:           4
        .value_kind:     by_value
      - .offset:         112
        .size:           4
        .value_kind:     by_value
      - .offset:         116
        .size:           12
        .value_kind:     by_value
      - .offset:         128
        .size:           4
        .value_kind:     by_value
      - .offset:         132
        .size:           4
        .value_kind:     by_value
      - .offset:         136
        .size:           4
        .value_kind:     by_value
      - .offset:         140
        .size:           4
        .value_kind:     by_value
    .group_segment_fixed_size: 0
    .kernarg_segment_align: 8
    .kernarg_segment_size: 144
    .language:       OpenCL C
    .language_version:
      - 2
      - 0
    .max_flat_workgroup_size: 32
    .name:           _ZL13mul_mat_vec_qIL9ggml_type2ELi3ELb0ELb0EEvPKvS2_PKi31ggml_cuda_mm_fusion_args_devicePfj15HIP_vector_typeIjLj3EEjjjS8_jjjS8_jjjj
    .private_segment_fixed_size: 0
    .sgpr_count:     32
    .sgpr_spill_count: 0
    .symbol:         _ZL13mul_mat_vec_qIL9ggml_type2ELi3ELb0ELb0EEvPKvS2_PKi31ggml_cuda_mm_fusion_args_devicePfj15HIP_vector_typeIjLj3EEjjjS8_jjjS8_jjjj.kd
    .uniform_work_group_size: 1
    .uses_dynamic_stack: false
    .vgpr_count:     34
    .vgpr_spill_count: 0
    .wavefront_size: 32
    .workgroup_processor_mode: 1
  - .args:
      - .address_space:  global
        .offset:         0
        .size:           8
        .value_kind:     global_buffer
      - .address_space:  global
        .offset:         8
        .size:           8
        .value_kind:     global_buffer
      - .address_space:  global
        .offset:         16
        .size:           8
        .value_kind:     global_buffer
      - .offset:         24
        .size:           32
        .value_kind:     by_value
      - .address_space:  global
        .offset:         56
        .size:           8
        .value_kind:     global_buffer
      - .offset:         64
        .size:           4
        .value_kind:     by_value
      - .offset:         68
        .size:           12
        .value_kind:     by_value
      - .offset:         80
        .size:           4
        .value_kind:     by_value
      - .offset:         84
        .size:           4
        .value_kind:     by_value
      - .offset:         88
        .size:           4
        .value_kind:     by_value
      - .offset:         92
        .size:           12
        .value_kind:     by_value
      - .offset:         104
        .size:           4
        .value_kind:     by_value
      - .offset:         108
        .size:           4
        .value_kind:     by_value
      - .offset:         112
        .size:           4
        .value_kind:     by_value
      - .offset:         116
        .size:           12
        .value_kind:     by_value
      - .offset:         128
        .size:           4
        .value_kind:     by_value
      - .offset:         132
        .size:           4
        .value_kind:     by_value
      - .offset:         136
        .size:           4
        .value_kind:     by_value
      - .offset:         140
        .size:           4
        .value_kind:     by_value
    .group_segment_fixed_size: 0
    .kernarg_segment_align: 8
    .kernarg_segment_size: 144
    .language:       OpenCL C
    .language_version:
      - 2
      - 0
    .max_flat_workgroup_size: 32
    .name:           _ZL13mul_mat_vec_qIL9ggml_type2ELi4ELb0ELb0EEvPKvS2_PKi31ggml_cuda_mm_fusion_args_devicePfj15HIP_vector_typeIjLj3EEjjjS8_jjjS8_jjjj
    .private_segment_fixed_size: 0
    .sgpr_count:     32
    .sgpr_spill_count: 0
    .symbol:         _ZL13mul_mat_vec_qIL9ggml_type2ELi4ELb0ELb0EEvPKvS2_PKi31ggml_cuda_mm_fusion_args_devicePfj15HIP_vector_typeIjLj3EEjjjS8_jjjS8_jjjj.kd
    .uniform_work_group_size: 1
    .uses_dynamic_stack: false
    .vgpr_count:     41
    .vgpr_spill_count: 0
    .wavefront_size: 32
    .workgroup_processor_mode: 1
  - .args:
      - .address_space:  global
        .offset:         0
        .size:           8
        .value_kind:     global_buffer
      - .address_space:  global
        .offset:         8
        .size:           8
        .value_kind:     global_buffer
      - .address_space:  global
        .offset:         16
        .size:           8
        .value_kind:     global_buffer
      - .offset:         24
        .size:           32
        .value_kind:     by_value
      - .address_space:  global
        .offset:         56
        .size:           8
        .value_kind:     global_buffer
      - .offset:         64
        .size:           4
        .value_kind:     by_value
      - .offset:         68
        .size:           12
        .value_kind:     by_value
      - .offset:         80
        .size:           4
        .value_kind:     by_value
      - .offset:         84
        .size:           4
        .value_kind:     by_value
      - .offset:         88
        .size:           4
        .value_kind:     by_value
      - .offset:         92
        .size:           12
        .value_kind:     by_value
      - .offset:         104
        .size:           4
        .value_kind:     by_value
      - .offset:         108
        .size:           4
        .value_kind:     by_value
      - .offset:         112
        .size:           4
        .value_kind:     by_value
      - .offset:         116
        .size:           12
        .value_kind:     by_value
      - .offset:         128
        .size:           4
        .value_kind:     by_value
      - .offset:         132
        .size:           4
        .value_kind:     by_value
      - .offset:         136
        .size:           4
        .value_kind:     by_value
      - .offset:         140
        .size:           4
        .value_kind:     by_value
    .group_segment_fixed_size: 0
    .kernarg_segment_align: 8
    .kernarg_segment_size: 144
    .language:       OpenCL C
    .language_version:
      - 2
      - 0
    .max_flat_workgroup_size: 32
    .name:           _ZL13mul_mat_vec_qIL9ggml_type2ELi5ELb0ELb0EEvPKvS2_PKi31ggml_cuda_mm_fusion_args_devicePfj15HIP_vector_typeIjLj3EEjjjS8_jjjS8_jjjj
    .private_segment_fixed_size: 0
    .sgpr_count:     32
    .sgpr_spill_count: 0
    .symbol:         _ZL13mul_mat_vec_qIL9ggml_type2ELi5ELb0ELb0EEvPKvS2_PKi31ggml_cuda_mm_fusion_args_devicePfj15HIP_vector_typeIjLj3EEjjjS8_jjjS8_jjjj.kd
    .uniform_work_group_size: 1
    .uses_dynamic_stack: false
    .vgpr_count:     48
    .vgpr_spill_count: 0
    .wavefront_size: 32
    .workgroup_processor_mode: 1
  - .args:
      - .address_space:  global
        .offset:         0
        .size:           8
        .value_kind:     global_buffer
      - .address_space:  global
        .offset:         8
        .size:           8
        .value_kind:     global_buffer
      - .address_space:  global
        .offset:         16
        .size:           8
        .value_kind:     global_buffer
      - .offset:         24
        .size:           32
        .value_kind:     by_value
      - .address_space:  global
        .offset:         56
        .size:           8
        .value_kind:     global_buffer
      - .offset:         64
        .size:           4
        .value_kind:     by_value
      - .offset:         68
        .size:           12
        .value_kind:     by_value
      - .offset:         80
        .size:           4
        .value_kind:     by_value
      - .offset:         84
        .size:           4
        .value_kind:     by_value
      - .offset:         88
        .size:           4
        .value_kind:     by_value
      - .offset:         92
        .size:           12
        .value_kind:     by_value
      - .offset:         104
        .size:           4
        .value_kind:     by_value
      - .offset:         108
        .size:           4
        .value_kind:     by_value
      - .offset:         112
        .size:           4
        .value_kind:     by_value
      - .offset:         116
        .size:           12
        .value_kind:     by_value
      - .offset:         128
        .size:           4
        .value_kind:     by_value
      - .offset:         132
        .size:           4
        .value_kind:     by_value
      - .offset:         136
        .size:           4
        .value_kind:     by_value
      - .offset:         140
        .size:           4
        .value_kind:     by_value
    .group_segment_fixed_size: 0
    .kernarg_segment_align: 8
    .kernarg_segment_size: 144
    .language:       OpenCL C
    .language_version:
      - 2
      - 0
    .max_flat_workgroup_size: 32
    .name:           _ZL13mul_mat_vec_qIL9ggml_type2ELi6ELb0ELb0EEvPKvS2_PKi31ggml_cuda_mm_fusion_args_devicePfj15HIP_vector_typeIjLj3EEjjjS8_jjjS8_jjjj
    .private_segment_fixed_size: 0
    .sgpr_count:     32
    .sgpr_spill_count: 0
    .symbol:         _ZL13mul_mat_vec_qIL9ggml_type2ELi6ELb0ELb0EEvPKvS2_PKi31ggml_cuda_mm_fusion_args_devicePfj15HIP_vector_typeIjLj3EEjjjS8_jjjS8_jjjj.kd
    .uniform_work_group_size: 1
    .uses_dynamic_stack: false
    .vgpr_count:     55
    .vgpr_spill_count: 0
    .wavefront_size: 32
    .workgroup_processor_mode: 1
  - .args:
      - .address_space:  global
        .offset:         0
        .size:           8
        .value_kind:     global_buffer
      - .address_space:  global
        .offset:         8
        .size:           8
        .value_kind:     global_buffer
      - .address_space:  global
        .offset:         16
        .size:           8
        .value_kind:     global_buffer
      - .offset:         24
        .size:           32
        .value_kind:     by_value
      - .address_space:  global
        .offset:         56
        .size:           8
        .value_kind:     global_buffer
      - .offset:         64
        .size:           4
        .value_kind:     by_value
      - .offset:         68
        .size:           12
        .value_kind:     by_value
      - .offset:         80
        .size:           4
        .value_kind:     by_value
      - .offset:         84
        .size:           4
        .value_kind:     by_value
      - .offset:         88
        .size:           4
        .value_kind:     by_value
      - .offset:         92
        .size:           12
        .value_kind:     by_value
      - .offset:         104
        .size:           4
        .value_kind:     by_value
      - .offset:         108
        .size:           4
        .value_kind:     by_value
      - .offset:         112
        .size:           4
        .value_kind:     by_value
      - .offset:         116
        .size:           12
        .value_kind:     by_value
      - .offset:         128
        .size:           4
        .value_kind:     by_value
      - .offset:         132
        .size:           4
        .value_kind:     by_value
      - .offset:         136
        .size:           4
        .value_kind:     by_value
      - .offset:         140
        .size:           4
        .value_kind:     by_value
    .group_segment_fixed_size: 0
    .kernarg_segment_align: 8
    .kernarg_segment_size: 144
    .language:       OpenCL C
    .language_version:
      - 2
      - 0
    .max_flat_workgroup_size: 32
    .name:           _ZL13mul_mat_vec_qIL9ggml_type2ELi7ELb0ELb0EEvPKvS2_PKi31ggml_cuda_mm_fusion_args_devicePfj15HIP_vector_typeIjLj3EEjjjS8_jjjS8_jjjj
    .private_segment_fixed_size: 0
    .sgpr_count:     32
    .sgpr_spill_count: 0
    .symbol:         _ZL13mul_mat_vec_qIL9ggml_type2ELi7ELb0ELb0EEvPKvS2_PKi31ggml_cuda_mm_fusion_args_devicePfj15HIP_vector_typeIjLj3EEjjjS8_jjjS8_jjjj.kd
    .uniform_work_group_size: 1
    .uses_dynamic_stack: false
    .vgpr_count:     62
    .vgpr_spill_count: 0
    .wavefront_size: 32
    .workgroup_processor_mode: 1
  - .args:
      - .address_space:  global
        .offset:         0
        .size:           8
        .value_kind:     global_buffer
      - .address_space:  global
        .offset:         8
        .size:           8
        .value_kind:     global_buffer
      - .address_space:  global
        .offset:         16
        .size:           8
        .value_kind:     global_buffer
      - .offset:         24
        .size:           32
        .value_kind:     by_value
      - .address_space:  global
        .offset:         56
        .size:           8
        .value_kind:     global_buffer
      - .offset:         64
        .size:           4
        .value_kind:     by_value
      - .offset:         68
        .size:           12
        .value_kind:     by_value
      - .offset:         80
        .size:           4
        .value_kind:     by_value
      - .offset:         84
        .size:           4
        .value_kind:     by_value
      - .offset:         88
        .size:           4
        .value_kind:     by_value
      - .offset:         92
        .size:           12
        .value_kind:     by_value
      - .offset:         104
        .size:           4
        .value_kind:     by_value
      - .offset:         108
        .size:           4
        .value_kind:     by_value
      - .offset:         112
        .size:           4
        .value_kind:     by_value
      - .offset:         116
        .size:           12
        .value_kind:     by_value
      - .offset:         128
        .size:           4
        .value_kind:     by_value
      - .offset:         132
        .size:           4
        .value_kind:     by_value
      - .offset:         136
        .size:           4
        .value_kind:     by_value
      - .offset:         140
        .size:           4
        .value_kind:     by_value
    .group_segment_fixed_size: 0
    .kernarg_segment_align: 8
    .kernarg_segment_size: 144
    .language:       OpenCL C
    .language_version:
      - 2
      - 0
    .max_flat_workgroup_size: 32
    .name:           _ZL13mul_mat_vec_qIL9ggml_type2ELi8ELb0ELb0EEvPKvS2_PKi31ggml_cuda_mm_fusion_args_devicePfj15HIP_vector_typeIjLj3EEjjjS8_jjjS8_jjjj
    .private_segment_fixed_size: 0
    .sgpr_count:     32
    .sgpr_spill_count: 0
    .symbol:         _ZL13mul_mat_vec_qIL9ggml_type2ELi8ELb0ELb0EEvPKvS2_PKi31ggml_cuda_mm_fusion_args_devicePfj15HIP_vector_typeIjLj3EEjjjS8_jjjS8_jjjj.kd
    .uniform_work_group_size: 1
    .uses_dynamic_stack: false
    .vgpr_count:     69
    .vgpr_spill_count: 0
    .wavefront_size: 32
    .workgroup_processor_mode: 1
  - .args:
      - .address_space:  global
        .offset:         0
        .size:           8
        .value_kind:     global_buffer
      - .address_space:  global
        .offset:         8
        .size:           8
        .value_kind:     global_buffer
      - .address_space:  global
        .offset:         16
        .size:           8
        .value_kind:     global_buffer
      - .address_space:  global
        .offset:         24
        .size:           8
        .value_kind:     global_buffer
      - .offset:         32
        .size:           4
        .value_kind:     by_value
      - .offset:         36
        .size:           12
        .value_kind:     by_value
      - .offset:         48
        .size:           4
        .value_kind:     by_value
      - .offset:         52
        .size:           4
        .value_kind:     by_value
      - .offset:         56
        .size:           4
        .value_kind:     by_value
      - .offset:         60
        .size:           4
        .value_kind:     by_value
      - .offset:         64
        .size:           4
        .value_kind:     by_value
      - .offset:         68
        .size:           4
        .value_kind:     by_value
      - .offset:         72
        .size:           4
        .value_kind:     by_value
      - .offset:         76
        .size:           4
        .value_kind:     by_value
      - .offset:         80
        .size:           4
        .value_kind:     by_value
    .group_segment_fixed_size: 0
    .kernarg_segment_align: 8
    .kernarg_segment_size: 84
    .language:       OpenCL C
    .language_version:
      - 2
      - 0
    .max_flat_workgroup_size: 224
    .name:           _ZL17mul_mat_vec_q_moeIL9ggml_type3ELi2EEvPKvS2_PKiPfj15HIP_vector_typeIjLj3EEjjjjjjjjj
    .private_segment_fixed_size: 0
    .sgpr_count:     26
    .sgpr_spill_count: 0
    .symbol:         _ZL17mul_mat_vec_q_moeIL9ggml_type3ELi2EEvPKvS2_PKiPfj15HIP_vector_typeIjLj3EEjjjjjjjjj.kd
    .uniform_work_group_size: 1
    .uses_dynamic_stack: false
    .vgpr_count:     26
    .vgpr_spill_count: 0
    .wavefront_size: 32
    .workgroup_processor_mode: 1
  - .args:
      - .address_space:  global
        .offset:         0
        .size:           8
        .value_kind:     global_buffer
      - .address_space:  global
        .offset:         8
        .size:           8
        .value_kind:     global_buffer
      - .address_space:  global
        .offset:         16
        .size:           8
        .value_kind:     global_buffer
      - .offset:         24
        .size:           32
        .value_kind:     by_value
      - .address_space:  global
        .offset:         56
        .size:           8
        .value_kind:     global_buffer
      - .offset:         64
        .size:           4
        .value_kind:     by_value
      - .offset:         68
        .size:           12
        .value_kind:     by_value
      - .offset:         80
        .size:           4
        .value_kind:     by_value
      - .offset:         84
        .size:           4
        .value_kind:     by_value
      - .offset:         88
        .size:           4
        .value_kind:     by_value
      - .offset:         92
        .size:           12
        .value_kind:     by_value
      - .offset:         104
        .size:           4
        .value_kind:     by_value
      - .offset:         108
        .size:           4
        .value_kind:     by_value
      - .offset:         112
        .size:           4
        .value_kind:     by_value
      - .offset:         116
        .size:           12
        .value_kind:     by_value
      - .offset:         128
        .size:           4
        .value_kind:     by_value
      - .offset:         132
        .size:           4
        .value_kind:     by_value
      - .offset:         136
        .size:           4
        .value_kind:     by_value
      - .offset:         140
        .size:           4
        .value_kind:     by_value
    .group_segment_fixed_size: 1792
    .kernarg_segment_align: 8
    .kernarg_segment_size: 144
    .language:       OpenCL C
    .language_version:
      - 2
      - 0
    .max_flat_workgroup_size: 256
    .name:           _ZL13mul_mat_vec_qIL9ggml_type3ELi1ELb1ELb1EEvPKvS2_PKi31ggml_cuda_mm_fusion_args_devicePfj15HIP_vector_typeIjLj3EEjjjS8_jjjS8_jjjj
    .private_segment_fixed_size: 0
    .sgpr_count:     40
    .sgpr_spill_count: 0
    .symbol:         _ZL13mul_mat_vec_qIL9ggml_type3ELi1ELb1ELb1EEvPKvS2_PKi31ggml_cuda_mm_fusion_args_devicePfj15HIP_vector_typeIjLj3EEjjjS8_jjjS8_jjjj.kd
    .uniform_work_group_size: 1
    .uses_dynamic_stack: false
    .vgpr_count:     26
    .vgpr_spill_count: 0
    .wavefront_size: 32
    .workgroup_processor_mode: 1
  - .args:
      - .address_space:  global
        .offset:         0
        .size:           8
        .value_kind:     global_buffer
      - .address_space:  global
        .offset:         8
        .size:           8
        .value_kind:     global_buffer
      - .address_space:  global
        .offset:         16
        .size:           8
        .value_kind:     global_buffer
      - .offset:         24
        .size:           32
        .value_kind:     by_value
      - .address_space:  global
        .offset:         56
        .size:           8
        .value_kind:     global_buffer
      - .offset:         64
        .size:           4
        .value_kind:     by_value
      - .offset:         68
        .size:           12
        .value_kind:     by_value
      - .offset:         80
        .size:           4
        .value_kind:     by_value
      - .offset:         84
        .size:           4
        .value_kind:     by_value
      - .offset:         88
        .size:           4
        .value_kind:     by_value
      - .offset:         92
        .size:           12
        .value_kind:     by_value
      - .offset:         104
        .size:           4
        .value_kind:     by_value
      - .offset:         108
        .size:           4
        .value_kind:     by_value
      - .offset:         112
        .size:           4
        .value_kind:     by_value
      - .offset:         116
        .size:           12
        .value_kind:     by_value
      - .offset:         128
        .size:           4
        .value_kind:     by_value
      - .offset:         132
        .size:           4
        .value_kind:     by_value
      - .offset:         136
        .size:           4
        .value_kind:     by_value
      - .offset:         140
        .size:           4
        .value_kind:     by_value
    .group_segment_fixed_size: 896
    .kernarg_segment_align: 8
    .kernarg_segment_size: 144
    .language:       OpenCL C
    .language_version:
      - 2
      - 0
    .max_flat_workgroup_size: 256
    .name:           _ZL13mul_mat_vec_qIL9ggml_type3ELi1ELb0ELb1EEvPKvS2_PKi31ggml_cuda_mm_fusion_args_devicePfj15HIP_vector_typeIjLj3EEjjjS8_jjjS8_jjjj
    .private_segment_fixed_size: 0
    .sgpr_count:     26
    .sgpr_spill_count: 0
    .symbol:         _ZL13mul_mat_vec_qIL9ggml_type3ELi1ELb0ELb1EEvPKvS2_PKi31ggml_cuda_mm_fusion_args_devicePfj15HIP_vector_typeIjLj3EEjjjS8_jjjS8_jjjj.kd
    .uniform_work_group_size: 1
    .uses_dynamic_stack: false
    .vgpr_count:     18
    .vgpr_spill_count: 0
    .wavefront_size: 32
    .workgroup_processor_mode: 1
  - .args:
      - .address_space:  global
        .offset:         0
        .size:           8
        .value_kind:     global_buffer
      - .address_space:  global
        .offset:         8
        .size:           8
        .value_kind:     global_buffer
      - .address_space:  global
        .offset:         16
        .size:           8
        .value_kind:     global_buffer
      - .offset:         24
        .size:           32
        .value_kind:     by_value
      - .address_space:  global
        .offset:         56
        .size:           8
        .value_kind:     global_buffer
      - .offset:         64
        .size:           4
        .value_kind:     by_value
      - .offset:         68
        .size:           12
        .value_kind:     by_value
      - .offset:         80
        .size:           4
        .value_kind:     by_value
      - .offset:         84
        .size:           4
        .value_kind:     by_value
      - .offset:         88
        .size:           4
        .value_kind:     by_value
      - .offset:         92
        .size:           12
        .value_kind:     by_value
      - .offset:         104
        .size:           4
        .value_kind:     by_value
      - .offset:         108
        .size:           4
        .value_kind:     by_value
      - .offset:         112
        .size:           4
        .value_kind:     by_value
      - .offset:         116
        .size:           12
        .value_kind:     by_value
      - .offset:         128
        .size:           4
        .value_kind:     by_value
      - .offset:         132
        .size:           4
        .value_kind:     by_value
      - .offset:         136
        .size:           4
        .value_kind:     by_value
      - .offset:         140
        .size:           4
        .value_kind:     by_value
    .group_segment_fixed_size: 1792
    .kernarg_segment_align: 8
    .kernarg_segment_size: 144
    .language:       OpenCL C
    .language_version:
      - 2
      - 0
    .max_flat_workgroup_size: 256
    .name:           _ZL13mul_mat_vec_qIL9ggml_type3ELi1ELb1ELb0EEvPKvS2_PKi31ggml_cuda_mm_fusion_args_devicePfj15HIP_vector_typeIjLj3EEjjjS8_jjjS8_jjjj
    .private_segment_fixed_size: 0
    .sgpr_count:     40
    .sgpr_spill_count: 0
    .symbol:         _ZL13mul_mat_vec_qIL9ggml_type3ELi1ELb1ELb0EEvPKvS2_PKi31ggml_cuda_mm_fusion_args_devicePfj15HIP_vector_typeIjLj3EEjjjS8_jjjS8_jjjj.kd
    .uniform_work_group_size: 1
    .uses_dynamic_stack: false
    .vgpr_count:     26
    .vgpr_spill_count: 0
    .wavefront_size: 32
    .workgroup_processor_mode: 1
  - .args:
      - .address_space:  global
        .offset:         0
        .size:           8
        .value_kind:     global_buffer
      - .address_space:  global
        .offset:         8
        .size:           8
        .value_kind:     global_buffer
      - .address_space:  global
        .offset:         16
        .size:           8
        .value_kind:     global_buffer
      - .offset:         24
        .size:           32
        .value_kind:     by_value
      - .address_space:  global
        .offset:         56
        .size:           8
        .value_kind:     global_buffer
      - .offset:         64
        .size:           4
        .value_kind:     by_value
      - .offset:         68
        .size:           12
        .value_kind:     by_value
      - .offset:         80
        .size:           4
        .value_kind:     by_value
      - .offset:         84
        .size:           4
        .value_kind:     by_value
      - .offset:         88
        .size:           4
        .value_kind:     by_value
      - .offset:         92
        .size:           12
        .value_kind:     by_value
      - .offset:         104
        .size:           4
        .value_kind:     by_value
      - .offset:         108
        .size:           4
        .value_kind:     by_value
      - .offset:         112
        .size:           4
        .value_kind:     by_value
      - .offset:         116
        .size:           12
        .value_kind:     by_value
      - .offset:         128
        .size:           4
        .value_kind:     by_value
      - .offset:         132
        .size:           4
        .value_kind:     by_value
      - .offset:         136
        .size:           4
        .value_kind:     by_value
      - .offset:         140
        .size:           4
        .value_kind:     by_value
    .group_segment_fixed_size: 896
    .kernarg_segment_align: 8
    .kernarg_segment_size: 144
    .language:       OpenCL C
    .language_version:
      - 2
      - 0
    .max_flat_workgroup_size: 256
    .name:           _ZL13mul_mat_vec_qIL9ggml_type3ELi1ELb0ELb0EEvPKvS2_PKi31ggml_cuda_mm_fusion_args_devicePfj15HIP_vector_typeIjLj3EEjjjS8_jjjS8_jjjj
    .private_segment_fixed_size: 0
    .sgpr_count:     26
    .sgpr_spill_count: 0
    .symbol:         _ZL13mul_mat_vec_qIL9ggml_type3ELi1ELb0ELb0EEvPKvS2_PKi31ggml_cuda_mm_fusion_args_devicePfj15HIP_vector_typeIjLj3EEjjjS8_jjjS8_jjjj.kd
    .uniform_work_group_size: 1
    .uses_dynamic_stack: false
    .vgpr_count:     18
    .vgpr_spill_count: 0
    .wavefront_size: 32
    .workgroup_processor_mode: 1
  - .args:
      - .address_space:  global
        .offset:         0
        .size:           8
        .value_kind:     global_buffer
      - .address_space:  global
        .offset:         8
        .size:           8
        .value_kind:     global_buffer
      - .address_space:  global
        .offset:         16
        .size:           8
        .value_kind:     global_buffer
      - .offset:         24
        .size:           32
        .value_kind:     by_value
      - .address_space:  global
        .offset:         56
        .size:           8
        .value_kind:     global_buffer
      - .offset:         64
        .size:           4
        .value_kind:     by_value
      - .offset:         68
        .size:           12
        .value_kind:     by_value
      - .offset:         80
        .size:           4
        .value_kind:     by_value
      - .offset:         84
        .size:           4
        .value_kind:     by_value
      - .offset:         88
        .size:           4
        .value_kind:     by_value
      - .offset:         92
        .size:           12
        .value_kind:     by_value
      - .offset:         104
        .size:           4
        .value_kind:     by_value
      - .offset:         108
        .size:           4
        .value_kind:     by_value
      - .offset:         112
        .size:           4
        .value_kind:     by_value
      - .offset:         116
        .size:           12
        .value_kind:     by_value
      - .offset:         128
        .size:           4
        .value_kind:     by_value
      - .offset:         132
        .size:           4
        .value_kind:     by_value
      - .offset:         136
        .size:           4
        .value_kind:     by_value
      - .offset:         140
        .size:           4
        .value_kind:     by_value
    .group_segment_fixed_size: 0
    .kernarg_segment_align: 8
    .kernarg_segment_size: 144
    .language:       OpenCL C
    .language_version:
      - 2
      - 0
    .max_flat_workgroup_size: 32
    .name:           _ZL13mul_mat_vec_qIL9ggml_type3ELi2ELb0ELb0EEvPKvS2_PKi31ggml_cuda_mm_fusion_args_devicePfj15HIP_vector_typeIjLj3EEjjjS8_jjjS8_jjjj
    .private_segment_fixed_size: 0
    .sgpr_count:     32
    .sgpr_spill_count: 0
    .symbol:         _ZL13mul_mat_vec_qIL9ggml_type3ELi2ELb0ELb0EEvPKvS2_PKi31ggml_cuda_mm_fusion_args_devicePfj15HIP_vector_typeIjLj3EEjjjS8_jjjS8_jjjj.kd
    .uniform_work_group_size: 1
    .uses_dynamic_stack: false
    .vgpr_count:     25
    .vgpr_spill_count: 0
    .wavefront_size: 32
    .workgroup_processor_mode: 1
  - .args:
      - .address_space:  global
        .offset:         0
        .size:           8
        .value_kind:     global_buffer
      - .address_space:  global
        .offset:         8
        .size:           8
        .value_kind:     global_buffer
      - .address_space:  global
        .offset:         16
        .size:           8
        .value_kind:     global_buffer
      - .offset:         24
        .size:           32
        .value_kind:     by_value
      - .address_space:  global
        .offset:         56
        .size:           8
        .value_kind:     global_buffer
      - .offset:         64
        .size:           4
        .value_kind:     by_value
      - .offset:         68
        .size:           12
        .value_kind:     by_value
      - .offset:         80
        .size:           4
        .value_kind:     by_value
      - .offset:         84
        .size:           4
        .value_kind:     by_value
      - .offset:         88
        .size:           4
        .value_kind:     by_value
      - .offset:         92
        .size:           12
        .value_kind:     by_value
      - .offset:         104
        .size:           4
        .value_kind:     by_value
      - .offset:         108
        .size:           4
        .value_kind:     by_value
      - .offset:         112
        .size:           4
        .value_kind:     by_value
      - .offset:         116
        .size:           12
        .value_kind:     by_value
      - .offset:         128
        .size:           4
        .value_kind:     by_value
      - .offset:         132
        .size:           4
        .value_kind:     by_value
      - .offset:         136
        .size:           4
        .value_kind:     by_value
      - .offset:         140
        .size:           4
        .value_kind:     by_value
    .group_segment_fixed_size: 0
    .kernarg_segment_align: 8
    .kernarg_segment_size: 144
    .language:       OpenCL C
    .language_version:
      - 2
      - 0
    .max_flat_workgroup_size: 32
    .name:           _ZL13mul_mat_vec_qIL9ggml_type3ELi3ELb0ELb0EEvPKvS2_PKi31ggml_cuda_mm_fusion_args_devicePfj15HIP_vector_typeIjLj3EEjjjS8_jjjS8_jjjj
    .private_segment_fixed_size: 0
    .sgpr_count:     32
    .sgpr_spill_count: 0
    .symbol:         _ZL13mul_mat_vec_qIL9ggml_type3ELi3ELb0ELb0EEvPKvS2_PKi31ggml_cuda_mm_fusion_args_devicePfj15HIP_vector_typeIjLj3EEjjjS8_jjjS8_jjjj.kd
    .uniform_work_group_size: 1
    .uses_dynamic_stack: false
    .vgpr_count:     31
    .vgpr_spill_count: 0
    .wavefront_size: 32
    .workgroup_processor_mode: 1
  - .args:
      - .address_space:  global
        .offset:         0
        .size:           8
        .value_kind:     global_buffer
      - .address_space:  global
        .offset:         8
        .size:           8
        .value_kind:     global_buffer
      - .address_space:  global
        .offset:         16
        .size:           8
        .value_kind:     global_buffer
      - .offset:         24
        .size:           32
        .value_kind:     by_value
      - .address_space:  global
        .offset:         56
        .size:           8
        .value_kind:     global_buffer
      - .offset:         64
        .size:           4
        .value_kind:     by_value
      - .offset:         68
        .size:           12
        .value_kind:     by_value
      - .offset:         80
        .size:           4
        .value_kind:     by_value
      - .offset:         84
        .size:           4
        .value_kind:     by_value
      - .offset:         88
        .size:           4
        .value_kind:     by_value
      - .offset:         92
        .size:           12
        .value_kind:     by_value
      - .offset:         104
        .size:           4
        .value_kind:     by_value
      - .offset:         108
        .size:           4
        .value_kind:     by_value
      - .offset:         112
        .size:           4
        .value_kind:     by_value
      - .offset:         116
        .size:           12
        .value_kind:     by_value
      - .offset:         128
        .size:           4
        .value_kind:     by_value
      - .offset:         132
        .size:           4
        .value_kind:     by_value
      - .offset:         136
        .size:           4
        .value_kind:     by_value
      - .offset:         140
        .size:           4
        .value_kind:     by_value
    .group_segment_fixed_size: 0
    .kernarg_segment_align: 8
    .kernarg_segment_size: 144
    .language:       OpenCL C
    .language_version:
      - 2
      - 0
    .max_flat_workgroup_size: 32
    .name:           _ZL13mul_mat_vec_qIL9ggml_type3ELi4ELb0ELb0EEvPKvS2_PKi31ggml_cuda_mm_fusion_args_devicePfj15HIP_vector_typeIjLj3EEjjjS8_jjjS8_jjjj
    .private_segment_fixed_size: 0
    .sgpr_count:     32
    .sgpr_spill_count: 0
    .symbol:         _ZL13mul_mat_vec_qIL9ggml_type3ELi4ELb0ELb0EEvPKvS2_PKi31ggml_cuda_mm_fusion_args_devicePfj15HIP_vector_typeIjLj3EEjjjS8_jjjS8_jjjj.kd
    .uniform_work_group_size: 1
    .uses_dynamic_stack: false
    .vgpr_count:     38
    .vgpr_spill_count: 0
    .wavefront_size: 32
    .workgroup_processor_mode: 1
  - .args:
      - .address_space:  global
        .offset:         0
        .size:           8
        .value_kind:     global_buffer
      - .address_space:  global
        .offset:         8
        .size:           8
        .value_kind:     global_buffer
      - .address_space:  global
        .offset:         16
        .size:           8
        .value_kind:     global_buffer
      - .offset:         24
        .size:           32
        .value_kind:     by_value
      - .address_space:  global
        .offset:         56
        .size:           8
        .value_kind:     global_buffer
      - .offset:         64
        .size:           4
        .value_kind:     by_value
      - .offset:         68
        .size:           12
        .value_kind:     by_value
      - .offset:         80
        .size:           4
        .value_kind:     by_value
      - .offset:         84
        .size:           4
        .value_kind:     by_value
      - .offset:         88
        .size:           4
        .value_kind:     by_value
      - .offset:         92
        .size:           12
        .value_kind:     by_value
      - .offset:         104
        .size:           4
        .value_kind:     by_value
      - .offset:         108
        .size:           4
        .value_kind:     by_value
      - .offset:         112
        .size:           4
        .value_kind:     by_value
      - .offset:         116
        .size:           12
        .value_kind:     by_value
      - .offset:         128
        .size:           4
        .value_kind:     by_value
      - .offset:         132
        .size:           4
        .value_kind:     by_value
      - .offset:         136
        .size:           4
        .value_kind:     by_value
      - .offset:         140
        .size:           4
        .value_kind:     by_value
    .group_segment_fixed_size: 0
    .kernarg_segment_align: 8
    .kernarg_segment_size: 144
    .language:       OpenCL C
    .language_version:
      - 2
      - 0
    .max_flat_workgroup_size: 32
    .name:           _ZL13mul_mat_vec_qIL9ggml_type3ELi5ELb0ELb0EEvPKvS2_PKi31ggml_cuda_mm_fusion_args_devicePfj15HIP_vector_typeIjLj3EEjjjS8_jjjS8_jjjj
    .private_segment_fixed_size: 0
    .sgpr_count:     32
    .sgpr_spill_count: 0
    .symbol:         _ZL13mul_mat_vec_qIL9ggml_type3ELi5ELb0ELb0EEvPKvS2_PKi31ggml_cuda_mm_fusion_args_devicePfj15HIP_vector_typeIjLj3EEjjjS8_jjjS8_jjjj.kd
    .uniform_work_group_size: 1
    .uses_dynamic_stack: false
    .vgpr_count:     45
    .vgpr_spill_count: 0
    .wavefront_size: 32
    .workgroup_processor_mode: 1
  - .args:
      - .address_space:  global
        .offset:         0
        .size:           8
        .value_kind:     global_buffer
      - .address_space:  global
        .offset:         8
        .size:           8
        .value_kind:     global_buffer
      - .address_space:  global
        .offset:         16
        .size:           8
        .value_kind:     global_buffer
      - .offset:         24
        .size:           32
        .value_kind:     by_value
      - .address_space:  global
        .offset:         56
        .size:           8
        .value_kind:     global_buffer
      - .offset:         64
        .size:           4
        .value_kind:     by_value
      - .offset:         68
        .size:           12
        .value_kind:     by_value
      - .offset:         80
        .size:           4
        .value_kind:     by_value
      - .offset:         84
        .size:           4
        .value_kind:     by_value
      - .offset:         88
        .size:           4
        .value_kind:     by_value
      - .offset:         92
        .size:           12
        .value_kind:     by_value
      - .offset:         104
        .size:           4
        .value_kind:     by_value
      - .offset:         108
        .size:           4
        .value_kind:     by_value
      - .offset:         112
        .size:           4
        .value_kind:     by_value
      - .offset:         116
        .size:           12
        .value_kind:     by_value
      - .offset:         128
        .size:           4
        .value_kind:     by_value
      - .offset:         132
        .size:           4
        .value_kind:     by_value
      - .offset:         136
        .size:           4
        .value_kind:     by_value
      - .offset:         140
        .size:           4
        .value_kind:     by_value
    .group_segment_fixed_size: 0
    .kernarg_segment_align: 8
    .kernarg_segment_size: 144
    .language:       OpenCL C
    .language_version:
      - 2
      - 0
    .max_flat_workgroup_size: 32
    .name:           _ZL13mul_mat_vec_qIL9ggml_type3ELi6ELb0ELb0EEvPKvS2_PKi31ggml_cuda_mm_fusion_args_devicePfj15HIP_vector_typeIjLj3EEjjjS8_jjjS8_jjjj
    .private_segment_fixed_size: 0
    .sgpr_count:     32
    .sgpr_spill_count: 0
    .symbol:         _ZL13mul_mat_vec_qIL9ggml_type3ELi6ELb0ELb0EEvPKvS2_PKi31ggml_cuda_mm_fusion_args_devicePfj15HIP_vector_typeIjLj3EEjjjS8_jjjS8_jjjj.kd
    .uniform_work_group_size: 1
    .uses_dynamic_stack: false
    .vgpr_count:     52
    .vgpr_spill_count: 0
    .wavefront_size: 32
    .workgroup_processor_mode: 1
  - .args:
      - .address_space:  global
        .offset:         0
        .size:           8
        .value_kind:     global_buffer
      - .address_space:  global
        .offset:         8
        .size:           8
        .value_kind:     global_buffer
      - .address_space:  global
        .offset:         16
        .size:           8
        .value_kind:     global_buffer
      - .offset:         24
        .size:           32
        .value_kind:     by_value
      - .address_space:  global
        .offset:         56
        .size:           8
        .value_kind:     global_buffer
      - .offset:         64
        .size:           4
        .value_kind:     by_value
      - .offset:         68
        .size:           12
        .value_kind:     by_value
      - .offset:         80
        .size:           4
        .value_kind:     by_value
      - .offset:         84
        .size:           4
        .value_kind:     by_value
      - .offset:         88
        .size:           4
        .value_kind:     by_value
      - .offset:         92
        .size:           12
        .value_kind:     by_value
      - .offset:         104
        .size:           4
        .value_kind:     by_value
      - .offset:         108
        .size:           4
        .value_kind:     by_value
      - .offset:         112
        .size:           4
        .value_kind:     by_value
      - .offset:         116
        .size:           12
        .value_kind:     by_value
      - .offset:         128
        .size:           4
        .value_kind:     by_value
      - .offset:         132
        .size:           4
        .value_kind:     by_value
      - .offset:         136
        .size:           4
        .value_kind:     by_value
      - .offset:         140
        .size:           4
        .value_kind:     by_value
    .group_segment_fixed_size: 0
    .kernarg_segment_align: 8
    .kernarg_segment_size: 144
    .language:       OpenCL C
    .language_version:
      - 2
      - 0
    .max_flat_workgroup_size: 32
    .name:           _ZL13mul_mat_vec_qIL9ggml_type3ELi7ELb0ELb0EEvPKvS2_PKi31ggml_cuda_mm_fusion_args_devicePfj15HIP_vector_typeIjLj3EEjjjS8_jjjS8_jjjj
    .private_segment_fixed_size: 0
    .sgpr_count:     32
    .sgpr_spill_count: 0
    .symbol:         _ZL13mul_mat_vec_qIL9ggml_type3ELi7ELb0ELb0EEvPKvS2_PKi31ggml_cuda_mm_fusion_args_devicePfj15HIP_vector_typeIjLj3EEjjjS8_jjjS8_jjjj.kd
    .uniform_work_group_size: 1
    .uses_dynamic_stack: false
    .vgpr_count:     59
    .vgpr_spill_count: 0
    .wavefront_size: 32
    .workgroup_processor_mode: 1
  - .args:
      - .address_space:  global
        .offset:         0
        .size:           8
        .value_kind:     global_buffer
      - .address_space:  global
        .offset:         8
        .size:           8
        .value_kind:     global_buffer
      - .address_space:  global
        .offset:         16
        .size:           8
        .value_kind:     global_buffer
      - .offset:         24
        .size:           32
        .value_kind:     by_value
      - .address_space:  global
        .offset:         56
        .size:           8
        .value_kind:     global_buffer
      - .offset:         64
        .size:           4
        .value_kind:     by_value
      - .offset:         68
        .size:           12
        .value_kind:     by_value
      - .offset:         80
        .size:           4
        .value_kind:     by_value
      - .offset:         84
        .size:           4
        .value_kind:     by_value
      - .offset:         88
        .size:           4
        .value_kind:     by_value
      - .offset:         92
        .size:           12
        .value_kind:     by_value
      - .offset:         104
        .size:           4
        .value_kind:     by_value
      - .offset:         108
        .size:           4
        .value_kind:     by_value
      - .offset:         112
        .size:           4
        .value_kind:     by_value
      - .offset:         116
        .size:           12
        .value_kind:     by_value
      - .offset:         128
        .size:           4
        .value_kind:     by_value
      - .offset:         132
        .size:           4
        .value_kind:     by_value
      - .offset:         136
        .size:           4
        .value_kind:     by_value
      - .offset:         140
        .size:           4
        .value_kind:     by_value
    .group_segment_fixed_size: 0
    .kernarg_segment_align: 8
    .kernarg_segment_size: 144
    .language:       OpenCL C
    .language_version:
      - 2
      - 0
    .max_flat_workgroup_size: 32
    .name:           _ZL13mul_mat_vec_qIL9ggml_type3ELi8ELb0ELb0EEvPKvS2_PKi31ggml_cuda_mm_fusion_args_devicePfj15HIP_vector_typeIjLj3EEjjjS8_jjjS8_jjjj
    .private_segment_fixed_size: 0
    .sgpr_count:     32
    .sgpr_spill_count: 0
    .symbol:         _ZL13mul_mat_vec_qIL9ggml_type3ELi8ELb0ELb0EEvPKvS2_PKi31ggml_cuda_mm_fusion_args_devicePfj15HIP_vector_typeIjLj3EEjjjS8_jjjS8_jjjj.kd
    .uniform_work_group_size: 1
    .uses_dynamic_stack: false
    .vgpr_count:     66
    .vgpr_spill_count: 0
    .wavefront_size: 32
    .workgroup_processor_mode: 1
  - .args:
      - .address_space:  global
        .offset:         0
        .size:           8
        .value_kind:     global_buffer
      - .address_space:  global
        .offset:         8
        .size:           8
        .value_kind:     global_buffer
      - .address_space:  global
        .offset:         16
        .size:           8
        .value_kind:     global_buffer
      - .address_space:  global
        .offset:         24
        .size:           8
        .value_kind:     global_buffer
      - .offset:         32
        .size:           4
        .value_kind:     by_value
      - .offset:         36
        .size:           12
        .value_kind:     by_value
      - .offset:         48
        .size:           4
        .value_kind:     by_value
      - .offset:         52
        .size:           4
        .value_kind:     by_value
      - .offset:         56
        .size:           4
        .value_kind:     by_value
      - .offset:         60
        .size:           4
        .value_kind:     by_value
      - .offset:         64
        .size:           4
        .value_kind:     by_value
      - .offset:         68
        .size:           4
        .value_kind:     by_value
      - .offset:         72
        .size:           4
        .value_kind:     by_value
      - .offset:         76
        .size:           4
        .value_kind:     by_value
      - .offset:         80
        .size:           4
        .value_kind:     by_value
    .group_segment_fixed_size: 0
    .kernarg_segment_align: 8
    .kernarg_segment_size: 84
    .language:       OpenCL C
    .language_version:
      - 2
      - 0
    .max_flat_workgroup_size: 224
    .name:           _ZL17mul_mat_vec_q_moeIL9ggml_type6ELi2EEvPKvS2_PKiPfj15HIP_vector_typeIjLj3EEjjjjjjjjj
    .private_segment_fixed_size: 0
    .sgpr_count:     26
    .sgpr_spill_count: 0
    .symbol:         _ZL17mul_mat_vec_q_moeIL9ggml_type6ELi2EEvPKvS2_PKiPfj15HIP_vector_typeIjLj3EEjjjjjjjjj.kd
    .uniform_work_group_size: 1
    .uses_dynamic_stack: false
    .vgpr_count:     60
    .vgpr_spill_count: 0
    .wavefront_size: 32
    .workgroup_processor_mode: 1
  - .args:
      - .address_space:  global
        .offset:         0
        .size:           8
        .value_kind:     global_buffer
      - .address_space:  global
        .offset:         8
        .size:           8
        .value_kind:     global_buffer
      - .address_space:  global
        .offset:         16
        .size:           8
        .value_kind:     global_buffer
      - .offset:         24
        .size:           32
        .value_kind:     by_value
      - .address_space:  global
        .offset:         56
        .size:           8
        .value_kind:     global_buffer
      - .offset:         64
        .size:           4
        .value_kind:     by_value
      - .offset:         68
        .size:           12
        .value_kind:     by_value
      - .offset:         80
        .size:           4
        .value_kind:     by_value
      - .offset:         84
        .size:           4
        .value_kind:     by_value
      - .offset:         88
        .size:           4
        .value_kind:     by_value
      - .offset:         92
        .size:           12
        .value_kind:     by_value
      - .offset:         104
        .size:           4
        .value_kind:     by_value
      - .offset:         108
        .size:           4
        .value_kind:     by_value
      - .offset:         112
        .size:           4
        .value_kind:     by_value
      - .offset:         116
        .size:           12
        .value_kind:     by_value
      - .offset:         128
        .size:           4
        .value_kind:     by_value
      - .offset:         132
        .size:           4
        .value_kind:     by_value
      - .offset:         136
        .size:           4
        .value_kind:     by_value
      - .offset:         140
        .size:           4
        .value_kind:     by_value
    .group_segment_fixed_size: 1792
    .kernarg_segment_align: 8
    .kernarg_segment_size: 144
    .language:       OpenCL C
    .language_version:
      - 2
      - 0
    .max_flat_workgroup_size: 256
    .name:           _ZL13mul_mat_vec_qIL9ggml_type6ELi1ELb1ELb1EEvPKvS2_PKi31ggml_cuda_mm_fusion_args_devicePfj15HIP_vector_typeIjLj3EEjjjS8_jjjS8_jjjj
    .private_segment_fixed_size: 0
    .sgpr_count:     40
    .sgpr_spill_count: 0
    .symbol:         _ZL13mul_mat_vec_qIL9ggml_type6ELi1ELb1ELb1EEvPKvS2_PKi31ggml_cuda_mm_fusion_args_devicePfj15HIP_vector_typeIjLj3EEjjjS8_jjjS8_jjjj.kd
    .uniform_work_group_size: 1
    .uses_dynamic_stack: false
    .vgpr_count:     46
    .vgpr_spill_count: 0
    .wavefront_size: 32
    .workgroup_processor_mode: 1
  - .args:
      - .address_space:  global
        .offset:         0
        .size:           8
        .value_kind:     global_buffer
      - .address_space:  global
        .offset:         8
        .size:           8
        .value_kind:     global_buffer
      - .address_space:  global
        .offset:         16
        .size:           8
        .value_kind:     global_buffer
      - .offset:         24
        .size:           32
        .value_kind:     by_value
      - .address_space:  global
        .offset:         56
        .size:           8
        .value_kind:     global_buffer
      - .offset:         64
        .size:           4
        .value_kind:     by_value
      - .offset:         68
        .size:           12
        .value_kind:     by_value
      - .offset:         80
        .size:           4
        .value_kind:     by_value
      - .offset:         84
        .size:           4
        .value_kind:     by_value
      - .offset:         88
        .size:           4
        .value_kind:     by_value
      - .offset:         92
        .size:           12
        .value_kind:     by_value
      - .offset:         104
        .size:           4
        .value_kind:     by_value
      - .offset:         108
        .size:           4
        .value_kind:     by_value
      - .offset:         112
        .size:           4
        .value_kind:     by_value
      - .offset:         116
        .size:           12
        .value_kind:     by_value
      - .offset:         128
        .size:           4
        .value_kind:     by_value
      - .offset:         132
        .size:           4
        .value_kind:     by_value
      - .offset:         136
        .size:           4
        .value_kind:     by_value
      - .offset:         140
        .size:           4
        .value_kind:     by_value
    .group_segment_fixed_size: 896
    .kernarg_segment_align: 8
    .kernarg_segment_size: 144
    .language:       OpenCL C
    .language_version:
      - 2
      - 0
    .max_flat_workgroup_size: 256
    .name:           _ZL13mul_mat_vec_qIL9ggml_type6ELi1ELb0ELb1EEvPKvS2_PKi31ggml_cuda_mm_fusion_args_devicePfj15HIP_vector_typeIjLj3EEjjjS8_jjjS8_jjjj
    .private_segment_fixed_size: 0
    .sgpr_count:     26
    .sgpr_spill_count: 0
    .symbol:         _ZL13mul_mat_vec_qIL9ggml_type6ELi1ELb0ELb1EEvPKvS2_PKi31ggml_cuda_mm_fusion_args_devicePfj15HIP_vector_typeIjLj3EEjjjS8_jjjS8_jjjj.kd
    .uniform_work_group_size: 1
    .uses_dynamic_stack: false
    .vgpr_count:     36
    .vgpr_spill_count: 0
    .wavefront_size: 32
    .workgroup_processor_mode: 1
  - .args:
      - .address_space:  global
        .offset:         0
        .size:           8
        .value_kind:     global_buffer
      - .address_space:  global
        .offset:         8
        .size:           8
        .value_kind:     global_buffer
      - .address_space:  global
        .offset:         16
        .size:           8
        .value_kind:     global_buffer
      - .offset:         24
        .size:           32
        .value_kind:     by_value
      - .address_space:  global
        .offset:         56
        .size:           8
        .value_kind:     global_buffer
      - .offset:         64
        .size:           4
        .value_kind:     by_value
      - .offset:         68
        .size:           12
        .value_kind:     by_value
      - .offset:         80
        .size:           4
        .value_kind:     by_value
      - .offset:         84
        .size:           4
        .value_kind:     by_value
      - .offset:         88
        .size:           4
        .value_kind:     by_value
      - .offset:         92
        .size:           12
        .value_kind:     by_value
      - .offset:         104
        .size:           4
        .value_kind:     by_value
      - .offset:         108
        .size:           4
        .value_kind:     by_value
      - .offset:         112
        .size:           4
        .value_kind:     by_value
      - .offset:         116
        .size:           12
        .value_kind:     by_value
      - .offset:         128
        .size:           4
        .value_kind:     by_value
      - .offset:         132
        .size:           4
        .value_kind:     by_value
      - .offset:         136
        .size:           4
        .value_kind:     by_value
      - .offset:         140
        .size:           4
        .value_kind:     by_value
    .group_segment_fixed_size: 1792
    .kernarg_segment_align: 8
    .kernarg_segment_size: 144
    .language:       OpenCL C
    .language_version:
      - 2
      - 0
    .max_flat_workgroup_size: 256
    .name:           _ZL13mul_mat_vec_qIL9ggml_type6ELi1ELb1ELb0EEvPKvS2_PKi31ggml_cuda_mm_fusion_args_devicePfj15HIP_vector_typeIjLj3EEjjjS8_jjjS8_jjjj
    .private_segment_fixed_size: 0
    .sgpr_count:     40
    .sgpr_spill_count: 0
    .symbol:         _ZL13mul_mat_vec_qIL9ggml_type6ELi1ELb1ELb0EEvPKvS2_PKi31ggml_cuda_mm_fusion_args_devicePfj15HIP_vector_typeIjLj3EEjjjS8_jjjS8_jjjj.kd
    .uniform_work_group_size: 1
    .uses_dynamic_stack: false
    .vgpr_count:     46
    .vgpr_spill_count: 0
    .wavefront_size: 32
    .workgroup_processor_mode: 1
  - .args:
      - .address_space:  global
        .offset:         0
        .size:           8
        .value_kind:     global_buffer
      - .address_space:  global
        .offset:         8
        .size:           8
        .value_kind:     global_buffer
      - .address_space:  global
        .offset:         16
        .size:           8
        .value_kind:     global_buffer
      - .offset:         24
        .size:           32
        .value_kind:     by_value
      - .address_space:  global
        .offset:         56
        .size:           8
        .value_kind:     global_buffer
      - .offset:         64
        .size:           4
        .value_kind:     by_value
      - .offset:         68
        .size:           12
        .value_kind:     by_value
      - .offset:         80
        .size:           4
        .value_kind:     by_value
      - .offset:         84
        .size:           4
        .value_kind:     by_value
      - .offset:         88
        .size:           4
        .value_kind:     by_value
      - .offset:         92
        .size:           12
        .value_kind:     by_value
      - .offset:         104
        .size:           4
        .value_kind:     by_value
      - .offset:         108
        .size:           4
        .value_kind:     by_value
      - .offset:         112
        .size:           4
        .value_kind:     by_value
      - .offset:         116
        .size:           12
        .value_kind:     by_value
      - .offset:         128
        .size:           4
        .value_kind:     by_value
      - .offset:         132
        .size:           4
        .value_kind:     by_value
      - .offset:         136
        .size:           4
        .value_kind:     by_value
      - .offset:         140
        .size:           4
        .value_kind:     by_value
    .group_segment_fixed_size: 896
    .kernarg_segment_align: 8
    .kernarg_segment_size: 144
    .language:       OpenCL C
    .language_version:
      - 2
      - 0
    .max_flat_workgroup_size: 256
    .name:           _ZL13mul_mat_vec_qIL9ggml_type6ELi1ELb0ELb0EEvPKvS2_PKi31ggml_cuda_mm_fusion_args_devicePfj15HIP_vector_typeIjLj3EEjjjS8_jjjS8_jjjj
    .private_segment_fixed_size: 0
    .sgpr_count:     26
    .sgpr_spill_count: 0
    .symbol:         _ZL13mul_mat_vec_qIL9ggml_type6ELi1ELb0ELb0EEvPKvS2_PKi31ggml_cuda_mm_fusion_args_devicePfj15HIP_vector_typeIjLj3EEjjjS8_jjjS8_jjjj.kd
    .uniform_work_group_size: 1
    .uses_dynamic_stack: false
    .vgpr_count:     36
    .vgpr_spill_count: 0
    .wavefront_size: 32
    .workgroup_processor_mode: 1
  - .args:
      - .address_space:  global
        .offset:         0
        .size:           8
        .value_kind:     global_buffer
      - .address_space:  global
        .offset:         8
        .size:           8
        .value_kind:     global_buffer
      - .address_space:  global
        .offset:         16
        .size:           8
        .value_kind:     global_buffer
      - .offset:         24
        .size:           32
        .value_kind:     by_value
      - .address_space:  global
        .offset:         56
        .size:           8
        .value_kind:     global_buffer
      - .offset:         64
        .size:           4
        .value_kind:     by_value
      - .offset:         68
        .size:           12
        .value_kind:     by_value
      - .offset:         80
        .size:           4
        .value_kind:     by_value
      - .offset:         84
        .size:           4
        .value_kind:     by_value
      - .offset:         88
        .size:           4
        .value_kind:     by_value
      - .offset:         92
        .size:           12
        .value_kind:     by_value
      - .offset:         104
        .size:           4
        .value_kind:     by_value
      - .offset:         108
        .size:           4
        .value_kind:     by_value
      - .offset:         112
        .size:           4
        .value_kind:     by_value
      - .offset:         116
        .size:           12
        .value_kind:     by_value
      - .offset:         128
        .size:           4
        .value_kind:     by_value
      - .offset:         132
        .size:           4
        .value_kind:     by_value
      - .offset:         136
        .size:           4
        .value_kind:     by_value
      - .offset:         140
        .size:           4
        .value_kind:     by_value
    .group_segment_fixed_size: 0
    .kernarg_segment_align: 8
    .kernarg_segment_size: 144
    .language:       OpenCL C
    .language_version:
      - 2
      - 0
    .max_flat_workgroup_size: 32
    .name:           _ZL13mul_mat_vec_qIL9ggml_type6ELi2ELb0ELb0EEvPKvS2_PKi31ggml_cuda_mm_fusion_args_devicePfj15HIP_vector_typeIjLj3EEjjjS8_jjjS8_jjjj
    .private_segment_fixed_size: 0
    .sgpr_count:     32
    .sgpr_spill_count: 0
    .symbol:         _ZL13mul_mat_vec_qIL9ggml_type6ELi2ELb0ELb0EEvPKvS2_PKi31ggml_cuda_mm_fusion_args_devicePfj15HIP_vector_typeIjLj3EEjjjS8_jjjS8_jjjj.kd
    .uniform_work_group_size: 1
    .uses_dynamic_stack: false
    .vgpr_count:     43
    .vgpr_spill_count: 0
    .wavefront_size: 32
    .workgroup_processor_mode: 1
  - .args:
      - .address_space:  global
        .offset:         0
        .size:           8
        .value_kind:     global_buffer
      - .address_space:  global
        .offset:         8
        .size:           8
        .value_kind:     global_buffer
      - .address_space:  global
        .offset:         16
        .size:           8
        .value_kind:     global_buffer
      - .offset:         24
        .size:           32
        .value_kind:     by_value
      - .address_space:  global
        .offset:         56
        .size:           8
        .value_kind:     global_buffer
      - .offset:         64
        .size:           4
        .value_kind:     by_value
      - .offset:         68
        .size:           12
        .value_kind:     by_value
      - .offset:         80
        .size:           4
        .value_kind:     by_value
      - .offset:         84
        .size:           4
        .value_kind:     by_value
      - .offset:         88
        .size:           4
        .value_kind:     by_value
      - .offset:         92
        .size:           12
        .value_kind:     by_value
      - .offset:         104
        .size:           4
        .value_kind:     by_value
      - .offset:         108
        .size:           4
        .value_kind:     by_value
      - .offset:         112
        .size:           4
        .value_kind:     by_value
      - .offset:         116
        .size:           12
        .value_kind:     by_value
      - .offset:         128
        .size:           4
        .value_kind:     by_value
      - .offset:         132
        .size:           4
        .value_kind:     by_value
      - .offset:         136
        .size:           4
        .value_kind:     by_value
      - .offset:         140
        .size:           4
        .value_kind:     by_value
    .group_segment_fixed_size: 0
    .kernarg_segment_align: 8
    .kernarg_segment_size: 144
    .language:       OpenCL C
    .language_version:
      - 2
      - 0
    .max_flat_workgroup_size: 32
    .name:           _ZL13mul_mat_vec_qIL9ggml_type6ELi3ELb0ELb0EEvPKvS2_PKi31ggml_cuda_mm_fusion_args_devicePfj15HIP_vector_typeIjLj3EEjjjS8_jjjS8_jjjj
    .private_segment_fixed_size: 0
    .sgpr_count:     32
    .sgpr_spill_count: 0
    .symbol:         _ZL13mul_mat_vec_qIL9ggml_type6ELi3ELb0ELb0EEvPKvS2_PKi31ggml_cuda_mm_fusion_args_devicePfj15HIP_vector_typeIjLj3EEjjjS8_jjjS8_jjjj.kd
    .uniform_work_group_size: 1
    .uses_dynamic_stack: false
    .vgpr_count:     52
    .vgpr_spill_count: 0
    .wavefront_size: 32
    .workgroup_processor_mode: 1
  - .args:
      - .address_space:  global
        .offset:         0
        .size:           8
        .value_kind:     global_buffer
      - .address_space:  global
        .offset:         8
        .size:           8
        .value_kind:     global_buffer
      - .address_space:  global
        .offset:         16
        .size:           8
        .value_kind:     global_buffer
      - .offset:         24
        .size:           32
        .value_kind:     by_value
      - .address_space:  global
        .offset:         56
        .size:           8
        .value_kind:     global_buffer
      - .offset:         64
        .size:           4
        .value_kind:     by_value
      - .offset:         68
        .size:           12
        .value_kind:     by_value
      - .offset:         80
        .size:           4
        .value_kind:     by_value
      - .offset:         84
        .size:           4
        .value_kind:     by_value
      - .offset:         88
        .size:           4
        .value_kind:     by_value
      - .offset:         92
        .size:           12
        .value_kind:     by_value
      - .offset:         104
        .size:           4
        .value_kind:     by_value
      - .offset:         108
        .size:           4
        .value_kind:     by_value
      - .offset:         112
        .size:           4
        .value_kind:     by_value
      - .offset:         116
        .size:           12
        .value_kind:     by_value
      - .offset:         128
        .size:           4
        .value_kind:     by_value
      - .offset:         132
        .size:           4
        .value_kind:     by_value
      - .offset:         136
        .size:           4
        .value_kind:     by_value
      - .offset:         140
        .size:           4
        .value_kind:     by_value
    .group_segment_fixed_size: 0
    .kernarg_segment_align: 8
    .kernarg_segment_size: 144
    .language:       OpenCL C
    .language_version:
      - 2
      - 0
    .max_flat_workgroup_size: 32
    .name:           _ZL13mul_mat_vec_qIL9ggml_type6ELi4ELb0ELb0EEvPKvS2_PKi31ggml_cuda_mm_fusion_args_devicePfj15HIP_vector_typeIjLj3EEjjjS8_jjjS8_jjjj
    .private_segment_fixed_size: 0
    .sgpr_count:     32
    .sgpr_spill_count: 0
    .symbol:         _ZL13mul_mat_vec_qIL9ggml_type6ELi4ELb0ELb0EEvPKvS2_PKi31ggml_cuda_mm_fusion_args_devicePfj15HIP_vector_typeIjLj3EEjjjS8_jjjS8_jjjj.kd
    .uniform_work_group_size: 1
    .uses_dynamic_stack: false
    .vgpr_count:     59
    .vgpr_spill_count: 0
    .wavefront_size: 32
    .workgroup_processor_mode: 1
  - .args:
      - .address_space:  global
        .offset:         0
        .size:           8
        .value_kind:     global_buffer
      - .address_space:  global
        .offset:         8
        .size:           8
        .value_kind:     global_buffer
      - .address_space:  global
        .offset:         16
        .size:           8
        .value_kind:     global_buffer
      - .offset:         24
        .size:           32
        .value_kind:     by_value
      - .address_space:  global
        .offset:         56
        .size:           8
        .value_kind:     global_buffer
      - .offset:         64
        .size:           4
        .value_kind:     by_value
      - .offset:         68
        .size:           12
        .value_kind:     by_value
      - .offset:         80
        .size:           4
        .value_kind:     by_value
      - .offset:         84
        .size:           4
        .value_kind:     by_value
      - .offset:         88
        .size:           4
        .value_kind:     by_value
      - .offset:         92
        .size:           12
        .value_kind:     by_value
      - .offset:         104
        .size:           4
        .value_kind:     by_value
      - .offset:         108
        .size:           4
        .value_kind:     by_value
      - .offset:         112
        .size:           4
        .value_kind:     by_value
      - .offset:         116
        .size:           12
        .value_kind:     by_value
      - .offset:         128
        .size:           4
        .value_kind:     by_value
      - .offset:         132
        .size:           4
        .value_kind:     by_value
      - .offset:         136
        .size:           4
        .value_kind:     by_value
      - .offset:         140
        .size:           4
        .value_kind:     by_value
    .group_segment_fixed_size: 0
    .kernarg_segment_align: 8
    .kernarg_segment_size: 144
    .language:       OpenCL C
    .language_version:
      - 2
      - 0
    .max_flat_workgroup_size: 32
    .name:           _ZL13mul_mat_vec_qIL9ggml_type6ELi5ELb0ELb0EEvPKvS2_PKi31ggml_cuda_mm_fusion_args_devicePfj15HIP_vector_typeIjLj3EEjjjS8_jjjS8_jjjj
    .private_segment_fixed_size: 0
    .sgpr_count:     32
    .sgpr_spill_count: 0
    .symbol:         _ZL13mul_mat_vec_qIL9ggml_type6ELi5ELb0ELb0EEvPKvS2_PKi31ggml_cuda_mm_fusion_args_devicePfj15HIP_vector_typeIjLj3EEjjjS8_jjjS8_jjjj.kd
    .uniform_work_group_size: 1
    .uses_dynamic_stack: false
    .vgpr_count:     66
    .vgpr_spill_count: 0
    .wavefront_size: 32
    .workgroup_processor_mode: 1
  - .args:
      - .address_space:  global
        .offset:         0
        .size:           8
        .value_kind:     global_buffer
      - .address_space:  global
        .offset:         8
        .size:           8
        .value_kind:     global_buffer
      - .address_space:  global
        .offset:         16
        .size:           8
        .value_kind:     global_buffer
      - .offset:         24
        .size:           32
        .value_kind:     by_value
      - .address_space:  global
        .offset:         56
        .size:           8
        .value_kind:     global_buffer
      - .offset:         64
        .size:           4
        .value_kind:     by_value
      - .offset:         68
        .size:           12
        .value_kind:     by_value
      - .offset:         80
        .size:           4
        .value_kind:     by_value
      - .offset:         84
        .size:           4
        .value_kind:     by_value
      - .offset:         88
        .size:           4
        .value_kind:     by_value
      - .offset:         92
        .size:           12
        .value_kind:     by_value
      - .offset:         104
        .size:           4
        .value_kind:     by_value
      - .offset:         108
        .size:           4
        .value_kind:     by_value
      - .offset:         112
        .size:           4
        .value_kind:     by_value
      - .offset:         116
        .size:           12
        .value_kind:     by_value
      - .offset:         128
        .size:           4
        .value_kind:     by_value
      - .offset:         132
        .size:           4
        .value_kind:     by_value
      - .offset:         136
        .size:           4
        .value_kind:     by_value
      - .offset:         140
        .size:           4
        .value_kind:     by_value
    .group_segment_fixed_size: 0
    .kernarg_segment_align: 8
    .kernarg_segment_size: 144
    .language:       OpenCL C
    .language_version:
      - 2
      - 0
    .max_flat_workgroup_size: 32
    .name:           _ZL13mul_mat_vec_qIL9ggml_type6ELi6ELb0ELb0EEvPKvS2_PKi31ggml_cuda_mm_fusion_args_devicePfj15HIP_vector_typeIjLj3EEjjjS8_jjjS8_jjjj
    .private_segment_fixed_size: 0
    .sgpr_count:     32
    .sgpr_spill_count: 0
    .symbol:         _ZL13mul_mat_vec_qIL9ggml_type6ELi6ELb0ELb0EEvPKvS2_PKi31ggml_cuda_mm_fusion_args_devicePfj15HIP_vector_typeIjLj3EEjjjS8_jjjS8_jjjj.kd
    .uniform_work_group_size: 1
    .uses_dynamic_stack: false
    .vgpr_count:     73
    .vgpr_spill_count: 0
    .wavefront_size: 32
    .workgroup_processor_mode: 1
  - .args:
      - .address_space:  global
        .offset:         0
        .size:           8
        .value_kind:     global_buffer
      - .address_space:  global
        .offset:         8
        .size:           8
        .value_kind:     global_buffer
      - .address_space:  global
        .offset:         16
        .size:           8
        .value_kind:     global_buffer
      - .offset:         24
        .size:           32
        .value_kind:     by_value
      - .address_space:  global
        .offset:         56
        .size:           8
        .value_kind:     global_buffer
      - .offset:         64
        .size:           4
        .value_kind:     by_value
      - .offset:         68
        .size:           12
        .value_kind:     by_value
      - .offset:         80
        .size:           4
        .value_kind:     by_value
      - .offset:         84
        .size:           4
        .value_kind:     by_value
      - .offset:         88
        .size:           4
        .value_kind:     by_value
      - .offset:         92
        .size:           12
        .value_kind:     by_value
      - .offset:         104
        .size:           4
        .value_kind:     by_value
      - .offset:         108
        .size:           4
        .value_kind:     by_value
      - .offset:         112
        .size:           4
        .value_kind:     by_value
      - .offset:         116
        .size:           12
        .value_kind:     by_value
      - .offset:         128
        .size:           4
        .value_kind:     by_value
      - .offset:         132
        .size:           4
        .value_kind:     by_value
      - .offset:         136
        .size:           4
        .value_kind:     by_value
      - .offset:         140
        .size:           4
        .value_kind:     by_value
    .group_segment_fixed_size: 0
    .kernarg_segment_align: 8
    .kernarg_segment_size: 144
    .language:       OpenCL C
    .language_version:
      - 2
      - 0
    .max_flat_workgroup_size: 32
    .name:           _ZL13mul_mat_vec_qIL9ggml_type6ELi7ELb0ELb0EEvPKvS2_PKi31ggml_cuda_mm_fusion_args_devicePfj15HIP_vector_typeIjLj3EEjjjS8_jjjS8_jjjj
    .private_segment_fixed_size: 0
    .sgpr_count:     32
    .sgpr_spill_count: 0
    .symbol:         _ZL13mul_mat_vec_qIL9ggml_type6ELi7ELb0ELb0EEvPKvS2_PKi31ggml_cuda_mm_fusion_args_devicePfj15HIP_vector_typeIjLj3EEjjjS8_jjjS8_jjjj.kd
    .uniform_work_group_size: 1
    .uses_dynamic_stack: false
    .vgpr_count:     80
    .vgpr_spill_count: 0
    .wavefront_size: 32
    .workgroup_processor_mode: 1
  - .args:
      - .address_space:  global
        .offset:         0
        .size:           8
        .value_kind:     global_buffer
      - .address_space:  global
        .offset:         8
        .size:           8
        .value_kind:     global_buffer
      - .address_space:  global
        .offset:         16
        .size:           8
        .value_kind:     global_buffer
      - .offset:         24
        .size:           32
        .value_kind:     by_value
      - .address_space:  global
        .offset:         56
        .size:           8
        .value_kind:     global_buffer
      - .offset:         64
        .size:           4
        .value_kind:     by_value
      - .offset:         68
        .size:           12
        .value_kind:     by_value
      - .offset:         80
        .size:           4
        .value_kind:     by_value
      - .offset:         84
        .size:           4
        .value_kind:     by_value
      - .offset:         88
        .size:           4
        .value_kind:     by_value
      - .offset:         92
        .size:           12
        .value_kind:     by_value
      - .offset:         104
        .size:           4
        .value_kind:     by_value
      - .offset:         108
        .size:           4
        .value_kind:     by_value
      - .offset:         112
        .size:           4
        .value_kind:     by_value
      - .offset:         116
        .size:           12
        .value_kind:     by_value
      - .offset:         128
        .size:           4
        .value_kind:     by_value
      - .offset:         132
        .size:           4
        .value_kind:     by_value
      - .offset:         136
        .size:           4
        .value_kind:     by_value
      - .offset:         140
        .size:           4
        .value_kind:     by_value
    .group_segment_fixed_size: 0
    .kernarg_segment_align: 8
    .kernarg_segment_size: 144
    .language:       OpenCL C
    .language_version:
      - 2
      - 0
    .max_flat_workgroup_size: 32
    .name:           _ZL13mul_mat_vec_qIL9ggml_type6ELi8ELb0ELb0EEvPKvS2_PKi31ggml_cuda_mm_fusion_args_devicePfj15HIP_vector_typeIjLj3EEjjjS8_jjjS8_jjjj
    .private_segment_fixed_size: 0
    .sgpr_count:     32
    .sgpr_spill_count: 0
    .symbol:         _ZL13mul_mat_vec_qIL9ggml_type6ELi8ELb0ELb0EEvPKvS2_PKi31ggml_cuda_mm_fusion_args_devicePfj15HIP_vector_typeIjLj3EEjjjS8_jjjS8_jjjj.kd
    .uniform_work_group_size: 1
    .uses_dynamic_stack: false
    .vgpr_count:     87
    .vgpr_spill_count: 0
    .wavefront_size: 32
    .workgroup_processor_mode: 1
  - .args:
      - .address_space:  global
        .offset:         0
        .size:           8
        .value_kind:     global_buffer
      - .address_space:  global
        .offset:         8
        .size:           8
        .value_kind:     global_buffer
      - .address_space:  global
        .offset:         16
        .size:           8
        .value_kind:     global_buffer
      - .address_space:  global
        .offset:         24
        .size:           8
        .value_kind:     global_buffer
      - .offset:         32
        .size:           4
        .value_kind:     by_value
      - .offset:         36
        .size:           12
        .value_kind:     by_value
      - .offset:         48
        .size:           4
        .value_kind:     by_value
      - .offset:         52
        .size:           4
        .value_kind:     by_value
      - .offset:         56
        .size:           4
        .value_kind:     by_value
      - .offset:         60
        .size:           4
        .value_kind:     by_value
      - .offset:         64
        .size:           4
        .value_kind:     by_value
      - .offset:         68
        .size:           4
        .value_kind:     by_value
      - .offset:         72
        .size:           4
        .value_kind:     by_value
      - .offset:         76
        .size:           4
        .value_kind:     by_value
      - .offset:         80
        .size:           4
        .value_kind:     by_value
    .group_segment_fixed_size: 0
    .kernarg_segment_align: 8
    .kernarg_segment_size: 84
    .language:       OpenCL C
    .language_version:
      - 2
      - 0
    .max_flat_workgroup_size: 224
    .name:           _ZL17mul_mat_vec_q_moeIL9ggml_type7ELi2EEvPKvS2_PKiPfj15HIP_vector_typeIjLj3EEjjjjjjjjj
    .private_segment_fixed_size: 0
    .sgpr_count:     26
    .sgpr_spill_count: 0
    .symbol:         _ZL17mul_mat_vec_q_moeIL9ggml_type7ELi2EEvPKvS2_PKiPfj15HIP_vector_typeIjLj3EEjjjjjjjjj.kd
    .uniform_work_group_size: 1
    .uses_dynamic_stack: false
    .vgpr_count:     60
    .vgpr_spill_count: 0
    .wavefront_size: 32
    .workgroup_processor_mode: 1
  - .args:
      - .address_space:  global
        .offset:         0
        .size:           8
        .value_kind:     global_buffer
      - .address_space:  global
        .offset:         8
        .size:           8
        .value_kind:     global_buffer
      - .address_space:  global
        .offset:         16
        .size:           8
        .value_kind:     global_buffer
      - .offset:         24
        .size:           32
        .value_kind:     by_value
      - .address_space:  global
        .offset:         56
        .size:           8
        .value_kind:     global_buffer
      - .offset:         64
        .size:           4
        .value_kind:     by_value
      - .offset:         68
        .size:           12
        .value_kind:     by_value
      - .offset:         80
        .size:           4
        .value_kind:     by_value
      - .offset:         84
        .size:           4
        .value_kind:     by_value
      - .offset:         88
        .size:           4
        .value_kind:     by_value
      - .offset:         92
        .size:           12
        .value_kind:     by_value
      - .offset:         104
        .size:           4
        .value_kind:     by_value
      - .offset:         108
        .size:           4
        .value_kind:     by_value
      - .offset:         112
        .size:           4
        .value_kind:     by_value
      - .offset:         116
        .size:           12
        .value_kind:     by_value
      - .offset:         128
        .size:           4
        .value_kind:     by_value
      - .offset:         132
        .size:           4
        .value_kind:     by_value
      - .offset:         136
        .size:           4
        .value_kind:     by_value
      - .offset:         140
        .size:           4
        .value_kind:     by_value
    .group_segment_fixed_size: 1792
    .kernarg_segment_align: 8
    .kernarg_segment_size: 144
    .language:       OpenCL C
    .language_version:
      - 2
      - 0
    .max_flat_workgroup_size: 256
    .name:           _ZL13mul_mat_vec_qIL9ggml_type7ELi1ELb1ELb1EEvPKvS2_PKi31ggml_cuda_mm_fusion_args_devicePfj15HIP_vector_typeIjLj3EEjjjS8_jjjS8_jjjj
    .private_segment_fixed_size: 0
    .sgpr_count:     40
    .sgpr_spill_count: 0
    .symbol:         _ZL13mul_mat_vec_qIL9ggml_type7ELi1ELb1ELb1EEvPKvS2_PKi31ggml_cuda_mm_fusion_args_devicePfj15HIP_vector_typeIjLj3EEjjjS8_jjjS8_jjjj.kd
    .uniform_work_group_size: 1
    .uses_dynamic_stack: false
    .vgpr_count:     45
    .vgpr_spill_count: 0
    .wavefront_size: 32
    .workgroup_processor_mode: 1
  - .args:
      - .address_space:  global
        .offset:         0
        .size:           8
        .value_kind:     global_buffer
      - .address_space:  global
        .offset:         8
        .size:           8
        .value_kind:     global_buffer
      - .address_space:  global
        .offset:         16
        .size:           8
        .value_kind:     global_buffer
      - .offset:         24
        .size:           32
        .value_kind:     by_value
      - .address_space:  global
        .offset:         56
        .size:           8
        .value_kind:     global_buffer
      - .offset:         64
        .size:           4
        .value_kind:     by_value
      - .offset:         68
        .size:           12
        .value_kind:     by_value
      - .offset:         80
        .size:           4
        .value_kind:     by_value
      - .offset:         84
        .size:           4
        .value_kind:     by_value
      - .offset:         88
        .size:           4
        .value_kind:     by_value
      - .offset:         92
        .size:           12
        .value_kind:     by_value
      - .offset:         104
        .size:           4
        .value_kind:     by_value
      - .offset:         108
        .size:           4
        .value_kind:     by_value
      - .offset:         112
        .size:           4
        .value_kind:     by_value
      - .offset:         116
        .size:           12
        .value_kind:     by_value
      - .offset:         128
        .size:           4
        .value_kind:     by_value
      - .offset:         132
        .size:           4
        .value_kind:     by_value
      - .offset:         136
        .size:           4
        .value_kind:     by_value
      - .offset:         140
        .size:           4
        .value_kind:     by_value
    .group_segment_fixed_size: 896
    .kernarg_segment_align: 8
    .kernarg_segment_size: 144
    .language:       OpenCL C
    .language_version:
      - 2
      - 0
    .max_flat_workgroup_size: 256
    .name:           _ZL13mul_mat_vec_qIL9ggml_type7ELi1ELb0ELb1EEvPKvS2_PKi31ggml_cuda_mm_fusion_args_devicePfj15HIP_vector_typeIjLj3EEjjjS8_jjjS8_jjjj
    .private_segment_fixed_size: 0
    .sgpr_count:     26
    .sgpr_spill_count: 0
    .symbol:         _ZL13mul_mat_vec_qIL9ggml_type7ELi1ELb0ELb1EEvPKvS2_PKi31ggml_cuda_mm_fusion_args_devicePfj15HIP_vector_typeIjLj3EEjjjS8_jjjS8_jjjj.kd
    .uniform_work_group_size: 1
    .uses_dynamic_stack: false
    .vgpr_count:     35
    .vgpr_spill_count: 0
    .wavefront_size: 32
    .workgroup_processor_mode: 1
  - .args:
      - .address_space:  global
        .offset:         0
        .size:           8
        .value_kind:     global_buffer
      - .address_space:  global
        .offset:         8
        .size:           8
        .value_kind:     global_buffer
      - .address_space:  global
        .offset:         16
        .size:           8
        .value_kind:     global_buffer
      - .offset:         24
        .size:           32
        .value_kind:     by_value
      - .address_space:  global
        .offset:         56
        .size:           8
        .value_kind:     global_buffer
      - .offset:         64
        .size:           4
        .value_kind:     by_value
      - .offset:         68
        .size:           12
        .value_kind:     by_value
      - .offset:         80
        .size:           4
        .value_kind:     by_value
      - .offset:         84
        .size:           4
        .value_kind:     by_value
      - .offset:         88
        .size:           4
        .value_kind:     by_value
      - .offset:         92
        .size:           12
        .value_kind:     by_value
      - .offset:         104
        .size:           4
        .value_kind:     by_value
      - .offset:         108
        .size:           4
        .value_kind:     by_value
      - .offset:         112
        .size:           4
        .value_kind:     by_value
      - .offset:         116
        .size:           12
        .value_kind:     by_value
      - .offset:         128
        .size:           4
        .value_kind:     by_value
      - .offset:         132
        .size:           4
        .value_kind:     by_value
      - .offset:         136
        .size:           4
        .value_kind:     by_value
      - .offset:         140
        .size:           4
        .value_kind:     by_value
    .group_segment_fixed_size: 1792
    .kernarg_segment_align: 8
    .kernarg_segment_size: 144
    .language:       OpenCL C
    .language_version:
      - 2
      - 0
    .max_flat_workgroup_size: 256
    .name:           _ZL13mul_mat_vec_qIL9ggml_type7ELi1ELb1ELb0EEvPKvS2_PKi31ggml_cuda_mm_fusion_args_devicePfj15HIP_vector_typeIjLj3EEjjjS8_jjjS8_jjjj
    .private_segment_fixed_size: 0
    .sgpr_count:     40
    .sgpr_spill_count: 0
    .symbol:         _ZL13mul_mat_vec_qIL9ggml_type7ELi1ELb1ELb0EEvPKvS2_PKi31ggml_cuda_mm_fusion_args_devicePfj15HIP_vector_typeIjLj3EEjjjS8_jjjS8_jjjj.kd
    .uniform_work_group_size: 1
    .uses_dynamic_stack: false
    .vgpr_count:     45
    .vgpr_spill_count: 0
    .wavefront_size: 32
    .workgroup_processor_mode: 1
  - .args:
      - .address_space:  global
        .offset:         0
        .size:           8
        .value_kind:     global_buffer
      - .address_space:  global
        .offset:         8
        .size:           8
        .value_kind:     global_buffer
      - .address_space:  global
        .offset:         16
        .size:           8
        .value_kind:     global_buffer
      - .offset:         24
        .size:           32
        .value_kind:     by_value
      - .address_space:  global
        .offset:         56
        .size:           8
        .value_kind:     global_buffer
      - .offset:         64
        .size:           4
        .value_kind:     by_value
      - .offset:         68
        .size:           12
        .value_kind:     by_value
      - .offset:         80
        .size:           4
        .value_kind:     by_value
      - .offset:         84
        .size:           4
        .value_kind:     by_value
      - .offset:         88
        .size:           4
        .value_kind:     by_value
      - .offset:         92
        .size:           12
        .value_kind:     by_value
      - .offset:         104
        .size:           4
        .value_kind:     by_value
      - .offset:         108
        .size:           4
        .value_kind:     by_value
      - .offset:         112
        .size:           4
        .value_kind:     by_value
      - .offset:         116
        .size:           12
        .value_kind:     by_value
      - .offset:         128
        .size:           4
        .value_kind:     by_value
      - .offset:         132
        .size:           4
        .value_kind:     by_value
      - .offset:         136
        .size:           4
        .value_kind:     by_value
      - .offset:         140
        .size:           4
        .value_kind:     by_value
    .group_segment_fixed_size: 896
    .kernarg_segment_align: 8
    .kernarg_segment_size: 144
    .language:       OpenCL C
    .language_version:
      - 2
      - 0
    .max_flat_workgroup_size: 256
    .name:           _ZL13mul_mat_vec_qIL9ggml_type7ELi1ELb0ELb0EEvPKvS2_PKi31ggml_cuda_mm_fusion_args_devicePfj15HIP_vector_typeIjLj3EEjjjS8_jjjS8_jjjj
    .private_segment_fixed_size: 0
    .sgpr_count:     26
    .sgpr_spill_count: 0
    .symbol:         _ZL13mul_mat_vec_qIL9ggml_type7ELi1ELb0ELb0EEvPKvS2_PKi31ggml_cuda_mm_fusion_args_devicePfj15HIP_vector_typeIjLj3EEjjjS8_jjjS8_jjjj.kd
    .uniform_work_group_size: 1
    .uses_dynamic_stack: false
    .vgpr_count:     35
    .vgpr_spill_count: 0
    .wavefront_size: 32
    .workgroup_processor_mode: 1
  - .args:
      - .address_space:  global
        .offset:         0
        .size:           8
        .value_kind:     global_buffer
      - .address_space:  global
        .offset:         8
        .size:           8
        .value_kind:     global_buffer
      - .address_space:  global
        .offset:         16
        .size:           8
        .value_kind:     global_buffer
      - .offset:         24
        .size:           32
        .value_kind:     by_value
      - .address_space:  global
        .offset:         56
        .size:           8
        .value_kind:     global_buffer
      - .offset:         64
        .size:           4
        .value_kind:     by_value
      - .offset:         68
        .size:           12
        .value_kind:     by_value
      - .offset:         80
        .size:           4
        .value_kind:     by_value
      - .offset:         84
        .size:           4
        .value_kind:     by_value
      - .offset:         88
        .size:           4
        .value_kind:     by_value
      - .offset:         92
        .size:           12
        .value_kind:     by_value
      - .offset:         104
        .size:           4
        .value_kind:     by_value
      - .offset:         108
        .size:           4
        .value_kind:     by_value
      - .offset:         112
        .size:           4
        .value_kind:     by_value
      - .offset:         116
        .size:           12
        .value_kind:     by_value
      - .offset:         128
        .size:           4
        .value_kind:     by_value
      - .offset:         132
        .size:           4
        .value_kind:     by_value
      - .offset:         136
        .size:           4
        .value_kind:     by_value
      - .offset:         140
        .size:           4
        .value_kind:     by_value
    .group_segment_fixed_size: 0
    .kernarg_segment_align: 8
    .kernarg_segment_size: 144
    .language:       OpenCL C
    .language_version:
      - 2
      - 0
    .max_flat_workgroup_size: 32
    .name:           _ZL13mul_mat_vec_qIL9ggml_type7ELi2ELb0ELb0EEvPKvS2_PKi31ggml_cuda_mm_fusion_args_devicePfj15HIP_vector_typeIjLj3EEjjjS8_jjjS8_jjjj
    .private_segment_fixed_size: 0
    .sgpr_count:     32
    .sgpr_spill_count: 0
    .symbol:         _ZL13mul_mat_vec_qIL9ggml_type7ELi2ELb0ELb0EEvPKvS2_PKi31ggml_cuda_mm_fusion_args_devicePfj15HIP_vector_typeIjLj3EEjjjS8_jjjS8_jjjj.kd
    .uniform_work_group_size: 1
    .uses_dynamic_stack: false
    .vgpr_count:     42
    .vgpr_spill_count: 0
    .wavefront_size: 32
    .workgroup_processor_mode: 1
  - .args:
      - .address_space:  global
        .offset:         0
        .size:           8
        .value_kind:     global_buffer
      - .address_space:  global
        .offset:         8
        .size:           8
        .value_kind:     global_buffer
      - .address_space:  global
        .offset:         16
        .size:           8
        .value_kind:     global_buffer
      - .offset:         24
        .size:           32
        .value_kind:     by_value
      - .address_space:  global
        .offset:         56
        .size:           8
        .value_kind:     global_buffer
      - .offset:         64
        .size:           4
        .value_kind:     by_value
      - .offset:         68
        .size:           12
        .value_kind:     by_value
      - .offset:         80
        .size:           4
        .value_kind:     by_value
      - .offset:         84
        .size:           4
        .value_kind:     by_value
      - .offset:         88
        .size:           4
        .value_kind:     by_value
      - .offset:         92
        .size:           12
        .value_kind:     by_value
      - .offset:         104
        .size:           4
        .value_kind:     by_value
      - .offset:         108
        .size:           4
        .value_kind:     by_value
      - .offset:         112
        .size:           4
        .value_kind:     by_value
      - .offset:         116
        .size:           12
        .value_kind:     by_value
      - .offset:         128
        .size:           4
        .value_kind:     by_value
      - .offset:         132
        .size:           4
        .value_kind:     by_value
      - .offset:         136
        .size:           4
        .value_kind:     by_value
      - .offset:         140
        .size:           4
        .value_kind:     by_value
    .group_segment_fixed_size: 0
    .kernarg_segment_align: 8
    .kernarg_segment_size: 144
    .language:       OpenCL C
    .language_version:
      - 2
      - 0
    .max_flat_workgroup_size: 32
    .name:           _ZL13mul_mat_vec_qIL9ggml_type7ELi3ELb0ELb0EEvPKvS2_PKi31ggml_cuda_mm_fusion_args_devicePfj15HIP_vector_typeIjLj3EEjjjS8_jjjS8_jjjj
    .private_segment_fixed_size: 0
    .sgpr_count:     32
    .sgpr_spill_count: 0
    .symbol:         _ZL13mul_mat_vec_qIL9ggml_type7ELi3ELb0ELb0EEvPKvS2_PKi31ggml_cuda_mm_fusion_args_devicePfj15HIP_vector_typeIjLj3EEjjjS8_jjjS8_jjjj.kd
    .uniform_work_group_size: 1
    .uses_dynamic_stack: false
    .vgpr_count:     50
    .vgpr_spill_count: 0
    .wavefront_size: 32
    .workgroup_processor_mode: 1
  - .args:
      - .address_space:  global
        .offset:         0
        .size:           8
        .value_kind:     global_buffer
      - .address_space:  global
        .offset:         8
        .size:           8
        .value_kind:     global_buffer
      - .address_space:  global
        .offset:         16
        .size:           8
        .value_kind:     global_buffer
      - .offset:         24
        .size:           32
        .value_kind:     by_value
      - .address_space:  global
        .offset:         56
        .size:           8
        .value_kind:     global_buffer
      - .offset:         64
        .size:           4
        .value_kind:     by_value
      - .offset:         68
        .size:           12
        .value_kind:     by_value
      - .offset:         80
        .size:           4
        .value_kind:     by_value
      - .offset:         84
        .size:           4
        .value_kind:     by_value
      - .offset:         88
        .size:           4
        .value_kind:     by_value
      - .offset:         92
        .size:           12
        .value_kind:     by_value
      - .offset:         104
        .size:           4
        .value_kind:     by_value
      - .offset:         108
        .size:           4
        .value_kind:     by_value
      - .offset:         112
        .size:           4
        .value_kind:     by_value
      - .offset:         116
        .size:           12
        .value_kind:     by_value
      - .offset:         128
        .size:           4
        .value_kind:     by_value
      - .offset:         132
        .size:           4
        .value_kind:     by_value
      - .offset:         136
        .size:           4
        .value_kind:     by_value
      - .offset:         140
        .size:           4
        .value_kind:     by_value
    .group_segment_fixed_size: 0
    .kernarg_segment_align: 8
    .kernarg_segment_size: 144
    .language:       OpenCL C
    .language_version:
      - 2
      - 0
    .max_flat_workgroup_size: 32
    .name:           _ZL13mul_mat_vec_qIL9ggml_type7ELi4ELb0ELb0EEvPKvS2_PKi31ggml_cuda_mm_fusion_args_devicePfj15HIP_vector_typeIjLj3EEjjjS8_jjjS8_jjjj
    .private_segment_fixed_size: 0
    .sgpr_count:     32
    .sgpr_spill_count: 0
    .symbol:         _ZL13mul_mat_vec_qIL9ggml_type7ELi4ELb0ELb0EEvPKvS2_PKi31ggml_cuda_mm_fusion_args_devicePfj15HIP_vector_typeIjLj3EEjjjS8_jjjS8_jjjj.kd
    .uniform_work_group_size: 1
    .uses_dynamic_stack: false
    .vgpr_count:     57
    .vgpr_spill_count: 0
    .wavefront_size: 32
    .workgroup_processor_mode: 1
  - .args:
      - .address_space:  global
        .offset:         0
        .size:           8
        .value_kind:     global_buffer
      - .address_space:  global
        .offset:         8
        .size:           8
        .value_kind:     global_buffer
      - .address_space:  global
        .offset:         16
        .size:           8
        .value_kind:     global_buffer
      - .offset:         24
        .size:           32
        .value_kind:     by_value
      - .address_space:  global
        .offset:         56
        .size:           8
        .value_kind:     global_buffer
      - .offset:         64
        .size:           4
        .value_kind:     by_value
      - .offset:         68
        .size:           12
        .value_kind:     by_value
      - .offset:         80
        .size:           4
        .value_kind:     by_value
      - .offset:         84
        .size:           4
        .value_kind:     by_value
      - .offset:         88
        .size:           4
        .value_kind:     by_value
      - .offset:         92
        .size:           12
        .value_kind:     by_value
      - .offset:         104
        .size:           4
        .value_kind:     by_value
      - .offset:         108
        .size:           4
        .value_kind:     by_value
      - .offset:         112
        .size:           4
        .value_kind:     by_value
      - .offset:         116
        .size:           12
        .value_kind:     by_value
      - .offset:         128
        .size:           4
        .value_kind:     by_value
      - .offset:         132
        .size:           4
        .value_kind:     by_value
      - .offset:         136
        .size:           4
        .value_kind:     by_value
      - .offset:         140
        .size:           4
        .value_kind:     by_value
    .group_segment_fixed_size: 0
    .kernarg_segment_align: 8
    .kernarg_segment_size: 144
    .language:       OpenCL C
    .language_version:
      - 2
      - 0
    .max_flat_workgroup_size: 32
    .name:           _ZL13mul_mat_vec_qIL9ggml_type7ELi5ELb0ELb0EEvPKvS2_PKi31ggml_cuda_mm_fusion_args_devicePfj15HIP_vector_typeIjLj3EEjjjS8_jjjS8_jjjj
    .private_segment_fixed_size: 0
    .sgpr_count:     32
    .sgpr_spill_count: 0
    .symbol:         _ZL13mul_mat_vec_qIL9ggml_type7ELi5ELb0ELb0EEvPKvS2_PKi31ggml_cuda_mm_fusion_args_devicePfj15HIP_vector_typeIjLj3EEjjjS8_jjjS8_jjjj.kd
    .uniform_work_group_size: 1
    .uses_dynamic_stack: false
    .vgpr_count:     64
    .vgpr_spill_count: 0
    .wavefront_size: 32
    .workgroup_processor_mode: 1
  - .args:
      - .address_space:  global
        .offset:         0
        .size:           8
        .value_kind:     global_buffer
      - .address_space:  global
        .offset:         8
        .size:           8
        .value_kind:     global_buffer
      - .address_space:  global
        .offset:         16
        .size:           8
        .value_kind:     global_buffer
      - .offset:         24
        .size:           32
        .value_kind:     by_value
      - .address_space:  global
        .offset:         56
        .size:           8
        .value_kind:     global_buffer
      - .offset:         64
        .size:           4
        .value_kind:     by_value
      - .offset:         68
        .size:           12
        .value_kind:     by_value
      - .offset:         80
        .size:           4
        .value_kind:     by_value
      - .offset:         84
        .size:           4
        .value_kind:     by_value
      - .offset:         88
        .size:           4
        .value_kind:     by_value
      - .offset:         92
        .size:           12
        .value_kind:     by_value
      - .offset:         104
        .size:           4
        .value_kind:     by_value
      - .offset:         108
        .size:           4
        .value_kind:     by_value
      - .offset:         112
        .size:           4
        .value_kind:     by_value
      - .offset:         116
        .size:           12
        .value_kind:     by_value
      - .offset:         128
        .size:           4
        .value_kind:     by_value
      - .offset:         132
        .size:           4
        .value_kind:     by_value
      - .offset:         136
        .size:           4
        .value_kind:     by_value
      - .offset:         140
        .size:           4
        .value_kind:     by_value
    .group_segment_fixed_size: 0
    .kernarg_segment_align: 8
    .kernarg_segment_size: 144
    .language:       OpenCL C
    .language_version:
      - 2
      - 0
    .max_flat_workgroup_size: 32
    .name:           _ZL13mul_mat_vec_qIL9ggml_type7ELi6ELb0ELb0EEvPKvS2_PKi31ggml_cuda_mm_fusion_args_devicePfj15HIP_vector_typeIjLj3EEjjjS8_jjjS8_jjjj
    .private_segment_fixed_size: 0
    .sgpr_count:     32
    .sgpr_spill_count: 0
    .symbol:         _ZL13mul_mat_vec_qIL9ggml_type7ELi6ELb0ELb0EEvPKvS2_PKi31ggml_cuda_mm_fusion_args_devicePfj15HIP_vector_typeIjLj3EEjjjS8_jjjS8_jjjj.kd
    .uniform_work_group_size: 1
    .uses_dynamic_stack: false
    .vgpr_count:     71
    .vgpr_spill_count: 0
    .wavefront_size: 32
    .workgroup_processor_mode: 1
  - .args:
      - .address_space:  global
        .offset:         0
        .size:           8
        .value_kind:     global_buffer
      - .address_space:  global
        .offset:         8
        .size:           8
        .value_kind:     global_buffer
      - .address_space:  global
        .offset:         16
        .size:           8
        .value_kind:     global_buffer
      - .offset:         24
        .size:           32
        .value_kind:     by_value
      - .address_space:  global
        .offset:         56
        .size:           8
        .value_kind:     global_buffer
      - .offset:         64
        .size:           4
        .value_kind:     by_value
      - .offset:         68
        .size:           12
        .value_kind:     by_value
      - .offset:         80
        .size:           4
        .value_kind:     by_value
      - .offset:         84
        .size:           4
        .value_kind:     by_value
      - .offset:         88
        .size:           4
        .value_kind:     by_value
      - .offset:         92
        .size:           12
        .value_kind:     by_value
      - .offset:         104
        .size:           4
        .value_kind:     by_value
      - .offset:         108
        .size:           4
        .value_kind:     by_value
      - .offset:         112
        .size:           4
        .value_kind:     by_value
      - .offset:         116
        .size:           12
        .value_kind:     by_value
      - .offset:         128
        .size:           4
        .value_kind:     by_value
      - .offset:         132
        .size:           4
        .value_kind:     by_value
      - .offset:         136
        .size:           4
        .value_kind:     by_value
      - .offset:         140
        .size:           4
        .value_kind:     by_value
    .group_segment_fixed_size: 0
    .kernarg_segment_align: 8
    .kernarg_segment_size: 144
    .language:       OpenCL C
    .language_version:
      - 2
      - 0
    .max_flat_workgroup_size: 32
    .name:           _ZL13mul_mat_vec_qIL9ggml_type7ELi7ELb0ELb0EEvPKvS2_PKi31ggml_cuda_mm_fusion_args_devicePfj15HIP_vector_typeIjLj3EEjjjS8_jjjS8_jjjj
    .private_segment_fixed_size: 0
    .sgpr_count:     32
    .sgpr_spill_count: 0
    .symbol:         _ZL13mul_mat_vec_qIL9ggml_type7ELi7ELb0ELb0EEvPKvS2_PKi31ggml_cuda_mm_fusion_args_devicePfj15HIP_vector_typeIjLj3EEjjjS8_jjjS8_jjjj.kd
    .uniform_work_group_size: 1
    .uses_dynamic_stack: false
    .vgpr_count:     78
    .vgpr_spill_count: 0
    .wavefront_size: 32
    .workgroup_processor_mode: 1
  - .args:
      - .address_space:  global
        .offset:         0
        .size:           8
        .value_kind:     global_buffer
      - .address_space:  global
        .offset:         8
        .size:           8
        .value_kind:     global_buffer
      - .address_space:  global
        .offset:         16
        .size:           8
        .value_kind:     global_buffer
      - .offset:         24
        .size:           32
        .value_kind:     by_value
      - .address_space:  global
        .offset:         56
        .size:           8
        .value_kind:     global_buffer
      - .offset:         64
        .size:           4
        .value_kind:     by_value
      - .offset:         68
        .size:           12
        .value_kind:     by_value
      - .offset:         80
        .size:           4
        .value_kind:     by_value
      - .offset:         84
        .size:           4
        .value_kind:     by_value
      - .offset:         88
        .size:           4
        .value_kind:     by_value
      - .offset:         92
        .size:           12
        .value_kind:     by_value
      - .offset:         104
        .size:           4
        .value_kind:     by_value
      - .offset:         108
        .size:           4
        .value_kind:     by_value
      - .offset:         112
        .size:           4
        .value_kind:     by_value
      - .offset:         116
        .size:           12
        .value_kind:     by_value
      - .offset:         128
        .size:           4
        .value_kind:     by_value
      - .offset:         132
        .size:           4
        .value_kind:     by_value
      - .offset:         136
        .size:           4
        .value_kind:     by_value
      - .offset:         140
        .size:           4
        .value_kind:     by_value
    .group_segment_fixed_size: 0
    .kernarg_segment_align: 8
    .kernarg_segment_size: 144
    .language:       OpenCL C
    .language_version:
      - 2
      - 0
    .max_flat_workgroup_size: 32
    .name:           _ZL13mul_mat_vec_qIL9ggml_type7ELi8ELb0ELb0EEvPKvS2_PKi31ggml_cuda_mm_fusion_args_devicePfj15HIP_vector_typeIjLj3EEjjjS8_jjjS8_jjjj
    .private_segment_fixed_size: 0
    .sgpr_count:     32
    .sgpr_spill_count: 0
    .symbol:         _ZL13mul_mat_vec_qIL9ggml_type7ELi8ELb0ELb0EEvPKvS2_PKi31ggml_cuda_mm_fusion_args_devicePfj15HIP_vector_typeIjLj3EEjjjS8_jjjS8_jjjj.kd
    .uniform_work_group_size: 1
    .uses_dynamic_stack: false
    .vgpr_count:     85
    .vgpr_spill_count: 0
    .wavefront_size: 32
    .workgroup_processor_mode: 1
  - .args:
      - .address_space:  global
        .offset:         0
        .size:           8
        .value_kind:     global_buffer
      - .address_space:  global
        .offset:         8
        .size:           8
        .value_kind:     global_buffer
      - .address_space:  global
        .offset:         16
        .size:           8
        .value_kind:     global_buffer
      - .address_space:  global
        .offset:         24
        .size:           8
        .value_kind:     global_buffer
      - .offset:         32
        .size:           4
        .value_kind:     by_value
      - .offset:         36
        .size:           12
        .value_kind:     by_value
      - .offset:         48
        .size:           4
        .value_kind:     by_value
      - .offset:         52
        .size:           4
        .value_kind:     by_value
      - .offset:         56
        .size:           4
        .value_kind:     by_value
      - .offset:         60
        .size:           4
        .value_kind:     by_value
      - .offset:         64
        .size:           4
        .value_kind:     by_value
      - .offset:         68
        .size:           4
        .value_kind:     by_value
      - .offset:         72
        .size:           4
        .value_kind:     by_value
      - .offset:         76
        .size:           4
        .value_kind:     by_value
      - .offset:         80
        .size:           4
        .value_kind:     by_value
    .group_segment_fixed_size: 0
    .kernarg_segment_align: 8
    .kernarg_segment_size: 84
    .language:       OpenCL C
    .language_version:
      - 2
      - 0
    .max_flat_workgroup_size: 224
    .name:           _ZL17mul_mat_vec_q_moeIL9ggml_type8ELi2EEvPKvS2_PKiPfj15HIP_vector_typeIjLj3EEjjjjjjjjj
    .private_segment_fixed_size: 0
    .sgpr_count:     26
    .sgpr_spill_count: 0
    .symbol:         _ZL17mul_mat_vec_q_moeIL9ggml_type8ELi2EEvPKvS2_PKiPfj15HIP_vector_typeIjLj3EEjjjjjjjjj.kd
    .uniform_work_group_size: 1
    .uses_dynamic_stack: false
    .vgpr_count:     22
    .vgpr_spill_count: 0
    .wavefront_size: 32
    .workgroup_processor_mode: 1
  - .args:
      - .address_space:  global
        .offset:         0
        .size:           8
        .value_kind:     global_buffer
      - .address_space:  global
        .offset:         8
        .size:           8
        .value_kind:     global_buffer
      - .address_space:  global
        .offset:         16
        .size:           8
        .value_kind:     global_buffer
      - .offset:         24
        .size:           32
        .value_kind:     by_value
      - .address_space:  global
        .offset:         56
        .size:           8
        .value_kind:     global_buffer
      - .offset:         64
        .size:           4
        .value_kind:     by_value
      - .offset:         68
        .size:           12
        .value_kind:     by_value
      - .offset:         80
        .size:           4
        .value_kind:     by_value
      - .offset:         84
        .size:           4
        .value_kind:     by_value
      - .offset:         88
        .size:           4
        .value_kind:     by_value
      - .offset:         92
        .size:           12
        .value_kind:     by_value
      - .offset:         104
        .size:           4
        .value_kind:     by_value
      - .offset:         108
        .size:           4
        .value_kind:     by_value
      - .offset:         112
        .size:           4
        .value_kind:     by_value
      - .offset:         116
        .size:           12
        .value_kind:     by_value
      - .offset:         128
        .size:           4
        .value_kind:     by_value
      - .offset:         132
        .size:           4
        .value_kind:     by_value
      - .offset:         136
        .size:           4
        .value_kind:     by_value
      - .offset:         140
        .size:           4
        .value_kind:     by_value
    .group_segment_fixed_size: 1792
    .kernarg_segment_align: 8
    .kernarg_segment_size: 144
    .language:       OpenCL C
    .language_version:
      - 2
      - 0
    .max_flat_workgroup_size: 256
    .name:           _ZL13mul_mat_vec_qIL9ggml_type8ELi1ELb1ELb1EEvPKvS2_PKi31ggml_cuda_mm_fusion_args_devicePfj15HIP_vector_typeIjLj3EEjjjS8_jjjS8_jjjj
    .private_segment_fixed_size: 0
    .sgpr_count:     40
    .sgpr_spill_count: 0
    .symbol:         _ZL13mul_mat_vec_qIL9ggml_type8ELi1ELb1ELb1EEvPKvS2_PKi31ggml_cuda_mm_fusion_args_devicePfj15HIP_vector_typeIjLj3EEjjjS8_jjjS8_jjjj.kd
    .uniform_work_group_size: 1
    .uses_dynamic_stack: false
    .vgpr_count:     23
    .vgpr_spill_count: 0
    .wavefront_size: 32
    .workgroup_processor_mode: 1
  - .args:
      - .address_space:  global
        .offset:         0
        .size:           8
        .value_kind:     global_buffer
      - .address_space:  global
        .offset:         8
        .size:           8
        .value_kind:     global_buffer
      - .address_space:  global
        .offset:         16
        .size:           8
        .value_kind:     global_buffer
      - .offset:         24
        .size:           32
        .value_kind:     by_value
      - .address_space:  global
        .offset:         56
        .size:           8
        .value_kind:     global_buffer
      - .offset:         64
        .size:           4
        .value_kind:     by_value
      - .offset:         68
        .size:           12
        .value_kind:     by_value
      - .offset:         80
        .size:           4
        .value_kind:     by_value
      - .offset:         84
        .size:           4
        .value_kind:     by_value
      - .offset:         88
        .size:           4
        .value_kind:     by_value
      - .offset:         92
        .size:           12
        .value_kind:     by_value
      - .offset:         104
        .size:           4
        .value_kind:     by_value
      - .offset:         108
        .size:           4
        .value_kind:     by_value
      - .offset:         112
        .size:           4
        .value_kind:     by_value
      - .offset:         116
        .size:           12
        .value_kind:     by_value
      - .offset:         128
        .size:           4
        .value_kind:     by_value
      - .offset:         132
        .size:           4
        .value_kind:     by_value
      - .offset:         136
        .size:           4
        .value_kind:     by_value
      - .offset:         140
        .size:           4
        .value_kind:     by_value
    .group_segment_fixed_size: 896
    .kernarg_segment_align: 8
    .kernarg_segment_size: 144
    .language:       OpenCL C
    .language_version:
      - 2
      - 0
    .max_flat_workgroup_size: 256
    .name:           _ZL13mul_mat_vec_qIL9ggml_type8ELi1ELb0ELb1EEvPKvS2_PKi31ggml_cuda_mm_fusion_args_devicePfj15HIP_vector_typeIjLj3EEjjjS8_jjjS8_jjjj
    .private_segment_fixed_size: 0
    .sgpr_count:     26
    .sgpr_spill_count: 0
    .symbol:         _ZL13mul_mat_vec_qIL9ggml_type8ELi1ELb0ELb1EEvPKvS2_PKi31ggml_cuda_mm_fusion_args_devicePfj15HIP_vector_typeIjLj3EEjjjS8_jjjS8_jjjj.kd
    .uniform_work_group_size: 1
    .uses_dynamic_stack: false
    .vgpr_count:     16
    .vgpr_spill_count: 0
    .wavefront_size: 32
    .workgroup_processor_mode: 1
  - .args:
      - .address_space:  global
        .offset:         0
        .size:           8
        .value_kind:     global_buffer
      - .address_space:  global
        .offset:         8
        .size:           8
        .value_kind:     global_buffer
      - .address_space:  global
        .offset:         16
        .size:           8
        .value_kind:     global_buffer
      - .offset:         24
        .size:           32
        .value_kind:     by_value
      - .address_space:  global
        .offset:         56
        .size:           8
        .value_kind:     global_buffer
      - .offset:         64
        .size:           4
        .value_kind:     by_value
      - .offset:         68
        .size:           12
        .value_kind:     by_value
      - .offset:         80
        .size:           4
        .value_kind:     by_value
      - .offset:         84
        .size:           4
        .value_kind:     by_value
      - .offset:         88
        .size:           4
        .value_kind:     by_value
      - .offset:         92
        .size:           12
        .value_kind:     by_value
      - .offset:         104
        .size:           4
        .value_kind:     by_value
      - .offset:         108
        .size:           4
        .value_kind:     by_value
      - .offset:         112
        .size:           4
        .value_kind:     by_value
      - .offset:         116
        .size:           12
        .value_kind:     by_value
      - .offset:         128
        .size:           4
        .value_kind:     by_value
      - .offset:         132
        .size:           4
        .value_kind:     by_value
      - .offset:         136
        .size:           4
        .value_kind:     by_value
      - .offset:         140
        .size:           4
        .value_kind:     by_value
    .group_segment_fixed_size: 1792
    .kernarg_segment_align: 8
    .kernarg_segment_size: 144
    .language:       OpenCL C
    .language_version:
      - 2
      - 0
    .max_flat_workgroup_size: 256
    .name:           _ZL13mul_mat_vec_qIL9ggml_type8ELi1ELb1ELb0EEvPKvS2_PKi31ggml_cuda_mm_fusion_args_devicePfj15HIP_vector_typeIjLj3EEjjjS8_jjjS8_jjjj
    .private_segment_fixed_size: 0
    .sgpr_count:     40
    .sgpr_spill_count: 0
    .symbol:         _ZL13mul_mat_vec_qIL9ggml_type8ELi1ELb1ELb0EEvPKvS2_PKi31ggml_cuda_mm_fusion_args_devicePfj15HIP_vector_typeIjLj3EEjjjS8_jjjS8_jjjj.kd
    .uniform_work_group_size: 1
    .uses_dynamic_stack: false
    .vgpr_count:     23
    .vgpr_spill_count: 0
    .wavefront_size: 32
    .workgroup_processor_mode: 1
  - .args:
      - .address_space:  global
        .offset:         0
        .size:           8
        .value_kind:     global_buffer
      - .address_space:  global
        .offset:         8
        .size:           8
        .value_kind:     global_buffer
      - .address_space:  global
        .offset:         16
        .size:           8
        .value_kind:     global_buffer
      - .offset:         24
        .size:           32
        .value_kind:     by_value
      - .address_space:  global
        .offset:         56
        .size:           8
        .value_kind:     global_buffer
      - .offset:         64
        .size:           4
        .value_kind:     by_value
      - .offset:         68
        .size:           12
        .value_kind:     by_value
      - .offset:         80
        .size:           4
        .value_kind:     by_value
      - .offset:         84
        .size:           4
        .value_kind:     by_value
      - .offset:         88
        .size:           4
        .value_kind:     by_value
      - .offset:         92
        .size:           12
        .value_kind:     by_value
      - .offset:         104
        .size:           4
        .value_kind:     by_value
      - .offset:         108
        .size:           4
        .value_kind:     by_value
      - .offset:         112
        .size:           4
        .value_kind:     by_value
      - .offset:         116
        .size:           12
        .value_kind:     by_value
      - .offset:         128
        .size:           4
        .value_kind:     by_value
      - .offset:         132
        .size:           4
        .value_kind:     by_value
      - .offset:         136
        .size:           4
        .value_kind:     by_value
      - .offset:         140
        .size:           4
        .value_kind:     by_value
    .group_segment_fixed_size: 896
    .kernarg_segment_align: 8
    .kernarg_segment_size: 144
    .language:       OpenCL C
    .language_version:
      - 2
      - 0
    .max_flat_workgroup_size: 256
    .name:           _ZL13mul_mat_vec_qIL9ggml_type8ELi1ELb0ELb0EEvPKvS2_PKi31ggml_cuda_mm_fusion_args_devicePfj15HIP_vector_typeIjLj3EEjjjS8_jjjS8_jjjj
    .private_segment_fixed_size: 0
    .sgpr_count:     26
    .sgpr_spill_count: 0
    .symbol:         _ZL13mul_mat_vec_qIL9ggml_type8ELi1ELb0ELb0EEvPKvS2_PKi31ggml_cuda_mm_fusion_args_devicePfj15HIP_vector_typeIjLj3EEjjjS8_jjjS8_jjjj.kd
    .uniform_work_group_size: 1
    .uses_dynamic_stack: false
    .vgpr_count:     16
    .vgpr_spill_count: 0
    .wavefront_size: 32
    .workgroup_processor_mode: 1
  - .args:
      - .address_space:  global
        .offset:         0
        .size:           8
        .value_kind:     global_buffer
      - .address_space:  global
        .offset:         8
        .size:           8
        .value_kind:     global_buffer
      - .address_space:  global
        .offset:         16
        .size:           8
        .value_kind:     global_buffer
      - .offset:         24
        .size:           32
        .value_kind:     by_value
      - .address_space:  global
        .offset:         56
        .size:           8
        .value_kind:     global_buffer
      - .offset:         64
        .size:           4
        .value_kind:     by_value
      - .offset:         68
        .size:           12
        .value_kind:     by_value
      - .offset:         80
        .size:           4
        .value_kind:     by_value
      - .offset:         84
        .size:           4
        .value_kind:     by_value
      - .offset:         88
        .size:           4
        .value_kind:     by_value
      - .offset:         92
        .size:           12
        .value_kind:     by_value
      - .offset:         104
        .size:           4
        .value_kind:     by_value
      - .offset:         108
        .size:           4
        .value_kind:     by_value
      - .offset:         112
        .size:           4
        .value_kind:     by_value
      - .offset:         116
        .size:           12
        .value_kind:     by_value
      - .offset:         128
        .size:           4
        .value_kind:     by_value
      - .offset:         132
        .size:           4
        .value_kind:     by_value
      - .offset:         136
        .size:           4
        .value_kind:     by_value
      - .offset:         140
        .size:           4
        .value_kind:     by_value
    .group_segment_fixed_size: 0
    .kernarg_segment_align: 8
    .kernarg_segment_size: 144
    .language:       OpenCL C
    .language_version:
      - 2
      - 0
    .max_flat_workgroup_size: 32
    .name:           _ZL13mul_mat_vec_qIL9ggml_type8ELi2ELb0ELb0EEvPKvS2_PKi31ggml_cuda_mm_fusion_args_devicePfj15HIP_vector_typeIjLj3EEjjjS8_jjjS8_jjjj
    .private_segment_fixed_size: 0
    .sgpr_count:     32
    .sgpr_spill_count: 0
    .symbol:         _ZL13mul_mat_vec_qIL9ggml_type8ELi2ELb0ELb0EEvPKvS2_PKi31ggml_cuda_mm_fusion_args_devicePfj15HIP_vector_typeIjLj3EEjjjS8_jjjS8_jjjj.kd
    .uniform_work_group_size: 1
    .uses_dynamic_stack: false
    .vgpr_count:     21
    .vgpr_spill_count: 0
    .wavefront_size: 32
    .workgroup_processor_mode: 1
  - .args:
      - .address_space:  global
        .offset:         0
        .size:           8
        .value_kind:     global_buffer
      - .address_space:  global
        .offset:         8
        .size:           8
        .value_kind:     global_buffer
      - .address_space:  global
        .offset:         16
        .size:           8
        .value_kind:     global_buffer
      - .offset:         24
        .size:           32
        .value_kind:     by_value
      - .address_space:  global
        .offset:         56
        .size:           8
        .value_kind:     global_buffer
      - .offset:         64
        .size:           4
        .value_kind:     by_value
      - .offset:         68
        .size:           12
        .value_kind:     by_value
      - .offset:         80
        .size:           4
        .value_kind:     by_value
      - .offset:         84
        .size:           4
        .value_kind:     by_value
      - .offset:         88
        .size:           4
        .value_kind:     by_value
      - .offset:         92
        .size:           12
        .value_kind:     by_value
      - .offset:         104
        .size:           4
        .value_kind:     by_value
      - .offset:         108
        .size:           4
        .value_kind:     by_value
      - .offset:         112
        .size:           4
        .value_kind:     by_value
      - .offset:         116
        .size:           12
        .value_kind:     by_value
      - .offset:         128
        .size:           4
        .value_kind:     by_value
      - .offset:         132
        .size:           4
        .value_kind:     by_value
      - .offset:         136
        .size:           4
        .value_kind:     by_value
      - .offset:         140
        .size:           4
        .value_kind:     by_value
    .group_segment_fixed_size: 0
    .kernarg_segment_align: 8
    .kernarg_segment_size: 144
    .language:       OpenCL C
    .language_version:
      - 2
      - 0
    .max_flat_workgroup_size: 32
    .name:           _ZL13mul_mat_vec_qIL9ggml_type8ELi3ELb0ELb0EEvPKvS2_PKi31ggml_cuda_mm_fusion_args_devicePfj15HIP_vector_typeIjLj3EEjjjS8_jjjS8_jjjj
    .private_segment_fixed_size: 0
    .sgpr_count:     32
    .sgpr_spill_count: 0
    .symbol:         _ZL13mul_mat_vec_qIL9ggml_type8ELi3ELb0ELb0EEvPKvS2_PKi31ggml_cuda_mm_fusion_args_devicePfj15HIP_vector_typeIjLj3EEjjjS8_jjjS8_jjjj.kd
    .uniform_work_group_size: 1
    .uses_dynamic_stack: false
    .vgpr_count:     27
    .vgpr_spill_count: 0
    .wavefront_size: 32
    .workgroup_processor_mode: 1
  - .args:
      - .address_space:  global
        .offset:         0
        .size:           8
        .value_kind:     global_buffer
      - .address_space:  global
        .offset:         8
        .size:           8
        .value_kind:     global_buffer
      - .address_space:  global
        .offset:         16
        .size:           8
        .value_kind:     global_buffer
      - .offset:         24
        .size:           32
        .value_kind:     by_value
      - .address_space:  global
        .offset:         56
        .size:           8
        .value_kind:     global_buffer
      - .offset:         64
        .size:           4
        .value_kind:     by_value
      - .offset:         68
        .size:           12
        .value_kind:     by_value
      - .offset:         80
        .size:           4
        .value_kind:     by_value
      - .offset:         84
        .size:           4
        .value_kind:     by_value
      - .offset:         88
        .size:           4
        .value_kind:     by_value
      - .offset:         92
        .size:           12
        .value_kind:     by_value
      - .offset:         104
        .size:           4
        .value_kind:     by_value
      - .offset:         108
        .size:           4
        .value_kind:     by_value
      - .offset:         112
        .size:           4
        .value_kind:     by_value
      - .offset:         116
        .size:           12
        .value_kind:     by_value
      - .offset:         128
        .size:           4
        .value_kind:     by_value
      - .offset:         132
        .size:           4
        .value_kind:     by_value
      - .offset:         136
        .size:           4
        .value_kind:     by_value
      - .offset:         140
        .size:           4
        .value_kind:     by_value
    .group_segment_fixed_size: 0
    .kernarg_segment_align: 8
    .kernarg_segment_size: 144
    .language:       OpenCL C
    .language_version:
      - 2
      - 0
    .max_flat_workgroup_size: 32
    .name:           _ZL13mul_mat_vec_qIL9ggml_type8ELi4ELb0ELb0EEvPKvS2_PKi31ggml_cuda_mm_fusion_args_devicePfj15HIP_vector_typeIjLj3EEjjjS8_jjjS8_jjjj
    .private_segment_fixed_size: 0
    .sgpr_count:     32
    .sgpr_spill_count: 0
    .symbol:         _ZL13mul_mat_vec_qIL9ggml_type8ELi4ELb0ELb0EEvPKvS2_PKi31ggml_cuda_mm_fusion_args_devicePfj15HIP_vector_typeIjLj3EEjjjS8_jjjS8_jjjj.kd
    .uniform_work_group_size: 1
    .uses_dynamic_stack: false
    .vgpr_count:     34
    .vgpr_spill_count: 0
    .wavefront_size: 32
    .workgroup_processor_mode: 1
  - .args:
      - .address_space:  global
        .offset:         0
        .size:           8
        .value_kind:     global_buffer
      - .address_space:  global
        .offset:         8
        .size:           8
        .value_kind:     global_buffer
      - .address_space:  global
        .offset:         16
        .size:           8
        .value_kind:     global_buffer
      - .offset:         24
        .size:           32
        .value_kind:     by_value
      - .address_space:  global
        .offset:         56
        .size:           8
        .value_kind:     global_buffer
      - .offset:         64
        .size:           4
        .value_kind:     by_value
      - .offset:         68
        .size:           12
        .value_kind:     by_value
      - .offset:         80
        .size:           4
        .value_kind:     by_value
      - .offset:         84
        .size:           4
        .value_kind:     by_value
      - .offset:         88
        .size:           4
        .value_kind:     by_value
      - .offset:         92
        .size:           12
        .value_kind:     by_value
      - .offset:         104
        .size:           4
        .value_kind:     by_value
      - .offset:         108
        .size:           4
        .value_kind:     by_value
      - .offset:         112
        .size:           4
        .value_kind:     by_value
      - .offset:         116
        .size:           12
        .value_kind:     by_value
      - .offset:         128
        .size:           4
        .value_kind:     by_value
      - .offset:         132
        .size:           4
        .value_kind:     by_value
      - .offset:         136
        .size:           4
        .value_kind:     by_value
      - .offset:         140
        .size:           4
        .value_kind:     by_value
    .group_segment_fixed_size: 0
    .kernarg_segment_align: 8
    .kernarg_segment_size: 144
    .language:       OpenCL C
    .language_version:
      - 2
      - 0
    .max_flat_workgroup_size: 32
    .name:           _ZL13mul_mat_vec_qIL9ggml_type8ELi5ELb0ELb0EEvPKvS2_PKi31ggml_cuda_mm_fusion_args_devicePfj15HIP_vector_typeIjLj3EEjjjS8_jjjS8_jjjj
    .private_segment_fixed_size: 0
    .sgpr_count:     32
    .sgpr_spill_count: 0
    .symbol:         _ZL13mul_mat_vec_qIL9ggml_type8ELi5ELb0ELb0EEvPKvS2_PKi31ggml_cuda_mm_fusion_args_devicePfj15HIP_vector_typeIjLj3EEjjjS8_jjjS8_jjjj.kd
    .uniform_work_group_size: 1
    .uses_dynamic_stack: false
    .vgpr_count:     37
    .vgpr_spill_count: 0
    .wavefront_size: 32
    .workgroup_processor_mode: 1
  - .args:
      - .address_space:  global
        .offset:         0
        .size:           8
        .value_kind:     global_buffer
      - .address_space:  global
        .offset:         8
        .size:           8
        .value_kind:     global_buffer
      - .address_space:  global
        .offset:         16
        .size:           8
        .value_kind:     global_buffer
      - .offset:         24
        .size:           32
        .value_kind:     by_value
      - .address_space:  global
        .offset:         56
        .size:           8
        .value_kind:     global_buffer
      - .offset:         64
        .size:           4
        .value_kind:     by_value
      - .offset:         68
        .size:           12
        .value_kind:     by_value
      - .offset:         80
        .size:           4
        .value_kind:     by_value
      - .offset:         84
        .size:           4
        .value_kind:     by_value
      - .offset:         88
        .size:           4
        .value_kind:     by_value
      - .offset:         92
        .size:           12
        .value_kind:     by_value
      - .offset:         104
        .size:           4
        .value_kind:     by_value
      - .offset:         108
        .size:           4
        .value_kind:     by_value
      - .offset:         112
        .size:           4
        .value_kind:     by_value
      - .offset:         116
        .size:           12
        .value_kind:     by_value
      - .offset:         128
        .size:           4
        .value_kind:     by_value
      - .offset:         132
        .size:           4
        .value_kind:     by_value
      - .offset:         136
        .size:           4
        .value_kind:     by_value
      - .offset:         140
        .size:           4
        .value_kind:     by_value
    .group_segment_fixed_size: 0
    .kernarg_segment_align: 8
    .kernarg_segment_size: 144
    .language:       OpenCL C
    .language_version:
      - 2
      - 0
    .max_flat_workgroup_size: 32
    .name:           _ZL13mul_mat_vec_qIL9ggml_type8ELi6ELb0ELb0EEvPKvS2_PKi31ggml_cuda_mm_fusion_args_devicePfj15HIP_vector_typeIjLj3EEjjjS8_jjjS8_jjjj
    .private_segment_fixed_size: 0
    .sgpr_count:     32
    .sgpr_spill_count: 0
    .symbol:         _ZL13mul_mat_vec_qIL9ggml_type8ELi6ELb0ELb0EEvPKvS2_PKi31ggml_cuda_mm_fusion_args_devicePfj15HIP_vector_typeIjLj3EEjjjS8_jjjS8_jjjj.kd
    .uniform_work_group_size: 1
    .uses_dynamic_stack: false
    .vgpr_count:     44
    .vgpr_spill_count: 0
    .wavefront_size: 32
    .workgroup_processor_mode: 1
  - .args:
      - .address_space:  global
        .offset:         0
        .size:           8
        .value_kind:     global_buffer
      - .address_space:  global
        .offset:         8
        .size:           8
        .value_kind:     global_buffer
      - .address_space:  global
        .offset:         16
        .size:           8
        .value_kind:     global_buffer
      - .offset:         24
        .size:           32
        .value_kind:     by_value
      - .address_space:  global
        .offset:         56
        .size:           8
        .value_kind:     global_buffer
      - .offset:         64
        .size:           4
        .value_kind:     by_value
      - .offset:         68
        .size:           12
        .value_kind:     by_value
      - .offset:         80
        .size:           4
        .value_kind:     by_value
      - .offset:         84
        .size:           4
        .value_kind:     by_value
      - .offset:         88
        .size:           4
        .value_kind:     by_value
      - .offset:         92
        .size:           12
        .value_kind:     by_value
      - .offset:         104
        .size:           4
        .value_kind:     by_value
      - .offset:         108
        .size:           4
        .value_kind:     by_value
      - .offset:         112
        .size:           4
        .value_kind:     by_value
      - .offset:         116
        .size:           12
        .value_kind:     by_value
      - .offset:         128
        .size:           4
        .value_kind:     by_value
      - .offset:         132
        .size:           4
        .value_kind:     by_value
      - .offset:         136
        .size:           4
        .value_kind:     by_value
      - .offset:         140
        .size:           4
        .value_kind:     by_value
    .group_segment_fixed_size: 0
    .kernarg_segment_align: 8
    .kernarg_segment_size: 144
    .language:       OpenCL C
    .language_version:
      - 2
      - 0
    .max_flat_workgroup_size: 32
    .name:           _ZL13mul_mat_vec_qIL9ggml_type8ELi7ELb0ELb0EEvPKvS2_PKi31ggml_cuda_mm_fusion_args_devicePfj15HIP_vector_typeIjLj3EEjjjS8_jjjS8_jjjj
    .private_segment_fixed_size: 0
    .sgpr_count:     32
    .sgpr_spill_count: 0
    .symbol:         _ZL13mul_mat_vec_qIL9ggml_type8ELi7ELb0ELb0EEvPKvS2_PKi31ggml_cuda_mm_fusion_args_devicePfj15HIP_vector_typeIjLj3EEjjjS8_jjjS8_jjjj.kd
    .uniform_work_group_size: 1
    .uses_dynamic_stack: false
    .vgpr_count:     47
    .vgpr_spill_count: 0
    .wavefront_size: 32
    .workgroup_processor_mode: 1
  - .args:
      - .address_space:  global
        .offset:         0
        .size:           8
        .value_kind:     global_buffer
      - .address_space:  global
        .offset:         8
        .size:           8
        .value_kind:     global_buffer
      - .address_space:  global
        .offset:         16
        .size:           8
        .value_kind:     global_buffer
      - .offset:         24
        .size:           32
        .value_kind:     by_value
      - .address_space:  global
        .offset:         56
        .size:           8
        .value_kind:     global_buffer
      - .offset:         64
        .size:           4
        .value_kind:     by_value
      - .offset:         68
        .size:           12
        .value_kind:     by_value
      - .offset:         80
        .size:           4
        .value_kind:     by_value
      - .offset:         84
        .size:           4
        .value_kind:     by_value
      - .offset:         88
        .size:           4
        .value_kind:     by_value
      - .offset:         92
        .size:           12
        .value_kind:     by_value
      - .offset:         104
        .size:           4
        .value_kind:     by_value
      - .offset:         108
        .size:           4
        .value_kind:     by_value
      - .offset:         112
        .size:           4
        .value_kind:     by_value
      - .offset:         116
        .size:           12
        .value_kind:     by_value
      - .offset:         128
        .size:           4
        .value_kind:     by_value
      - .offset:         132
        .size:           4
        .value_kind:     by_value
      - .offset:         136
        .size:           4
        .value_kind:     by_value
      - .offset:         140
        .size:           4
        .value_kind:     by_value
    .group_segment_fixed_size: 0
    .kernarg_segment_align: 8
    .kernarg_segment_size: 144
    .language:       OpenCL C
    .language_version:
      - 2
      - 0
    .max_flat_workgroup_size: 32
    .name:           _ZL13mul_mat_vec_qIL9ggml_type8ELi8ELb0ELb0EEvPKvS2_PKi31ggml_cuda_mm_fusion_args_devicePfj15HIP_vector_typeIjLj3EEjjjS8_jjjS8_jjjj
    .private_segment_fixed_size: 0
    .sgpr_count:     32
    .sgpr_spill_count: 0
    .symbol:         _ZL13mul_mat_vec_qIL9ggml_type8ELi8ELb0ELb0EEvPKvS2_PKi31ggml_cuda_mm_fusion_args_devicePfj15HIP_vector_typeIjLj3EEjjjS8_jjjS8_jjjj.kd
    .uniform_work_group_size: 1
    .uses_dynamic_stack: false
    .vgpr_count:     54
    .vgpr_spill_count: 0
    .wavefront_size: 32
    .workgroup_processor_mode: 1
  - .args:
      - .address_space:  global
        .offset:         0
        .size:           8
        .value_kind:     global_buffer
      - .address_space:  global
        .offset:         8
        .size:           8
        .value_kind:     global_buffer
      - .address_space:  global
        .offset:         16
        .size:           8
        .value_kind:     global_buffer
      - .address_space:  global
        .offset:         24
        .size:           8
        .value_kind:     global_buffer
      - .offset:         32
        .size:           4
        .value_kind:     by_value
      - .offset:         36
        .size:           12
        .value_kind:     by_value
      - .offset:         48
        .size:           4
        .value_kind:     by_value
      - .offset:         52
        .size:           4
        .value_kind:     by_value
      - .offset:         56
        .size:           4
        .value_kind:     by_value
      - .offset:         60
        .size:           4
        .value_kind:     by_value
      - .offset:         64
        .size:           4
        .value_kind:     by_value
      - .offset:         68
        .size:           4
        .value_kind:     by_value
      - .offset:         72
        .size:           4
        .value_kind:     by_value
      - .offset:         76
        .size:           4
        .value_kind:     by_value
      - .offset:         80
        .size:           4
        .value_kind:     by_value
    .group_segment_fixed_size: 0
    .kernarg_segment_align: 8
    .kernarg_segment_size: 84
    .language:       OpenCL C
    .language_version:
      - 2
      - 0
    .max_flat_workgroup_size: 160
    .name:           _ZL17mul_mat_vec_q_moeIL9ggml_type39ELi2EEvPKvS2_PKiPfj15HIP_vector_typeIjLj3EEjjjjjjjjj
    .private_segment_fixed_size: 0
    .sgpr_count:     26
    .sgpr_spill_count: 0
    .symbol:         _ZL17mul_mat_vec_q_moeIL9ggml_type39ELi2EEvPKvS2_PKiPfj15HIP_vector_typeIjLj3EEjjjjjjjjj.kd
    .uniform_work_group_size: 1
    .uses_dynamic_stack: false
    .vgpr_count:     39
    .vgpr_spill_count: 0
    .wavefront_size: 32
    .workgroup_processor_mode: 1
  - .args:
      - .address_space:  global
        .offset:         0
        .size:           8
        .value_kind:     global_buffer
      - .address_space:  global
        .offset:         8
        .size:           8
        .value_kind:     global_buffer
      - .address_space:  global
        .offset:         16
        .size:           8
        .value_kind:     global_buffer
      - .offset:         24
        .size:           32
        .value_kind:     by_value
      - .address_space:  global
        .offset:         56
        .size:           8
        .value_kind:     global_buffer
      - .offset:         64
        .size:           4
        .value_kind:     by_value
      - .offset:         68
        .size:           12
        .value_kind:     by_value
      - .offset:         80
        .size:           4
        .value_kind:     by_value
      - .offset:         84
        .size:           4
        .value_kind:     by_value
      - .offset:         88
        .size:           4
        .value_kind:     by_value
      - .offset:         92
        .size:           12
        .value_kind:     by_value
      - .offset:         104
        .size:           4
        .value_kind:     by_value
      - .offset:         108
        .size:           4
        .value_kind:     by_value
      - .offset:         112
        .size:           4
        .value_kind:     by_value
      - .offset:         116
        .size:           12
        .value_kind:     by_value
      - .offset:         128
        .size:           4
        .value_kind:     by_value
      - .offset:         132
        .size:           4
        .value_kind:     by_value
      - .offset:         136
        .size:           4
        .value_kind:     by_value
      - .offset:         140
        .size:           4
        .value_kind:     by_value
    .group_segment_fixed_size: 0
    .kernarg_segment_align: 8
    .kernarg_segment_size: 144
    .language:       OpenCL C
    .language_version:
      - 2
      - 0
    .max_flat_workgroup_size: 32
    .name:           _ZL13mul_mat_vec_qIL9ggml_type39ELi1ELb1ELb1EEvPKvS2_PKi31ggml_cuda_mm_fusion_args_devicePfj15HIP_vector_typeIjLj3EEjjjS8_jjjS8_jjjj
    .private_segment_fixed_size: 0
    .sgpr_count:     40
    .sgpr_spill_count: 0
    .symbol:         _ZL13mul_mat_vec_qIL9ggml_type39ELi1ELb1ELb1EEvPKvS2_PKi31ggml_cuda_mm_fusion_args_devicePfj15HIP_vector_typeIjLj3EEjjjS8_jjjS8_jjjj.kd
    .uniform_work_group_size: 1
    .uses_dynamic_stack: false
    .vgpr_count:     32
    .vgpr_spill_count: 0
    .wavefront_size: 32
    .workgroup_processor_mode: 1
  - .args:
      - .address_space:  global
        .offset:         0
        .size:           8
        .value_kind:     global_buffer
      - .address_space:  global
        .offset:         8
        .size:           8
        .value_kind:     global_buffer
      - .address_space:  global
        .offset:         16
        .size:           8
        .value_kind:     global_buffer
      - .offset:         24
        .size:           32
        .value_kind:     by_value
      - .address_space:  global
        .offset:         56
        .size:           8
        .value_kind:     global_buffer
      - .offset:         64
        .size:           4
        .value_kind:     by_value
      - .offset:         68
        .size:           12
        .value_kind:     by_value
      - .offset:         80
        .size:           4
        .value_kind:     by_value
      - .offset:         84
        .size:           4
        .value_kind:     by_value
      - .offset:         88
        .size:           4
        .value_kind:     by_value
      - .offset:         92
        .size:           12
        .value_kind:     by_value
      - .offset:         104
        .size:           4
        .value_kind:     by_value
      - .offset:         108
        .size:           4
        .value_kind:     by_value
      - .offset:         112
        .size:           4
        .value_kind:     by_value
      - .offset:         116
        .size:           12
        .value_kind:     by_value
      - .offset:         128
        .size:           4
        .value_kind:     by_value
      - .offset:         132
        .size:           4
        .value_kind:     by_value
      - .offset:         136
        .size:           4
        .value_kind:     by_value
      - .offset:         140
        .size:           4
        .value_kind:     by_value
    .group_segment_fixed_size: 0
    .kernarg_segment_align: 8
    .kernarg_segment_size: 144
    .language:       OpenCL C
    .language_version:
      - 2
      - 0
    .max_flat_workgroup_size: 32
    .name:           _ZL13mul_mat_vec_qIL9ggml_type39ELi1ELb0ELb1EEvPKvS2_PKi31ggml_cuda_mm_fusion_args_devicePfj15HIP_vector_typeIjLj3EEjjjS8_jjjS8_jjjj
    .private_segment_fixed_size: 0
    .sgpr_count:     26
    .sgpr_spill_count: 0
    .symbol:         _ZL13mul_mat_vec_qIL9ggml_type39ELi1ELb0ELb1EEvPKvS2_PKi31ggml_cuda_mm_fusion_args_devicePfj15HIP_vector_typeIjLj3EEjjjS8_jjjS8_jjjj.kd
    .uniform_work_group_size: 1
    .uses_dynamic_stack: false
    .vgpr_count:     26
    .vgpr_spill_count: 0
    .wavefront_size: 32
    .workgroup_processor_mode: 1
  - .args:
      - .address_space:  global
        .offset:         0
        .size:           8
        .value_kind:     global_buffer
      - .address_space:  global
        .offset:         8
        .size:           8
        .value_kind:     global_buffer
      - .address_space:  global
        .offset:         16
        .size:           8
        .value_kind:     global_buffer
      - .offset:         24
        .size:           32
        .value_kind:     by_value
      - .address_space:  global
        .offset:         56
        .size:           8
        .value_kind:     global_buffer
      - .offset:         64
        .size:           4
        .value_kind:     by_value
      - .offset:         68
        .size:           12
        .value_kind:     by_value
      - .offset:         80
        .size:           4
        .value_kind:     by_value
      - .offset:         84
        .size:           4
        .value_kind:     by_value
      - .offset:         88
        .size:           4
        .value_kind:     by_value
      - .offset:         92
        .size:           12
        .value_kind:     by_value
      - .offset:         104
        .size:           4
        .value_kind:     by_value
      - .offset:         108
        .size:           4
        .value_kind:     by_value
      - .offset:         112
        .size:           4
        .value_kind:     by_value
      - .offset:         116
        .size:           12
        .value_kind:     by_value
      - .offset:         128
        .size:           4
        .value_kind:     by_value
      - .offset:         132
        .size:           4
        .value_kind:     by_value
      - .offset:         136
        .size:           4
        .value_kind:     by_value
      - .offset:         140
        .size:           4
        .value_kind:     by_value
    .group_segment_fixed_size: 0
    .kernarg_segment_align: 8
    .kernarg_segment_size: 144
    .language:       OpenCL C
    .language_version:
      - 2
      - 0
    .max_flat_workgroup_size: 32
    .name:           _ZL13mul_mat_vec_qIL9ggml_type39ELi1ELb1ELb0EEvPKvS2_PKi31ggml_cuda_mm_fusion_args_devicePfj15HIP_vector_typeIjLj3EEjjjS8_jjjS8_jjjj
    .private_segment_fixed_size: 0
    .sgpr_count:     40
    .sgpr_spill_count: 0
    .symbol:         _ZL13mul_mat_vec_qIL9ggml_type39ELi1ELb1ELb0EEvPKvS2_PKi31ggml_cuda_mm_fusion_args_devicePfj15HIP_vector_typeIjLj3EEjjjS8_jjjS8_jjjj.kd
    .uniform_work_group_size: 1
    .uses_dynamic_stack: false
    .vgpr_count:     32
    .vgpr_spill_count: 0
    .wavefront_size: 32
    .workgroup_processor_mode: 1
  - .args:
      - .address_space:  global
        .offset:         0
        .size:           8
        .value_kind:     global_buffer
      - .address_space:  global
        .offset:         8
        .size:           8
        .value_kind:     global_buffer
      - .address_space:  global
        .offset:         16
        .size:           8
        .value_kind:     global_buffer
      - .offset:         24
        .size:           32
        .value_kind:     by_value
      - .address_space:  global
        .offset:         56
        .size:           8
        .value_kind:     global_buffer
      - .offset:         64
        .size:           4
        .value_kind:     by_value
      - .offset:         68
        .size:           12
        .value_kind:     by_value
      - .offset:         80
        .size:           4
        .value_kind:     by_value
      - .offset:         84
        .size:           4
        .value_kind:     by_value
      - .offset:         88
        .size:           4
        .value_kind:     by_value
      - .offset:         92
        .size:           12
        .value_kind:     by_value
      - .offset:         104
        .size:           4
        .value_kind:     by_value
      - .offset:         108
        .size:           4
        .value_kind:     by_value
      - .offset:         112
        .size:           4
        .value_kind:     by_value
      - .offset:         116
        .size:           12
        .value_kind:     by_value
      - .offset:         128
        .size:           4
        .value_kind:     by_value
      - .offset:         132
        .size:           4
        .value_kind:     by_value
      - .offset:         136
        .size:           4
        .value_kind:     by_value
      - .offset:         140
        .size:           4
        .value_kind:     by_value
    .group_segment_fixed_size: 0
    .kernarg_segment_align: 8
    .kernarg_segment_size: 144
    .language:       OpenCL C
    .language_version:
      - 2
      - 0
    .max_flat_workgroup_size: 32
    .name:           _ZL13mul_mat_vec_qIL9ggml_type39ELi1ELb0ELb0EEvPKvS2_PKi31ggml_cuda_mm_fusion_args_devicePfj15HIP_vector_typeIjLj3EEjjjS8_jjjS8_jjjj
    .private_segment_fixed_size: 0
    .sgpr_count:     26
    .sgpr_spill_count: 0
    .symbol:         _ZL13mul_mat_vec_qIL9ggml_type39ELi1ELb0ELb0EEvPKvS2_PKi31ggml_cuda_mm_fusion_args_devicePfj15HIP_vector_typeIjLj3EEjjjS8_jjjS8_jjjj.kd
    .uniform_work_group_size: 1
    .uses_dynamic_stack: false
    .vgpr_count:     26
    .vgpr_spill_count: 0
    .wavefront_size: 32
    .workgroup_processor_mode: 1
  - .args:
      - .address_space:  global
        .offset:         0
        .size:           8
        .value_kind:     global_buffer
      - .address_space:  global
        .offset:         8
        .size:           8
        .value_kind:     global_buffer
      - .address_space:  global
        .offset:         16
        .size:           8
        .value_kind:     global_buffer
      - .offset:         24
        .size:           32
        .value_kind:     by_value
      - .address_space:  global
        .offset:         56
        .size:           8
        .value_kind:     global_buffer
      - .offset:         64
        .size:           4
        .value_kind:     by_value
      - .offset:         68
        .size:           12
        .value_kind:     by_value
      - .offset:         80
        .size:           4
        .value_kind:     by_value
      - .offset:         84
        .size:           4
        .value_kind:     by_value
      - .offset:         88
        .size:           4
        .value_kind:     by_value
      - .offset:         92
        .size:           12
        .value_kind:     by_value
      - .offset:         104
        .size:           4
        .value_kind:     by_value
      - .offset:         108
        .size:           4
        .value_kind:     by_value
      - .offset:         112
        .size:           4
        .value_kind:     by_value
      - .offset:         116
        .size:           12
        .value_kind:     by_value
      - .offset:         128
        .size:           4
        .value_kind:     by_value
      - .offset:         132
        .size:           4
        .value_kind:     by_value
      - .offset:         136
        .size:           4
        .value_kind:     by_value
      - .offset:         140
        .size:           4
        .value_kind:     by_value
    .group_segment_fixed_size: 0
    .kernarg_segment_align: 8
    .kernarg_segment_size: 144
    .language:       OpenCL C
    .language_version:
      - 2
      - 0
    .max_flat_workgroup_size: 32
    .name:           _ZL13mul_mat_vec_qIL9ggml_type39ELi2ELb0ELb0EEvPKvS2_PKi31ggml_cuda_mm_fusion_args_devicePfj15HIP_vector_typeIjLj3EEjjjS8_jjjS8_jjjj
    .private_segment_fixed_size: 0
    .sgpr_count:     32
    .sgpr_spill_count: 0
    .symbol:         _ZL13mul_mat_vec_qIL9ggml_type39ELi2ELb0ELb0EEvPKvS2_PKi31ggml_cuda_mm_fusion_args_devicePfj15HIP_vector_typeIjLj3EEjjjS8_jjjS8_jjjj.kd
    .uniform_work_group_size: 1
    .uses_dynamic_stack: false
    .vgpr_count:     33
    .vgpr_spill_count: 0
    .wavefront_size: 32
    .workgroup_processor_mode: 1
  - .args:
      - .address_space:  global
        .offset:         0
        .size:           8
        .value_kind:     global_buffer
      - .address_space:  global
        .offset:         8
        .size:           8
        .value_kind:     global_buffer
      - .address_space:  global
        .offset:         16
        .size:           8
        .value_kind:     global_buffer
      - .offset:         24
        .size:           32
        .value_kind:     by_value
      - .address_space:  global
        .offset:         56
        .size:           8
        .value_kind:     global_buffer
      - .offset:         64
        .size:           4
        .value_kind:     by_value
      - .offset:         68
        .size:           12
        .value_kind:     by_value
      - .offset:         80
        .size:           4
        .value_kind:     by_value
      - .offset:         84
        .size:           4
        .value_kind:     by_value
      - .offset:         88
        .size:           4
        .value_kind:     by_value
      - .offset:         92
        .size:           12
        .value_kind:     by_value
      - .offset:         104
        .size:           4
        .value_kind:     by_value
      - .offset:         108
        .size:           4
        .value_kind:     by_value
      - .offset:         112
        .size:           4
        .value_kind:     by_value
      - .offset:         116
        .size:           12
        .value_kind:     by_value
      - .offset:         128
        .size:           4
        .value_kind:     by_value
      - .offset:         132
        .size:           4
        .value_kind:     by_value
      - .offset:         136
        .size:           4
        .value_kind:     by_value
      - .offset:         140
        .size:           4
        .value_kind:     by_value
    .group_segment_fixed_size: 0
    .kernarg_segment_align: 8
    .kernarg_segment_size: 144
    .language:       OpenCL C
    .language_version:
      - 2
      - 0
    .max_flat_workgroup_size: 32
    .name:           _ZL13mul_mat_vec_qIL9ggml_type39ELi3ELb0ELb0EEvPKvS2_PKi31ggml_cuda_mm_fusion_args_devicePfj15HIP_vector_typeIjLj3EEjjjS8_jjjS8_jjjj
    .private_segment_fixed_size: 0
    .sgpr_count:     32
    .sgpr_spill_count: 0
    .symbol:         _ZL13mul_mat_vec_qIL9ggml_type39ELi3ELb0ELb0EEvPKvS2_PKi31ggml_cuda_mm_fusion_args_devicePfj15HIP_vector_typeIjLj3EEjjjS8_jjjS8_jjjj.kd
    .uniform_work_group_size: 1
    .uses_dynamic_stack: false
    .vgpr_count:     38
    .vgpr_spill_count: 0
    .wavefront_size: 32
    .workgroup_processor_mode: 1
  - .args:
      - .address_space:  global
        .offset:         0
        .size:           8
        .value_kind:     global_buffer
      - .address_space:  global
        .offset:         8
        .size:           8
        .value_kind:     global_buffer
      - .address_space:  global
        .offset:         16
        .size:           8
        .value_kind:     global_buffer
      - .offset:         24
        .size:           32
        .value_kind:     by_value
      - .address_space:  global
        .offset:         56
        .size:           8
        .value_kind:     global_buffer
      - .offset:         64
        .size:           4
        .value_kind:     by_value
      - .offset:         68
        .size:           12
        .value_kind:     by_value
      - .offset:         80
        .size:           4
        .value_kind:     by_value
      - .offset:         84
        .size:           4
        .value_kind:     by_value
      - .offset:         88
        .size:           4
        .value_kind:     by_value
      - .offset:         92
        .size:           12
        .value_kind:     by_value
      - .offset:         104
        .size:           4
        .value_kind:     by_value
      - .offset:         108
        .size:           4
        .value_kind:     by_value
      - .offset:         112
        .size:           4
        .value_kind:     by_value
      - .offset:         116
        .size:           12
        .value_kind:     by_value
      - .offset:         128
        .size:           4
        .value_kind:     by_value
      - .offset:         132
        .size:           4
        .value_kind:     by_value
      - .offset:         136
        .size:           4
        .value_kind:     by_value
      - .offset:         140
        .size:           4
        .value_kind:     by_value
    .group_segment_fixed_size: 0
    .kernarg_segment_align: 8
    .kernarg_segment_size: 144
    .language:       OpenCL C
    .language_version:
      - 2
      - 0
    .max_flat_workgroup_size: 32
    .name:           _ZL13mul_mat_vec_qIL9ggml_type39ELi4ELb0ELb0EEvPKvS2_PKi31ggml_cuda_mm_fusion_args_devicePfj15HIP_vector_typeIjLj3EEjjjS8_jjjS8_jjjj
    .private_segment_fixed_size: 0
    .sgpr_count:     32
    .sgpr_spill_count: 0
    .symbol:         _ZL13mul_mat_vec_qIL9ggml_type39ELi4ELb0ELb0EEvPKvS2_PKi31ggml_cuda_mm_fusion_args_devicePfj15HIP_vector_typeIjLj3EEjjjS8_jjjS8_jjjj.kd
    .uniform_work_group_size: 1
    .uses_dynamic_stack: false
    .vgpr_count:     45
    .vgpr_spill_count: 0
    .wavefront_size: 32
    .workgroup_processor_mode: 1
  - .args:
      - .address_space:  global
        .offset:         0
        .size:           8
        .value_kind:     global_buffer
      - .address_space:  global
        .offset:         8
        .size:           8
        .value_kind:     global_buffer
      - .address_space:  global
        .offset:         16
        .size:           8
        .value_kind:     global_buffer
      - .offset:         24
        .size:           32
        .value_kind:     by_value
      - .address_space:  global
        .offset:         56
        .size:           8
        .value_kind:     global_buffer
      - .offset:         64
        .size:           4
        .value_kind:     by_value
      - .offset:         68
        .size:           12
        .value_kind:     by_value
      - .offset:         80
        .size:           4
        .value_kind:     by_value
      - .offset:         84
        .size:           4
        .value_kind:     by_value
      - .offset:         88
        .size:           4
        .value_kind:     by_value
      - .offset:         92
        .size:           12
        .value_kind:     by_value
      - .offset:         104
        .size:           4
        .value_kind:     by_value
      - .offset:         108
        .size:           4
        .value_kind:     by_value
      - .offset:         112
        .size:           4
        .value_kind:     by_value
      - .offset:         116
        .size:           12
        .value_kind:     by_value
      - .offset:         128
        .size:           4
        .value_kind:     by_value
      - .offset:         132
        .size:           4
        .value_kind:     by_value
      - .offset:         136
        .size:           4
        .value_kind:     by_value
      - .offset:         140
        .size:           4
        .value_kind:     by_value
    .group_segment_fixed_size: 0
    .kernarg_segment_align: 8
    .kernarg_segment_size: 144
    .language:       OpenCL C
    .language_version:
      - 2
      - 0
    .max_flat_workgroup_size: 32
    .name:           _ZL13mul_mat_vec_qIL9ggml_type39ELi5ELb0ELb0EEvPKvS2_PKi31ggml_cuda_mm_fusion_args_devicePfj15HIP_vector_typeIjLj3EEjjjS8_jjjS8_jjjj
    .private_segment_fixed_size: 0
    .sgpr_count:     32
    .sgpr_spill_count: 0
    .symbol:         _ZL13mul_mat_vec_qIL9ggml_type39ELi5ELb0ELb0EEvPKvS2_PKi31ggml_cuda_mm_fusion_args_devicePfj15HIP_vector_typeIjLj3EEjjjS8_jjjS8_jjjj.kd
    .uniform_work_group_size: 1
    .uses_dynamic_stack: false
    .vgpr_count:     51
    .vgpr_spill_count: 0
    .wavefront_size: 32
    .workgroup_processor_mode: 1
  - .args:
      - .address_space:  global
        .offset:         0
        .size:           8
        .value_kind:     global_buffer
      - .address_space:  global
        .offset:         8
        .size:           8
        .value_kind:     global_buffer
      - .address_space:  global
        .offset:         16
        .size:           8
        .value_kind:     global_buffer
      - .offset:         24
        .size:           32
        .value_kind:     by_value
      - .address_space:  global
        .offset:         56
        .size:           8
        .value_kind:     global_buffer
      - .offset:         64
        .size:           4
        .value_kind:     by_value
      - .offset:         68
        .size:           12
        .value_kind:     by_value
      - .offset:         80
        .size:           4
        .value_kind:     by_value
      - .offset:         84
        .size:           4
        .value_kind:     by_value
      - .offset:         88
        .size:           4
        .value_kind:     by_value
      - .offset:         92
        .size:           12
        .value_kind:     by_value
      - .offset:         104
        .size:           4
        .value_kind:     by_value
      - .offset:         108
        .size:           4
        .value_kind:     by_value
      - .offset:         112
        .size:           4
        .value_kind:     by_value
      - .offset:         116
        .size:           12
        .value_kind:     by_value
      - .offset:         128
        .size:           4
        .value_kind:     by_value
      - .offset:         132
        .size:           4
        .value_kind:     by_value
      - .offset:         136
        .size:           4
        .value_kind:     by_value
      - .offset:         140
        .size:           4
        .value_kind:     by_value
    .group_segment_fixed_size: 0
    .kernarg_segment_align: 8
    .kernarg_segment_size: 144
    .language:       OpenCL C
    .language_version:
      - 2
      - 0
    .max_flat_workgroup_size: 32
    .name:           _ZL13mul_mat_vec_qIL9ggml_type39ELi6ELb0ELb0EEvPKvS2_PKi31ggml_cuda_mm_fusion_args_devicePfj15HIP_vector_typeIjLj3EEjjjS8_jjjS8_jjjj
    .private_segment_fixed_size: 0
    .sgpr_count:     32
    .sgpr_spill_count: 0
    .symbol:         _ZL13mul_mat_vec_qIL9ggml_type39ELi6ELb0ELb0EEvPKvS2_PKi31ggml_cuda_mm_fusion_args_devicePfj15HIP_vector_typeIjLj3EEjjjS8_jjjS8_jjjj.kd
    .uniform_work_group_size: 1
    .uses_dynamic_stack: false
    .vgpr_count:     57
    .vgpr_spill_count: 0
    .wavefront_size: 32
    .workgroup_processor_mode: 1
  - .args:
      - .address_space:  global
        .offset:         0
        .size:           8
        .value_kind:     global_buffer
      - .address_space:  global
        .offset:         8
        .size:           8
        .value_kind:     global_buffer
      - .address_space:  global
        .offset:         16
        .size:           8
        .value_kind:     global_buffer
      - .offset:         24
        .size:           32
        .value_kind:     by_value
      - .address_space:  global
        .offset:         56
        .size:           8
        .value_kind:     global_buffer
      - .offset:         64
        .size:           4
        .value_kind:     by_value
      - .offset:         68
        .size:           12
        .value_kind:     by_value
      - .offset:         80
        .size:           4
        .value_kind:     by_value
      - .offset:         84
        .size:           4
        .value_kind:     by_value
      - .offset:         88
        .size:           4
        .value_kind:     by_value
      - .offset:         92
        .size:           12
        .value_kind:     by_value
      - .offset:         104
        .size:           4
        .value_kind:     by_value
      - .offset:         108
        .size:           4
        .value_kind:     by_value
      - .offset:         112
        .size:           4
        .value_kind:     by_value
      - .offset:         116
        .size:           12
        .value_kind:     by_value
      - .offset:         128
        .size:           4
        .value_kind:     by_value
      - .offset:         132
        .size:           4
        .value_kind:     by_value
      - .offset:         136
        .size:           4
        .value_kind:     by_value
      - .offset:         140
        .size:           4
        .value_kind:     by_value
    .group_segment_fixed_size: 0
    .kernarg_segment_align: 8
    .kernarg_segment_size: 144
    .language:       OpenCL C
    .language_version:
      - 2
      - 0
    .max_flat_workgroup_size: 32
    .name:           _ZL13mul_mat_vec_qIL9ggml_type39ELi7ELb0ELb0EEvPKvS2_PKi31ggml_cuda_mm_fusion_args_devicePfj15HIP_vector_typeIjLj3EEjjjS8_jjjS8_jjjj
    .private_segment_fixed_size: 0
    .sgpr_count:     32
    .sgpr_spill_count: 0
    .symbol:         _ZL13mul_mat_vec_qIL9ggml_type39ELi7ELb0ELb0EEvPKvS2_PKi31ggml_cuda_mm_fusion_args_devicePfj15HIP_vector_typeIjLj3EEjjjS8_jjjS8_jjjj.kd
    .uniform_work_group_size: 1
    .uses_dynamic_stack: false
    .vgpr_count:     63
    .vgpr_spill_count: 0
    .wavefront_size: 32
    .workgroup_processor_mode: 1
  - .args:
      - .address_space:  global
        .offset:         0
        .size:           8
        .value_kind:     global_buffer
      - .address_space:  global
        .offset:         8
        .size:           8
        .value_kind:     global_buffer
      - .address_space:  global
        .offset:         16
        .size:           8
        .value_kind:     global_buffer
      - .offset:         24
        .size:           32
        .value_kind:     by_value
      - .address_space:  global
        .offset:         56
        .size:           8
        .value_kind:     global_buffer
      - .offset:         64
        .size:           4
        .value_kind:     by_value
      - .offset:         68
        .size:           12
        .value_kind:     by_value
      - .offset:         80
        .size:           4
        .value_kind:     by_value
      - .offset:         84
        .size:           4
        .value_kind:     by_value
      - .offset:         88
        .size:           4
        .value_kind:     by_value
      - .offset:         92
        .size:           12
        .value_kind:     by_value
      - .offset:         104
        .size:           4
        .value_kind:     by_value
      - .offset:         108
        .size:           4
        .value_kind:     by_value
      - .offset:         112
        .size:           4
        .value_kind:     by_value
      - .offset:         116
        .size:           12
        .value_kind:     by_value
      - .offset:         128
        .size:           4
        .value_kind:     by_value
      - .offset:         132
        .size:           4
        .value_kind:     by_value
      - .offset:         136
        .size:           4
        .value_kind:     by_value
      - .offset:         140
        .size:           4
        .value_kind:     by_value
    .group_segment_fixed_size: 0
    .kernarg_segment_align: 8
    .kernarg_segment_size: 144
    .language:       OpenCL C
    .language_version:
      - 2
      - 0
    .max_flat_workgroup_size: 32
    .name:           _ZL13mul_mat_vec_qIL9ggml_type39ELi8ELb0ELb0EEvPKvS2_PKi31ggml_cuda_mm_fusion_args_devicePfj15HIP_vector_typeIjLj3EEjjjS8_jjjS8_jjjj
    .private_segment_fixed_size: 0
    .sgpr_count:     32
    .sgpr_spill_count: 0
    .symbol:         _ZL13mul_mat_vec_qIL9ggml_type39ELi8ELb0ELb0EEvPKvS2_PKi31ggml_cuda_mm_fusion_args_devicePfj15HIP_vector_typeIjLj3EEjjjS8_jjjS8_jjjj.kd
    .uniform_work_group_size: 1
    .uses_dynamic_stack: false
    .vgpr_count:     69
    .vgpr_spill_count: 0
    .wavefront_size: 32
    .workgroup_processor_mode: 1
  - .args:
      - .address_space:  global
        .offset:         0
        .size:           8
        .value_kind:     global_buffer
      - .address_space:  global
        .offset:         8
        .size:           8
        .value_kind:     global_buffer
      - .address_space:  global
        .offset:         16
        .size:           8
        .value_kind:     global_buffer
      - .address_space:  global
        .offset:         24
        .size:           8
        .value_kind:     global_buffer
      - .offset:         32
        .size:           4
        .value_kind:     by_value
      - .offset:         36
        .size:           12
        .value_kind:     by_value
      - .offset:         48
        .size:           4
        .value_kind:     by_value
      - .offset:         52
        .size:           4
        .value_kind:     by_value
      - .offset:         56
        .size:           4
        .value_kind:     by_value
      - .offset:         60
        .size:           4
        .value_kind:     by_value
      - .offset:         64
        .size:           4
        .value_kind:     by_value
      - .offset:         68
        .size:           4
        .value_kind:     by_value
      - .offset:         72
        .size:           4
        .value_kind:     by_value
      - .offset:         76
        .size:           4
        .value_kind:     by_value
      - .offset:         80
        .size:           4
        .value_kind:     by_value
    .group_segment_fixed_size: 0
    .kernarg_segment_align: 8
    .kernarg_segment_size: 84
    .language:       OpenCL C
    .language_version:
      - 2
      - 0
    .max_flat_workgroup_size: 160
    .name:           _ZL17mul_mat_vec_q_moeIL9ggml_type40ELi2EEvPKvS2_PKiPfj15HIP_vector_typeIjLj3EEjjjjjjjjj
    .private_segment_fixed_size: 0
    .sgpr_count:     26
    .sgpr_spill_count: 0
    .symbol:         _ZL17mul_mat_vec_q_moeIL9ggml_type40ELi2EEvPKvS2_PKiPfj15HIP_vector_typeIjLj3EEjjjjjjjjj.kd
    .uniform_work_group_size: 1
    .uses_dynamic_stack: false
    .vgpr_count:     48
    .vgpr_spill_count: 0
    .wavefront_size: 32
    .workgroup_processor_mode: 1
  - .args:
      - .address_space:  global
        .offset:         0
        .size:           8
        .value_kind:     global_buffer
      - .address_space:  global
        .offset:         8
        .size:           8
        .value_kind:     global_buffer
      - .address_space:  global
        .offset:         16
        .size:           8
        .value_kind:     global_buffer
      - .offset:         24
        .size:           32
        .value_kind:     by_value
      - .address_space:  global
        .offset:         56
        .size:           8
        .value_kind:     global_buffer
      - .offset:         64
        .size:           4
        .value_kind:     by_value
      - .offset:         68
        .size:           12
        .value_kind:     by_value
      - .offset:         80
        .size:           4
        .value_kind:     by_value
      - .offset:         84
        .size:           4
        .value_kind:     by_value
      - .offset:         88
        .size:           4
        .value_kind:     by_value
      - .offset:         92
        .size:           12
        .value_kind:     by_value
      - .offset:         104
        .size:           4
        .value_kind:     by_value
      - .offset:         108
        .size:           4
        .value_kind:     by_value
      - .offset:         112
        .size:           4
        .value_kind:     by_value
      - .offset:         116
        .size:           12
        .value_kind:     by_value
      - .offset:         128
        .size:           4
        .value_kind:     by_value
      - .offset:         132
        .size:           4
        .value_kind:     by_value
      - .offset:         136
        .size:           4
        .value_kind:     by_value
      - .offset:         140
        .size:           4
        .value_kind:     by_value
    .group_segment_fixed_size: 0
    .kernarg_segment_align: 8
    .kernarg_segment_size: 144
    .language:       OpenCL C
    .language_version:
      - 2
      - 0
    .max_flat_workgroup_size: 32
    .name:           _ZL13mul_mat_vec_qIL9ggml_type40ELi1ELb1ELb1EEvPKvS2_PKi31ggml_cuda_mm_fusion_args_devicePfj15HIP_vector_typeIjLj3EEjjjS8_jjjS8_jjjj
    .private_segment_fixed_size: 0
    .sgpr_count:     40
    .sgpr_spill_count: 0
    .symbol:         _ZL13mul_mat_vec_qIL9ggml_type40ELi1ELb1ELb1EEvPKvS2_PKi31ggml_cuda_mm_fusion_args_devicePfj15HIP_vector_typeIjLj3EEjjjS8_jjjS8_jjjj.kd
    .uniform_work_group_size: 1
    .uses_dynamic_stack: false
    .vgpr_count:     50
    .vgpr_spill_count: 0
    .wavefront_size: 32
    .workgroup_processor_mode: 1
  - .args:
      - .address_space:  global
        .offset:         0
        .size:           8
        .value_kind:     global_buffer
      - .address_space:  global
        .offset:         8
        .size:           8
        .value_kind:     global_buffer
      - .address_space:  global
        .offset:         16
        .size:           8
        .value_kind:     global_buffer
      - .offset:         24
        .size:           32
        .value_kind:     by_value
      - .address_space:  global
        .offset:         56
        .size:           8
        .value_kind:     global_buffer
      - .offset:         64
        .size:           4
        .value_kind:     by_value
      - .offset:         68
        .size:           12
        .value_kind:     by_value
      - .offset:         80
        .size:           4
        .value_kind:     by_value
      - .offset:         84
        .size:           4
        .value_kind:     by_value
      - .offset:         88
        .size:           4
        .value_kind:     by_value
      - .offset:         92
        .size:           12
        .value_kind:     by_value
      - .offset:         104
        .size:           4
        .value_kind:     by_value
      - .offset:         108
        .size:           4
        .value_kind:     by_value
      - .offset:         112
        .size:           4
        .value_kind:     by_value
      - .offset:         116
        .size:           12
        .value_kind:     by_value
      - .offset:         128
        .size:           4
        .value_kind:     by_value
      - .offset:         132
        .size:           4
        .value_kind:     by_value
      - .offset:         136
        .size:           4
        .value_kind:     by_value
      - .offset:         140
        .size:           4
        .value_kind:     by_value
    .group_segment_fixed_size: 0
    .kernarg_segment_align: 8
    .kernarg_segment_size: 144
    .language:       OpenCL C
    .language_version:
      - 2
      - 0
    .max_flat_workgroup_size: 32
    .name:           _ZL13mul_mat_vec_qIL9ggml_type40ELi1ELb0ELb1EEvPKvS2_PKi31ggml_cuda_mm_fusion_args_devicePfj15HIP_vector_typeIjLj3EEjjjS8_jjjS8_jjjj
    .private_segment_fixed_size: 0
    .sgpr_count:     24
    .sgpr_spill_count: 0
    .symbol:         _ZL13mul_mat_vec_qIL9ggml_type40ELi1ELb0ELb1EEvPKvS2_PKi31ggml_cuda_mm_fusion_args_devicePfj15HIP_vector_typeIjLj3EEjjjS8_jjjS8_jjjj.kd
    .uniform_work_group_size: 1
    .uses_dynamic_stack: false
    .vgpr_count:     36
    .vgpr_spill_count: 0
    .wavefront_size: 32
    .workgroup_processor_mode: 1
  - .args:
      - .address_space:  global
        .offset:         0
        .size:           8
        .value_kind:     global_buffer
      - .address_space:  global
        .offset:         8
        .size:           8
        .value_kind:     global_buffer
      - .address_space:  global
        .offset:         16
        .size:           8
        .value_kind:     global_buffer
      - .offset:         24
        .size:           32
        .value_kind:     by_value
      - .address_space:  global
        .offset:         56
        .size:           8
        .value_kind:     global_buffer
      - .offset:         64
        .size:           4
        .value_kind:     by_value
      - .offset:         68
        .size:           12
        .value_kind:     by_value
      - .offset:         80
        .size:           4
        .value_kind:     by_value
      - .offset:         84
        .size:           4
        .value_kind:     by_value
      - .offset:         88
        .size:           4
        .value_kind:     by_value
      - .offset:         92
        .size:           12
        .value_kind:     by_value
      - .offset:         104
        .size:           4
        .value_kind:     by_value
      - .offset:         108
        .size:           4
        .value_kind:     by_value
      - .offset:         112
        .size:           4
        .value_kind:     by_value
      - .offset:         116
        .size:           12
        .value_kind:     by_value
      - .offset:         128
        .size:           4
        .value_kind:     by_value
      - .offset:         132
        .size:           4
        .value_kind:     by_value
      - .offset:         136
        .size:           4
        .value_kind:     by_value
      - .offset:         140
        .size:           4
        .value_kind:     by_value
    .group_segment_fixed_size: 0
    .kernarg_segment_align: 8
    .kernarg_segment_size: 144
    .language:       OpenCL C
    .language_version:
      - 2
      - 0
    .max_flat_workgroup_size: 32
    .name:           _ZL13mul_mat_vec_qIL9ggml_type40ELi1ELb1ELb0EEvPKvS2_PKi31ggml_cuda_mm_fusion_args_devicePfj15HIP_vector_typeIjLj3EEjjjS8_jjjS8_jjjj
    .private_segment_fixed_size: 0
    .sgpr_count:     40
    .sgpr_spill_count: 0
    .symbol:         _ZL13mul_mat_vec_qIL9ggml_type40ELi1ELb1ELb0EEvPKvS2_PKi31ggml_cuda_mm_fusion_args_devicePfj15HIP_vector_typeIjLj3EEjjjS8_jjjS8_jjjj.kd
    .uniform_work_group_size: 1
    .uses_dynamic_stack: false
    .vgpr_count:     50
    .vgpr_spill_count: 0
    .wavefront_size: 32
    .workgroup_processor_mode: 1
  - .args:
      - .address_space:  global
        .offset:         0
        .size:           8
        .value_kind:     global_buffer
      - .address_space:  global
        .offset:         8
        .size:           8
        .value_kind:     global_buffer
      - .address_space:  global
        .offset:         16
        .size:           8
        .value_kind:     global_buffer
      - .offset:         24
        .size:           32
        .value_kind:     by_value
      - .address_space:  global
        .offset:         56
        .size:           8
        .value_kind:     global_buffer
      - .offset:         64
        .size:           4
        .value_kind:     by_value
      - .offset:         68
        .size:           12
        .value_kind:     by_value
      - .offset:         80
        .size:           4
        .value_kind:     by_value
      - .offset:         84
        .size:           4
        .value_kind:     by_value
      - .offset:         88
        .size:           4
        .value_kind:     by_value
      - .offset:         92
        .size:           12
        .value_kind:     by_value
      - .offset:         104
        .size:           4
        .value_kind:     by_value
      - .offset:         108
        .size:           4
        .value_kind:     by_value
      - .offset:         112
        .size:           4
        .value_kind:     by_value
      - .offset:         116
        .size:           12
        .value_kind:     by_value
      - .offset:         128
        .size:           4
        .value_kind:     by_value
      - .offset:         132
        .size:           4
        .value_kind:     by_value
      - .offset:         136
        .size:           4
        .value_kind:     by_value
      - .offset:         140
        .size:           4
        .value_kind:     by_value
    .group_segment_fixed_size: 0
    .kernarg_segment_align: 8
    .kernarg_segment_size: 144
    .language:       OpenCL C
    .language_version:
      - 2
      - 0
    .max_flat_workgroup_size: 32
    .name:           _ZL13mul_mat_vec_qIL9ggml_type40ELi1ELb0ELb0EEvPKvS2_PKi31ggml_cuda_mm_fusion_args_devicePfj15HIP_vector_typeIjLj3EEjjjS8_jjjS8_jjjj
    .private_segment_fixed_size: 0
    .sgpr_count:     24
    .sgpr_spill_count: 0
    .symbol:         _ZL13mul_mat_vec_qIL9ggml_type40ELi1ELb0ELb0EEvPKvS2_PKi31ggml_cuda_mm_fusion_args_devicePfj15HIP_vector_typeIjLj3EEjjjS8_jjjS8_jjjj.kd
    .uniform_work_group_size: 1
    .uses_dynamic_stack: false
    .vgpr_count:     36
    .vgpr_spill_count: 0
    .wavefront_size: 32
    .workgroup_processor_mode: 1
  - .args:
      - .address_space:  global
        .offset:         0
        .size:           8
        .value_kind:     global_buffer
      - .address_space:  global
        .offset:         8
        .size:           8
        .value_kind:     global_buffer
      - .address_space:  global
        .offset:         16
        .size:           8
        .value_kind:     global_buffer
      - .offset:         24
        .size:           32
        .value_kind:     by_value
      - .address_space:  global
        .offset:         56
        .size:           8
        .value_kind:     global_buffer
      - .offset:         64
        .size:           4
        .value_kind:     by_value
      - .offset:         68
        .size:           12
        .value_kind:     by_value
      - .offset:         80
        .size:           4
        .value_kind:     by_value
      - .offset:         84
        .size:           4
        .value_kind:     by_value
      - .offset:         88
        .size:           4
        .value_kind:     by_value
      - .offset:         92
        .size:           12
        .value_kind:     by_value
      - .offset:         104
        .size:           4
        .value_kind:     by_value
      - .offset:         108
        .size:           4
        .value_kind:     by_value
      - .offset:         112
        .size:           4
        .value_kind:     by_value
      - .offset:         116
        .size:           12
        .value_kind:     by_value
      - .offset:         128
        .size:           4
        .value_kind:     by_value
      - .offset:         132
        .size:           4
        .value_kind:     by_value
      - .offset:         136
        .size:           4
        .value_kind:     by_value
      - .offset:         140
        .size:           4
        .value_kind:     by_value
    .group_segment_fixed_size: 0
    .kernarg_segment_align: 8
    .kernarg_segment_size: 144
    .language:       OpenCL C
    .language_version:
      - 2
      - 0
    .max_flat_workgroup_size: 32
    .name:           _ZL13mul_mat_vec_qIL9ggml_type40ELi2ELb0ELb0EEvPKvS2_PKi31ggml_cuda_mm_fusion_args_devicePfj15HIP_vector_typeIjLj3EEjjjS8_jjjS8_jjjj
    .private_segment_fixed_size: 0
    .sgpr_count:     32
    .sgpr_spill_count: 0
    .symbol:         _ZL13mul_mat_vec_qIL9ggml_type40ELi2ELb0ELb0EEvPKvS2_PKi31ggml_cuda_mm_fusion_args_devicePfj15HIP_vector_typeIjLj3EEjjjS8_jjjS8_jjjj.kd
    .uniform_work_group_size: 1
    .uses_dynamic_stack: false
    .vgpr_count:     50
    .vgpr_spill_count: 0
    .wavefront_size: 32
    .workgroup_processor_mode: 1
  - .args:
      - .address_space:  global
        .offset:         0
        .size:           8
        .value_kind:     global_buffer
      - .address_space:  global
        .offset:         8
        .size:           8
        .value_kind:     global_buffer
      - .address_space:  global
        .offset:         16
        .size:           8
        .value_kind:     global_buffer
      - .offset:         24
        .size:           32
        .value_kind:     by_value
      - .address_space:  global
        .offset:         56
        .size:           8
        .value_kind:     global_buffer
      - .offset:         64
        .size:           4
        .value_kind:     by_value
      - .offset:         68
        .size:           12
        .value_kind:     by_value
      - .offset:         80
        .size:           4
        .value_kind:     by_value
      - .offset:         84
        .size:           4
        .value_kind:     by_value
      - .offset:         88
        .size:           4
        .value_kind:     by_value
      - .offset:         92
        .size:           12
        .value_kind:     by_value
      - .offset:         104
        .size:           4
        .value_kind:     by_value
      - .offset:         108
        .size:           4
        .value_kind:     by_value
      - .offset:         112
        .size:           4
        .value_kind:     by_value
      - .offset:         116
        .size:           12
        .value_kind:     by_value
      - .offset:         128
        .size:           4
        .value_kind:     by_value
      - .offset:         132
        .size:           4
        .value_kind:     by_value
      - .offset:         136
        .size:           4
        .value_kind:     by_value
      - .offset:         140
        .size:           4
        .value_kind:     by_value
    .group_segment_fixed_size: 0
    .kernarg_segment_align: 8
    .kernarg_segment_size: 144
    .language:       OpenCL C
    .language_version:
      - 2
      - 0
    .max_flat_workgroup_size: 32
    .name:           _ZL13mul_mat_vec_qIL9ggml_type40ELi3ELb0ELb0EEvPKvS2_PKi31ggml_cuda_mm_fusion_args_devicePfj15HIP_vector_typeIjLj3EEjjjS8_jjjS8_jjjj
    .private_segment_fixed_size: 0
    .sgpr_count:     32
    .sgpr_spill_count: 0
    .symbol:         _ZL13mul_mat_vec_qIL9ggml_type40ELi3ELb0ELb0EEvPKvS2_PKi31ggml_cuda_mm_fusion_args_devicePfj15HIP_vector_typeIjLj3EEjjjS8_jjjS8_jjjj.kd
    .uniform_work_group_size: 1
    .uses_dynamic_stack: false
    .vgpr_count:     66
    .vgpr_spill_count: 0
    .wavefront_size: 32
    .workgroup_processor_mode: 1
  - .args:
      - .address_space:  global
        .offset:         0
        .size:           8
        .value_kind:     global_buffer
      - .address_space:  global
        .offset:         8
        .size:           8
        .value_kind:     global_buffer
      - .address_space:  global
        .offset:         16
        .size:           8
        .value_kind:     global_buffer
      - .offset:         24
        .size:           32
        .value_kind:     by_value
      - .address_space:  global
        .offset:         56
        .size:           8
        .value_kind:     global_buffer
      - .offset:         64
        .size:           4
        .value_kind:     by_value
      - .offset:         68
        .size:           12
        .value_kind:     by_value
      - .offset:         80
        .size:           4
        .value_kind:     by_value
      - .offset:         84
        .size:           4
        .value_kind:     by_value
      - .offset:         88
        .size:           4
        .value_kind:     by_value
      - .offset:         92
        .size:           12
        .value_kind:     by_value
      - .offset:         104
        .size:           4
        .value_kind:     by_value
      - .offset:         108
        .size:           4
        .value_kind:     by_value
      - .offset:         112
        .size:           4
        .value_kind:     by_value
      - .offset:         116
        .size:           12
        .value_kind:     by_value
      - .offset:         128
        .size:           4
        .value_kind:     by_value
      - .offset:         132
        .size:           4
        .value_kind:     by_value
      - .offset:         136
        .size:           4
        .value_kind:     by_value
      - .offset:         140
        .size:           4
        .value_kind:     by_value
    .group_segment_fixed_size: 0
    .kernarg_segment_align: 8
    .kernarg_segment_size: 144
    .language:       OpenCL C
    .language_version:
      - 2
      - 0
    .max_flat_workgroup_size: 32
    .name:           _ZL13mul_mat_vec_qIL9ggml_type40ELi4ELb0ELb0EEvPKvS2_PKi31ggml_cuda_mm_fusion_args_devicePfj15HIP_vector_typeIjLj3EEjjjS8_jjjS8_jjjj
    .private_segment_fixed_size: 0
    .sgpr_count:     32
    .sgpr_spill_count: 0
    .symbol:         _ZL13mul_mat_vec_qIL9ggml_type40ELi4ELb0ELb0EEvPKvS2_PKi31ggml_cuda_mm_fusion_args_devicePfj15HIP_vector_typeIjLj3EEjjjS8_jjjS8_jjjj.kd
    .uniform_work_group_size: 1
    .uses_dynamic_stack: false
    .vgpr_count:     79
    .vgpr_spill_count: 0
    .wavefront_size: 32
    .workgroup_processor_mode: 1
  - .args:
      - .address_space:  global
        .offset:         0
        .size:           8
        .value_kind:     global_buffer
      - .address_space:  global
        .offset:         8
        .size:           8
        .value_kind:     global_buffer
      - .address_space:  global
        .offset:         16
        .size:           8
        .value_kind:     global_buffer
      - .offset:         24
        .size:           32
        .value_kind:     by_value
      - .address_space:  global
        .offset:         56
        .size:           8
        .value_kind:     global_buffer
      - .offset:         64
        .size:           4
        .value_kind:     by_value
      - .offset:         68
        .size:           12
        .value_kind:     by_value
      - .offset:         80
        .size:           4
        .value_kind:     by_value
      - .offset:         84
        .size:           4
        .value_kind:     by_value
      - .offset:         88
        .size:           4
        .value_kind:     by_value
      - .offset:         92
        .size:           12
        .value_kind:     by_value
      - .offset:         104
        .size:           4
        .value_kind:     by_value
      - .offset:         108
        .size:           4
        .value_kind:     by_value
      - .offset:         112
        .size:           4
        .value_kind:     by_value
      - .offset:         116
        .size:           12
        .value_kind:     by_value
      - .offset:         128
        .size:           4
        .value_kind:     by_value
      - .offset:         132
        .size:           4
        .value_kind:     by_value
      - .offset:         136
        .size:           4
        .value_kind:     by_value
      - .offset:         140
        .size:           4
        .value_kind:     by_value
    .group_segment_fixed_size: 0
    .kernarg_segment_align: 8
    .kernarg_segment_size: 144
    .language:       OpenCL C
    .language_version:
      - 2
      - 0
    .max_flat_workgroup_size: 32
    .name:           _ZL13mul_mat_vec_qIL9ggml_type40ELi5ELb0ELb0EEvPKvS2_PKi31ggml_cuda_mm_fusion_args_devicePfj15HIP_vector_typeIjLj3EEjjjS8_jjjS8_jjjj
    .private_segment_fixed_size: 0
    .sgpr_count:     32
    .sgpr_spill_count: 0
    .symbol:         _ZL13mul_mat_vec_qIL9ggml_type40ELi5ELb0ELb0EEvPKvS2_PKi31ggml_cuda_mm_fusion_args_devicePfj15HIP_vector_typeIjLj3EEjjjS8_jjjS8_jjjj.kd
    .uniform_work_group_size: 1
    .uses_dynamic_stack: false
    .vgpr_count:     92
    .vgpr_spill_count: 0
    .wavefront_size: 32
    .workgroup_processor_mode: 1
  - .args:
      - .address_space:  global
        .offset:         0
        .size:           8
        .value_kind:     global_buffer
      - .address_space:  global
        .offset:         8
        .size:           8
        .value_kind:     global_buffer
      - .address_space:  global
        .offset:         16
        .size:           8
        .value_kind:     global_buffer
      - .offset:         24
        .size:           32
        .value_kind:     by_value
      - .address_space:  global
        .offset:         56
        .size:           8
        .value_kind:     global_buffer
      - .offset:         64
        .size:           4
        .value_kind:     by_value
      - .offset:         68
        .size:           12
        .value_kind:     by_value
      - .offset:         80
        .size:           4
        .value_kind:     by_value
      - .offset:         84
        .size:           4
        .value_kind:     by_value
      - .offset:         88
        .size:           4
        .value_kind:     by_value
      - .offset:         92
        .size:           12
        .value_kind:     by_value
      - .offset:         104
        .size:           4
        .value_kind:     by_value
      - .offset:         108
        .size:           4
        .value_kind:     by_value
      - .offset:         112
        .size:           4
        .value_kind:     by_value
      - .offset:         116
        .size:           12
        .value_kind:     by_value
      - .offset:         128
        .size:           4
        .value_kind:     by_value
      - .offset:         132
        .size:           4
        .value_kind:     by_value
      - .offset:         136
        .size:           4
        .value_kind:     by_value
      - .offset:         140
        .size:           4
        .value_kind:     by_value
    .group_segment_fixed_size: 0
    .kernarg_segment_align: 8
    .kernarg_segment_size: 144
    .language:       OpenCL C
    .language_version:
      - 2
      - 0
    .max_flat_workgroup_size: 32
    .name:           _ZL13mul_mat_vec_qIL9ggml_type40ELi6ELb0ELb0EEvPKvS2_PKi31ggml_cuda_mm_fusion_args_devicePfj15HIP_vector_typeIjLj3EEjjjS8_jjjS8_jjjj
    .private_segment_fixed_size: 0
    .sgpr_count:     32
    .sgpr_spill_count: 0
    .symbol:         _ZL13mul_mat_vec_qIL9ggml_type40ELi6ELb0ELb0EEvPKvS2_PKi31ggml_cuda_mm_fusion_args_devicePfj15HIP_vector_typeIjLj3EEjjjS8_jjjS8_jjjj.kd
    .uniform_work_group_size: 1
    .uses_dynamic_stack: false
    .vgpr_count:     105
    .vgpr_spill_count: 0
    .wavefront_size: 32
    .workgroup_processor_mode: 1
  - .args:
      - .address_space:  global
        .offset:         0
        .size:           8
        .value_kind:     global_buffer
      - .address_space:  global
        .offset:         8
        .size:           8
        .value_kind:     global_buffer
      - .address_space:  global
        .offset:         16
        .size:           8
        .value_kind:     global_buffer
      - .offset:         24
        .size:           32
        .value_kind:     by_value
      - .address_space:  global
        .offset:         56
        .size:           8
        .value_kind:     global_buffer
      - .offset:         64
        .size:           4
        .value_kind:     by_value
      - .offset:         68
        .size:           12
        .value_kind:     by_value
      - .offset:         80
        .size:           4
        .value_kind:     by_value
      - .offset:         84
        .size:           4
        .value_kind:     by_value
      - .offset:         88
        .size:           4
        .value_kind:     by_value
      - .offset:         92
        .size:           12
        .value_kind:     by_value
      - .offset:         104
        .size:           4
        .value_kind:     by_value
      - .offset:         108
        .size:           4
        .value_kind:     by_value
      - .offset:         112
        .size:           4
        .value_kind:     by_value
      - .offset:         116
        .size:           12
        .value_kind:     by_value
      - .offset:         128
        .size:           4
        .value_kind:     by_value
      - .offset:         132
        .size:           4
        .value_kind:     by_value
      - .offset:         136
        .size:           4
        .value_kind:     by_value
      - .offset:         140
        .size:           4
        .value_kind:     by_value
    .group_segment_fixed_size: 0
    .kernarg_segment_align: 8
    .kernarg_segment_size: 144
    .language:       OpenCL C
    .language_version:
      - 2
      - 0
    .max_flat_workgroup_size: 32
    .name:           _ZL13mul_mat_vec_qIL9ggml_type40ELi7ELb0ELb0EEvPKvS2_PKi31ggml_cuda_mm_fusion_args_devicePfj15HIP_vector_typeIjLj3EEjjjS8_jjjS8_jjjj
    .private_segment_fixed_size: 0
    .sgpr_count:     32
    .sgpr_spill_count: 0
    .symbol:         _ZL13mul_mat_vec_qIL9ggml_type40ELi7ELb0ELb0EEvPKvS2_PKi31ggml_cuda_mm_fusion_args_devicePfj15HIP_vector_typeIjLj3EEjjjS8_jjjS8_jjjj.kd
    .uniform_work_group_size: 1
    .uses_dynamic_stack: false
    .vgpr_count:     118
    .vgpr_spill_count: 0
    .wavefront_size: 32
    .workgroup_processor_mode: 1
  - .args:
      - .address_space:  global
        .offset:         0
        .size:           8
        .value_kind:     global_buffer
      - .address_space:  global
        .offset:         8
        .size:           8
        .value_kind:     global_buffer
      - .address_space:  global
        .offset:         16
        .size:           8
        .value_kind:     global_buffer
      - .offset:         24
        .size:           32
        .value_kind:     by_value
      - .address_space:  global
        .offset:         56
        .size:           8
        .value_kind:     global_buffer
      - .offset:         64
        .size:           4
        .value_kind:     by_value
      - .offset:         68
        .size:           12
        .value_kind:     by_value
      - .offset:         80
        .size:           4
        .value_kind:     by_value
      - .offset:         84
        .size:           4
        .value_kind:     by_value
      - .offset:         88
        .size:           4
        .value_kind:     by_value
      - .offset:         92
        .size:           12
        .value_kind:     by_value
      - .offset:         104
        .size:           4
        .value_kind:     by_value
      - .offset:         108
        .size:           4
        .value_kind:     by_value
      - .offset:         112
        .size:           4
        .value_kind:     by_value
      - .offset:         116
        .size:           12
        .value_kind:     by_value
      - .offset:         128
        .size:           4
        .value_kind:     by_value
      - .offset:         132
        .size:           4
        .value_kind:     by_value
      - .offset:         136
        .size:           4
        .value_kind:     by_value
      - .offset:         140
        .size:           4
        .value_kind:     by_value
    .group_segment_fixed_size: 0
    .kernarg_segment_align: 8
    .kernarg_segment_size: 144
    .language:       OpenCL C
    .language_version:
      - 2
      - 0
    .max_flat_workgroup_size: 32
    .name:           _ZL13mul_mat_vec_qIL9ggml_type40ELi8ELb0ELb0EEvPKvS2_PKi31ggml_cuda_mm_fusion_args_devicePfj15HIP_vector_typeIjLj3EEjjjS8_jjjS8_jjjj
    .private_segment_fixed_size: 0
    .sgpr_count:     32
    .sgpr_spill_count: 0
    .symbol:         _ZL13mul_mat_vec_qIL9ggml_type40ELi8ELb0ELb0EEvPKvS2_PKi31ggml_cuda_mm_fusion_args_devicePfj15HIP_vector_typeIjLj3EEjjjS8_jjjS8_jjjj.kd
    .uniform_work_group_size: 1
    .uses_dynamic_stack: false
    .vgpr_count:     116
    .vgpr_spill_count: 0
    .wavefront_size: 32
    .workgroup_processor_mode: 1
  - .args:
      - .address_space:  global
        .offset:         0
        .size:           8
        .value_kind:     global_buffer
      - .address_space:  global
        .offset:         8
        .size:           8
        .value_kind:     global_buffer
      - .address_space:  global
        .offset:         16
        .size:           8
        .value_kind:     global_buffer
      - .address_space:  global
        .offset:         24
        .size:           8
        .value_kind:     global_buffer
      - .offset:         32
        .size:           4
        .value_kind:     by_value
      - .offset:         36
        .size:           12
        .value_kind:     by_value
      - .offset:         48
        .size:           4
        .value_kind:     by_value
      - .offset:         52
        .size:           4
        .value_kind:     by_value
      - .offset:         56
        .size:           4
        .value_kind:     by_value
      - .offset:         60
        .size:           4
        .value_kind:     by_value
      - .offset:         64
        .size:           4
        .value_kind:     by_value
      - .offset:         68
        .size:           4
        .value_kind:     by_value
      - .offset:         72
        .size:           4
        .value_kind:     by_value
      - .offset:         76
        .size:           4
        .value_kind:     by_value
      - .offset:         80
        .size:           4
        .value_kind:     by_value
    .group_segment_fixed_size: 0
    .kernarg_segment_align: 8
    .kernarg_segment_size: 84
    .language:       OpenCL C
    .language_version:
      - 2
      - 0
    .max_flat_workgroup_size: 256
    .name:           _ZL17mul_mat_vec_q_moeIL9ggml_type10ELi2EEvPKvS2_PKiPfj15HIP_vector_typeIjLj3EEjjjjjjjjj
    .private_segment_fixed_size: 0
    .sgpr_count:     26
    .sgpr_spill_count: 0
    .symbol:         _ZL17mul_mat_vec_q_moeIL9ggml_type10ELi2EEvPKvS2_PKiPfj15HIP_vector_typeIjLj3EEjjjjjjjjj.kd
    .uniform_work_group_size: 1
    .uses_dynamic_stack: false
    .vgpr_count:     48
    .vgpr_spill_count: 0
    .wavefront_size: 32
    .workgroup_processor_mode: 1
  - .args:
      - .address_space:  global
        .offset:         0
        .size:           8
        .value_kind:     global_buffer
      - .address_space:  global
        .offset:         8
        .size:           8
        .value_kind:     global_buffer
      - .address_space:  global
        .offset:         16
        .size:           8
        .value_kind:     global_buffer
      - .offset:         24
        .size:           32
        .value_kind:     by_value
      - .address_space:  global
        .offset:         56
        .size:           8
        .value_kind:     global_buffer
      - .offset:         64
        .size:           4
        .value_kind:     by_value
      - .offset:         68
        .size:           12
        .value_kind:     by_value
      - .offset:         80
        .size:           4
        .value_kind:     by_value
      - .offset:         84
        .size:           4
        .value_kind:     by_value
      - .offset:         88
        .size:           4
        .value_kind:     by_value
      - .offset:         92
        .size:           12
        .value_kind:     by_value
      - .offset:         104
        .size:           4
        .value_kind:     by_value
      - .offset:         108
        .size:           4
        .value_kind:     by_value
      - .offset:         112
        .size:           4
        .value_kind:     by_value
      - .offset:         116
        .size:           12
        .value_kind:     by_value
      - .offset:         128
        .size:           4
        .value_kind:     by_value
      - .offset:         132
        .size:           4
        .value_kind:     by_value
      - .offset:         136
        .size:           4
        .value_kind:     by_value
      - .offset:         140
        .size:           4
        .value_kind:     by_value
    .group_segment_fixed_size: 1792
    .kernarg_segment_align: 8
    .kernarg_segment_size: 144
    .language:       OpenCL C
    .language_version:
      - 2
      - 0
    .max_flat_workgroup_size: 256
    .name:           _ZL13mul_mat_vec_qIL9ggml_type10ELi1ELb1ELb1EEvPKvS2_PKi31ggml_cuda_mm_fusion_args_devicePfj15HIP_vector_typeIjLj3EEjjjS8_jjjS8_jjjj
    .private_segment_fixed_size: 0
    .sgpr_count:     40
    .sgpr_spill_count: 0
    .symbol:         _ZL13mul_mat_vec_qIL9ggml_type10ELi1ELb1ELb1EEvPKvS2_PKi31ggml_cuda_mm_fusion_args_devicePfj15HIP_vector_typeIjLj3EEjjjS8_jjjS8_jjjj.kd
    .uniform_work_group_size: 1
    .uses_dynamic_stack: false
    .vgpr_count:     41
    .vgpr_spill_count: 0
    .wavefront_size: 32
    .workgroup_processor_mode: 1
  - .args:
      - .address_space:  global
        .offset:         0
        .size:           8
        .value_kind:     global_buffer
      - .address_space:  global
        .offset:         8
        .size:           8
        .value_kind:     global_buffer
      - .address_space:  global
        .offset:         16
        .size:           8
        .value_kind:     global_buffer
      - .offset:         24
        .size:           32
        .value_kind:     by_value
      - .address_space:  global
        .offset:         56
        .size:           8
        .value_kind:     global_buffer
      - .offset:         64
        .size:           4
        .value_kind:     by_value
      - .offset:         68
        .size:           12
        .value_kind:     by_value
      - .offset:         80
        .size:           4
        .value_kind:     by_value
      - .offset:         84
        .size:           4
        .value_kind:     by_value
      - .offset:         88
        .size:           4
        .value_kind:     by_value
      - .offset:         92
        .size:           12
        .value_kind:     by_value
      - .offset:         104
        .size:           4
        .value_kind:     by_value
      - .offset:         108
        .size:           4
        .value_kind:     by_value
      - .offset:         112
        .size:           4
        .value_kind:     by_value
      - .offset:         116
        .size:           12
        .value_kind:     by_value
      - .offset:         128
        .size:           4
        .value_kind:     by_value
      - .offset:         132
        .size:           4
        .value_kind:     by_value
      - .offset:         136
        .size:           4
        .value_kind:     by_value
      - .offset:         140
        .size:           4
        .value_kind:     by_value
    .group_segment_fixed_size: 896
    .kernarg_segment_align: 8
    .kernarg_segment_size: 144
    .language:       OpenCL C
    .language_version:
      - 2
      - 0
    .max_flat_workgroup_size: 256
    .name:           _ZL13mul_mat_vec_qIL9ggml_type10ELi1ELb0ELb1EEvPKvS2_PKi31ggml_cuda_mm_fusion_args_devicePfj15HIP_vector_typeIjLj3EEjjjS8_jjjS8_jjjj
    .private_segment_fixed_size: 0
    .sgpr_count:     24
    .sgpr_spill_count: 0
    .symbol:         _ZL13mul_mat_vec_qIL9ggml_type10ELi1ELb0ELb1EEvPKvS2_PKi31ggml_cuda_mm_fusion_args_devicePfj15HIP_vector_typeIjLj3EEjjjS8_jjjS8_jjjj.kd
    .uniform_work_group_size: 1
    .uses_dynamic_stack: false
    .vgpr_count:     31
    .vgpr_spill_count: 0
    .wavefront_size: 32
    .workgroup_processor_mode: 1
  - .args:
      - .address_space:  global
        .offset:         0
        .size:           8
        .value_kind:     global_buffer
      - .address_space:  global
        .offset:         8
        .size:           8
        .value_kind:     global_buffer
      - .address_space:  global
        .offset:         16
        .size:           8
        .value_kind:     global_buffer
      - .offset:         24
        .size:           32
        .value_kind:     by_value
      - .address_space:  global
        .offset:         56
        .size:           8
        .value_kind:     global_buffer
      - .offset:         64
        .size:           4
        .value_kind:     by_value
      - .offset:         68
        .size:           12
        .value_kind:     by_value
      - .offset:         80
        .size:           4
        .value_kind:     by_value
      - .offset:         84
        .size:           4
        .value_kind:     by_value
      - .offset:         88
        .size:           4
        .value_kind:     by_value
      - .offset:         92
        .size:           12
        .value_kind:     by_value
      - .offset:         104
        .size:           4
        .value_kind:     by_value
      - .offset:         108
        .size:           4
        .value_kind:     by_value
      - .offset:         112
        .size:           4
        .value_kind:     by_value
      - .offset:         116
        .size:           12
        .value_kind:     by_value
      - .offset:         128
        .size:           4
        .value_kind:     by_value
      - .offset:         132
        .size:           4
        .value_kind:     by_value
      - .offset:         136
        .size:           4
        .value_kind:     by_value
      - .offset:         140
        .size:           4
        .value_kind:     by_value
    .group_segment_fixed_size: 1792
    .kernarg_segment_align: 8
    .kernarg_segment_size: 144
    .language:       OpenCL C
    .language_version:
      - 2
      - 0
    .max_flat_workgroup_size: 256
    .name:           _ZL13mul_mat_vec_qIL9ggml_type10ELi1ELb1ELb0EEvPKvS2_PKi31ggml_cuda_mm_fusion_args_devicePfj15HIP_vector_typeIjLj3EEjjjS8_jjjS8_jjjj
    .private_segment_fixed_size: 0
    .sgpr_count:     40
    .sgpr_spill_count: 0
    .symbol:         _ZL13mul_mat_vec_qIL9ggml_type10ELi1ELb1ELb0EEvPKvS2_PKi31ggml_cuda_mm_fusion_args_devicePfj15HIP_vector_typeIjLj3EEjjjS8_jjjS8_jjjj.kd
    .uniform_work_group_size: 1
    .uses_dynamic_stack: false
    .vgpr_count:     41
    .vgpr_spill_count: 0
    .wavefront_size: 32
    .workgroup_processor_mode: 1
  - .args:
      - .address_space:  global
        .offset:         0
        .size:           8
        .value_kind:     global_buffer
      - .address_space:  global
        .offset:         8
        .size:           8
        .value_kind:     global_buffer
      - .address_space:  global
        .offset:         16
        .size:           8
        .value_kind:     global_buffer
      - .offset:         24
        .size:           32
        .value_kind:     by_value
      - .address_space:  global
        .offset:         56
        .size:           8
        .value_kind:     global_buffer
      - .offset:         64
        .size:           4
        .value_kind:     by_value
      - .offset:         68
        .size:           12
        .value_kind:     by_value
      - .offset:         80
        .size:           4
        .value_kind:     by_value
      - .offset:         84
        .size:           4
        .value_kind:     by_value
      - .offset:         88
        .size:           4
        .value_kind:     by_value
      - .offset:         92
        .size:           12
        .value_kind:     by_value
      - .offset:         104
        .size:           4
        .value_kind:     by_value
      - .offset:         108
        .size:           4
        .value_kind:     by_value
      - .offset:         112
        .size:           4
        .value_kind:     by_value
      - .offset:         116
        .size:           12
        .value_kind:     by_value
      - .offset:         128
        .size:           4
        .value_kind:     by_value
      - .offset:         132
        .size:           4
        .value_kind:     by_value
      - .offset:         136
        .size:           4
        .value_kind:     by_value
      - .offset:         140
        .size:           4
        .value_kind:     by_value
    .group_segment_fixed_size: 896
    .kernarg_segment_align: 8
    .kernarg_segment_size: 144
    .language:       OpenCL C
    .language_version:
      - 2
      - 0
    .max_flat_workgroup_size: 256
    .name:           _ZL13mul_mat_vec_qIL9ggml_type10ELi1ELb0ELb0EEvPKvS2_PKi31ggml_cuda_mm_fusion_args_devicePfj15HIP_vector_typeIjLj3EEjjjS8_jjjS8_jjjj
    .private_segment_fixed_size: 0
    .sgpr_count:     24
    .sgpr_spill_count: 0
    .symbol:         _ZL13mul_mat_vec_qIL9ggml_type10ELi1ELb0ELb0EEvPKvS2_PKi31ggml_cuda_mm_fusion_args_devicePfj15HIP_vector_typeIjLj3EEjjjS8_jjjS8_jjjj.kd
    .uniform_work_group_size: 1
    .uses_dynamic_stack: false
    .vgpr_count:     31
    .vgpr_spill_count: 0
    .wavefront_size: 32
    .workgroup_processor_mode: 1
  - .args:
      - .address_space:  global
        .offset:         0
        .size:           8
        .value_kind:     global_buffer
      - .address_space:  global
        .offset:         8
        .size:           8
        .value_kind:     global_buffer
      - .address_space:  global
        .offset:         16
        .size:           8
        .value_kind:     global_buffer
      - .offset:         24
        .size:           32
        .value_kind:     by_value
      - .address_space:  global
        .offset:         56
        .size:           8
        .value_kind:     global_buffer
      - .offset:         64
        .size:           4
        .value_kind:     by_value
      - .offset:         68
        .size:           12
        .value_kind:     by_value
      - .offset:         80
        .size:           4
        .value_kind:     by_value
      - .offset:         84
        .size:           4
        .value_kind:     by_value
      - .offset:         88
        .size:           4
        .value_kind:     by_value
      - .offset:         92
        .size:           12
        .value_kind:     by_value
      - .offset:         104
        .size:           4
        .value_kind:     by_value
      - .offset:         108
        .size:           4
        .value_kind:     by_value
      - .offset:         112
        .size:           4
        .value_kind:     by_value
      - .offset:         116
        .size:           12
        .value_kind:     by_value
      - .offset:         128
        .size:           4
        .value_kind:     by_value
      - .offset:         132
        .size:           4
        .value_kind:     by_value
      - .offset:         136
        .size:           4
        .value_kind:     by_value
      - .offset:         140
        .size:           4
        .value_kind:     by_value
    .group_segment_fixed_size: 0
    .kernarg_segment_align: 8
    .kernarg_segment_size: 144
    .language:       OpenCL C
    .language_version:
      - 2
      - 0
    .max_flat_workgroup_size: 32
    .name:           _ZL13mul_mat_vec_qIL9ggml_type10ELi2ELb0ELb0EEvPKvS2_PKi31ggml_cuda_mm_fusion_args_devicePfj15HIP_vector_typeIjLj3EEjjjS8_jjjS8_jjjj
    .private_segment_fixed_size: 0
    .sgpr_count:     30
    .sgpr_spill_count: 0
    .symbol:         _ZL13mul_mat_vec_qIL9ggml_type10ELi2ELb0ELb0EEvPKvS2_PKi31ggml_cuda_mm_fusion_args_devicePfj15HIP_vector_typeIjLj3EEjjjS8_jjjS8_jjjj.kd
    .uniform_work_group_size: 1
    .uses_dynamic_stack: false
    .vgpr_count:     48
    .vgpr_spill_count: 0
    .wavefront_size: 32
    .workgroup_processor_mode: 1
  - .args:
      - .address_space:  global
        .offset:         0
        .size:           8
        .value_kind:     global_buffer
      - .address_space:  global
        .offset:         8
        .size:           8
        .value_kind:     global_buffer
      - .address_space:  global
        .offset:         16
        .size:           8
        .value_kind:     global_buffer
      - .offset:         24
        .size:           32
        .value_kind:     by_value
      - .address_space:  global
        .offset:         56
        .size:           8
        .value_kind:     global_buffer
      - .offset:         64
        .size:           4
        .value_kind:     by_value
      - .offset:         68
        .size:           12
        .value_kind:     by_value
      - .offset:         80
        .size:           4
        .value_kind:     by_value
      - .offset:         84
        .size:           4
        .value_kind:     by_value
      - .offset:         88
        .size:           4
        .value_kind:     by_value
      - .offset:         92
        .size:           12
        .value_kind:     by_value
      - .offset:         104
        .size:           4
        .value_kind:     by_value
      - .offset:         108
        .size:           4
        .value_kind:     by_value
      - .offset:         112
        .size:           4
        .value_kind:     by_value
      - .offset:         116
        .size:           12
        .value_kind:     by_value
      - .offset:         128
        .size:           4
        .value_kind:     by_value
      - .offset:         132
        .size:           4
        .value_kind:     by_value
      - .offset:         136
        .size:           4
        .value_kind:     by_value
      - .offset:         140
        .size:           4
        .value_kind:     by_value
    .group_segment_fixed_size: 0
    .kernarg_segment_align: 8
    .kernarg_segment_size: 144
    .language:       OpenCL C
    .language_version:
      - 2
      - 0
    .max_flat_workgroup_size: 32
    .name:           _ZL13mul_mat_vec_qIL9ggml_type10ELi3ELb0ELb0EEvPKvS2_PKi31ggml_cuda_mm_fusion_args_devicePfj15HIP_vector_typeIjLj3EEjjjS8_jjjS8_jjjj
    .private_segment_fixed_size: 0
    .sgpr_count:     30
    .sgpr_spill_count: 0
    .symbol:         _ZL13mul_mat_vec_qIL9ggml_type10ELi3ELb0ELb0EEvPKvS2_PKi31ggml_cuda_mm_fusion_args_devicePfj15HIP_vector_typeIjLj3EEjjjS8_jjjS8_jjjj.kd
    .uniform_work_group_size: 1
    .uses_dynamic_stack: false
    .vgpr_count:     62
    .vgpr_spill_count: 0
    .wavefront_size: 32
    .workgroup_processor_mode: 1
  - .args:
      - .address_space:  global
        .offset:         0
        .size:           8
        .value_kind:     global_buffer
      - .address_space:  global
        .offset:         8
        .size:           8
        .value_kind:     global_buffer
      - .address_space:  global
        .offset:         16
        .size:           8
        .value_kind:     global_buffer
      - .offset:         24
        .size:           32
        .value_kind:     by_value
      - .address_space:  global
        .offset:         56
        .size:           8
        .value_kind:     global_buffer
      - .offset:         64
        .size:           4
        .value_kind:     by_value
      - .offset:         68
        .size:           12
        .value_kind:     by_value
      - .offset:         80
        .size:           4
        .value_kind:     by_value
      - .offset:         84
        .size:           4
        .value_kind:     by_value
      - .offset:         88
        .size:           4
        .value_kind:     by_value
      - .offset:         92
        .size:           12
        .value_kind:     by_value
      - .offset:         104
        .size:           4
        .value_kind:     by_value
      - .offset:         108
        .size:           4
        .value_kind:     by_value
      - .offset:         112
        .size:           4
        .value_kind:     by_value
      - .offset:         116
        .size:           12
        .value_kind:     by_value
      - .offset:         128
        .size:           4
        .value_kind:     by_value
      - .offset:         132
        .size:           4
        .value_kind:     by_value
      - .offset:         136
        .size:           4
        .value_kind:     by_value
      - .offset:         140
        .size:           4
        .value_kind:     by_value
    .group_segment_fixed_size: 0
    .kernarg_segment_align: 8
    .kernarg_segment_size: 144
    .language:       OpenCL C
    .language_version:
      - 2
      - 0
    .max_flat_workgroup_size: 32
    .name:           _ZL13mul_mat_vec_qIL9ggml_type10ELi4ELb0ELb0EEvPKvS2_PKi31ggml_cuda_mm_fusion_args_devicePfj15HIP_vector_typeIjLj3EEjjjS8_jjjS8_jjjj
    .private_segment_fixed_size: 0
    .sgpr_count:     30
    .sgpr_spill_count: 0
    .symbol:         _ZL13mul_mat_vec_qIL9ggml_type10ELi4ELb0ELb0EEvPKvS2_PKi31ggml_cuda_mm_fusion_args_devicePfj15HIP_vector_typeIjLj3EEjjjS8_jjjS8_jjjj.kd
    .uniform_work_group_size: 1
    .uses_dynamic_stack: false
    .vgpr_count:     76
    .vgpr_spill_count: 0
    .wavefront_size: 32
    .workgroup_processor_mode: 1
  - .args:
      - .address_space:  global
        .offset:         0
        .size:           8
        .value_kind:     global_buffer
      - .address_space:  global
        .offset:         8
        .size:           8
        .value_kind:     global_buffer
      - .address_space:  global
        .offset:         16
        .size:           8
        .value_kind:     global_buffer
      - .offset:         24
        .size:           32
        .value_kind:     by_value
      - .address_space:  global
        .offset:         56
        .size:           8
        .value_kind:     global_buffer
      - .offset:         64
        .size:           4
        .value_kind:     by_value
      - .offset:         68
        .size:           12
        .value_kind:     by_value
      - .offset:         80
        .size:           4
        .value_kind:     by_value
      - .offset:         84
        .size:           4
        .value_kind:     by_value
      - .offset:         88
        .size:           4
        .value_kind:     by_value
      - .offset:         92
        .size:           12
        .value_kind:     by_value
      - .offset:         104
        .size:           4
        .value_kind:     by_value
      - .offset:         108
        .size:           4
        .value_kind:     by_value
      - .offset:         112
        .size:           4
        .value_kind:     by_value
      - .offset:         116
        .size:           12
        .value_kind:     by_value
      - .offset:         128
        .size:           4
        .value_kind:     by_value
      - .offset:         132
        .size:           4
        .value_kind:     by_value
      - .offset:         136
        .size:           4
        .value_kind:     by_value
      - .offset:         140
        .size:           4
        .value_kind:     by_value
    .group_segment_fixed_size: 0
    .kernarg_segment_align: 8
    .kernarg_segment_size: 144
    .language:       OpenCL C
    .language_version:
      - 2
      - 0
    .max_flat_workgroup_size: 32
    .name:           _ZL13mul_mat_vec_qIL9ggml_type10ELi5ELb0ELb0EEvPKvS2_PKi31ggml_cuda_mm_fusion_args_devicePfj15HIP_vector_typeIjLj3EEjjjS8_jjjS8_jjjj
    .private_segment_fixed_size: 0
    .sgpr_count:     30
    .sgpr_spill_count: 0
    .symbol:         _ZL13mul_mat_vec_qIL9ggml_type10ELi5ELb0ELb0EEvPKvS2_PKi31ggml_cuda_mm_fusion_args_devicePfj15HIP_vector_typeIjLj3EEjjjS8_jjjS8_jjjj.kd
    .uniform_work_group_size: 1
    .uses_dynamic_stack: false
    .vgpr_count:     90
    .vgpr_spill_count: 0
    .wavefront_size: 32
    .workgroup_processor_mode: 1
  - .args:
      - .address_space:  global
        .offset:         0
        .size:           8
        .value_kind:     global_buffer
      - .address_space:  global
        .offset:         8
        .size:           8
        .value_kind:     global_buffer
      - .address_space:  global
        .offset:         16
        .size:           8
        .value_kind:     global_buffer
      - .offset:         24
        .size:           32
        .value_kind:     by_value
      - .address_space:  global
        .offset:         56
        .size:           8
        .value_kind:     global_buffer
      - .offset:         64
        .size:           4
        .value_kind:     by_value
      - .offset:         68
        .size:           12
        .value_kind:     by_value
      - .offset:         80
        .size:           4
        .value_kind:     by_value
      - .offset:         84
        .size:           4
        .value_kind:     by_value
      - .offset:         88
        .size:           4
        .value_kind:     by_value
      - .offset:         92
        .size:           12
        .value_kind:     by_value
      - .offset:         104
        .size:           4
        .value_kind:     by_value
      - .offset:         108
        .size:           4
        .value_kind:     by_value
      - .offset:         112
        .size:           4
        .value_kind:     by_value
      - .offset:         116
        .size:           12
        .value_kind:     by_value
      - .offset:         128
        .size:           4
        .value_kind:     by_value
      - .offset:         132
        .size:           4
        .value_kind:     by_value
      - .offset:         136
        .size:           4
        .value_kind:     by_value
      - .offset:         140
        .size:           4
        .value_kind:     by_value
    .group_segment_fixed_size: 0
    .kernarg_segment_align: 8
    .kernarg_segment_size: 144
    .language:       OpenCL C
    .language_version:
      - 2
      - 0
    .max_flat_workgroup_size: 32
    .name:           _ZL13mul_mat_vec_qIL9ggml_type10ELi6ELb0ELb0EEvPKvS2_PKi31ggml_cuda_mm_fusion_args_devicePfj15HIP_vector_typeIjLj3EEjjjS8_jjjS8_jjjj
    .private_segment_fixed_size: 0
    .sgpr_count:     30
    .sgpr_spill_count: 0
    .symbol:         _ZL13mul_mat_vec_qIL9ggml_type10ELi6ELb0ELb0EEvPKvS2_PKi31ggml_cuda_mm_fusion_args_devicePfj15HIP_vector_typeIjLj3EEjjjS8_jjjS8_jjjj.kd
    .uniform_work_group_size: 1
    .uses_dynamic_stack: false
    .vgpr_count:     95
    .vgpr_spill_count: 0
    .wavefront_size: 32
    .workgroup_processor_mode: 1
  - .args:
      - .address_space:  global
        .offset:         0
        .size:           8
        .value_kind:     global_buffer
      - .address_space:  global
        .offset:         8
        .size:           8
        .value_kind:     global_buffer
      - .address_space:  global
        .offset:         16
        .size:           8
        .value_kind:     global_buffer
      - .offset:         24
        .size:           32
        .value_kind:     by_value
      - .address_space:  global
        .offset:         56
        .size:           8
        .value_kind:     global_buffer
      - .offset:         64
        .size:           4
        .value_kind:     by_value
      - .offset:         68
        .size:           12
        .value_kind:     by_value
      - .offset:         80
        .size:           4
        .value_kind:     by_value
      - .offset:         84
        .size:           4
        .value_kind:     by_value
      - .offset:         88
        .size:           4
        .value_kind:     by_value
      - .offset:         92
        .size:           12
        .value_kind:     by_value
      - .offset:         104
        .size:           4
        .value_kind:     by_value
      - .offset:         108
        .size:           4
        .value_kind:     by_value
      - .offset:         112
        .size:           4
        .value_kind:     by_value
      - .offset:         116
        .size:           12
        .value_kind:     by_value
      - .offset:         128
        .size:           4
        .value_kind:     by_value
      - .offset:         132
        .size:           4
        .value_kind:     by_value
      - .offset:         136
        .size:           4
        .value_kind:     by_value
      - .offset:         140
        .size:           4
        .value_kind:     by_value
    .group_segment_fixed_size: 0
    .kernarg_segment_align: 8
    .kernarg_segment_size: 144
    .language:       OpenCL C
    .language_version:
      - 2
      - 0
    .max_flat_workgroup_size: 32
    .name:           _ZL13mul_mat_vec_qIL9ggml_type10ELi7ELb0ELb0EEvPKvS2_PKi31ggml_cuda_mm_fusion_args_devicePfj15HIP_vector_typeIjLj3EEjjjS8_jjjS8_jjjj
    .private_segment_fixed_size: 0
    .sgpr_count:     30
    .sgpr_spill_count: 0
    .symbol:         _ZL13mul_mat_vec_qIL9ggml_type10ELi7ELb0ELb0EEvPKvS2_PKi31ggml_cuda_mm_fusion_args_devicePfj15HIP_vector_typeIjLj3EEjjjS8_jjjS8_jjjj.kd
    .uniform_work_group_size: 1
    .uses_dynamic_stack: false
    .vgpr_count:     43
    .vgpr_spill_count: 0
    .wavefront_size: 32
    .workgroup_processor_mode: 1
  - .args:
      - .address_space:  global
        .offset:         0
        .size:           8
        .value_kind:     global_buffer
      - .address_space:  global
        .offset:         8
        .size:           8
        .value_kind:     global_buffer
      - .address_space:  global
        .offset:         16
        .size:           8
        .value_kind:     global_buffer
      - .offset:         24
        .size:           32
        .value_kind:     by_value
      - .address_space:  global
        .offset:         56
        .size:           8
        .value_kind:     global_buffer
      - .offset:         64
        .size:           4
        .value_kind:     by_value
      - .offset:         68
        .size:           12
        .value_kind:     by_value
      - .offset:         80
        .size:           4
        .value_kind:     by_value
      - .offset:         84
        .size:           4
        .value_kind:     by_value
      - .offset:         88
        .size:           4
        .value_kind:     by_value
      - .offset:         92
        .size:           12
        .value_kind:     by_value
      - .offset:         104
        .size:           4
        .value_kind:     by_value
      - .offset:         108
        .size:           4
        .value_kind:     by_value
      - .offset:         112
        .size:           4
        .value_kind:     by_value
      - .offset:         116
        .size:           12
        .value_kind:     by_value
      - .offset:         128
        .size:           4
        .value_kind:     by_value
      - .offset:         132
        .size:           4
        .value_kind:     by_value
      - .offset:         136
        .size:           4
        .value_kind:     by_value
      - .offset:         140
        .size:           4
        .value_kind:     by_value
    .group_segment_fixed_size: 0
    .kernarg_segment_align: 8
    .kernarg_segment_size: 144
    .language:       OpenCL C
    .language_version:
      - 2
      - 0
    .max_flat_workgroup_size: 32
    .name:           _ZL13mul_mat_vec_qIL9ggml_type10ELi8ELb0ELb0EEvPKvS2_PKi31ggml_cuda_mm_fusion_args_devicePfj15HIP_vector_typeIjLj3EEjjjS8_jjjS8_jjjj
    .private_segment_fixed_size: 0
    .sgpr_count:     30
    .sgpr_spill_count: 0
    .symbol:         _ZL13mul_mat_vec_qIL9ggml_type10ELi8ELb0ELb0EEvPKvS2_PKi31ggml_cuda_mm_fusion_args_devicePfj15HIP_vector_typeIjLj3EEjjjS8_jjjS8_jjjj.kd
    .uniform_work_group_size: 1
    .uses_dynamic_stack: false
    .vgpr_count:     44
    .vgpr_spill_count: 0
    .wavefront_size: 32
    .workgroup_processor_mode: 1
  - .args:
      - .address_space:  global
        .offset:         0
        .size:           8
        .value_kind:     global_buffer
      - .address_space:  global
        .offset:         8
        .size:           8
        .value_kind:     global_buffer
      - .address_space:  global
        .offset:         16
        .size:           8
        .value_kind:     global_buffer
      - .address_space:  global
        .offset:         24
        .size:           8
        .value_kind:     global_buffer
      - .offset:         32
        .size:           4
        .value_kind:     by_value
      - .offset:         36
        .size:           12
        .value_kind:     by_value
      - .offset:         48
        .size:           4
        .value_kind:     by_value
      - .offset:         52
        .size:           4
        .value_kind:     by_value
      - .offset:         56
        .size:           4
        .value_kind:     by_value
      - .offset:         60
        .size:           4
        .value_kind:     by_value
      - .offset:         64
        .size:           4
        .value_kind:     by_value
      - .offset:         68
        .size:           4
        .value_kind:     by_value
      - .offset:         72
        .size:           4
        .value_kind:     by_value
      - .offset:         76
        .size:           4
        .value_kind:     by_value
      - .offset:         80
        .size:           4
        .value_kind:     by_value
    .group_segment_fixed_size: 0
    .kernarg_segment_align: 8
    .kernarg_segment_size: 84
    .language:       OpenCL C
    .language_version:
      - 2
      - 0
    .max_flat_workgroup_size: 128
    .name:           _ZL17mul_mat_vec_q_moeIL9ggml_type11ELi2EEvPKvS2_PKiPfj15HIP_vector_typeIjLj3EEjjjjjjjjj
    .private_segment_fixed_size: 0
    .sgpr_count:     26
    .sgpr_spill_count: 0
    .symbol:         _ZL17mul_mat_vec_q_moeIL9ggml_type11ELi2EEvPKvS2_PKiPfj15HIP_vector_typeIjLj3EEjjjjjjjjj.kd
    .uniform_work_group_size: 1
    .uses_dynamic_stack: false
    .vgpr_count:     90
    .vgpr_spill_count: 0
    .wavefront_size: 32
    .workgroup_processor_mode: 1
  - .args:
      - .address_space:  global
        .offset:         0
        .size:           8
        .value_kind:     global_buffer
      - .address_space:  global
        .offset:         8
        .size:           8
        .value_kind:     global_buffer
      - .address_space:  global
        .offset:         16
        .size:           8
        .value_kind:     global_buffer
      - .offset:         24
        .size:           32
        .value_kind:     by_value
      - .address_space:  global
        .offset:         56
        .size:           8
        .value_kind:     global_buffer
      - .offset:         64
        .size:           4
        .value_kind:     by_value
      - .offset:         68
        .size:           12
        .value_kind:     by_value
      - .offset:         80
        .size:           4
        .value_kind:     by_value
      - .offset:         84
        .size:           4
        .value_kind:     by_value
      - .offset:         88
        .size:           4
        .value_kind:     by_value
      - .offset:         92
        .size:           12
        .value_kind:     by_value
      - .offset:         104
        .size:           4
        .value_kind:     by_value
      - .offset:         108
        .size:           4
        .value_kind:     by_value
      - .offset:         112
        .size:           4
        .value_kind:     by_value
      - .offset:         116
        .size:           12
        .value_kind:     by_value
      - .offset:         128
        .size:           4
        .value_kind:     by_value
      - .offset:         132
        .size:           4
        .value_kind:     by_value
      - .offset:         136
        .size:           4
        .value_kind:     by_value
      - .offset:         140
        .size:           4
        .value_kind:     by_value
    .group_segment_fixed_size: 0
    .kernarg_segment_align: 8
    .kernarg_segment_size: 144
    .language:       OpenCL C
    .language_version:
      - 2
      - 0
    .max_flat_workgroup_size: 32
    .name:           _ZL13mul_mat_vec_qIL9ggml_type11ELi1ELb1ELb1EEvPKvS2_PKi31ggml_cuda_mm_fusion_args_devicePfj15HIP_vector_typeIjLj3EEjjjS8_jjjS8_jjjj
    .private_segment_fixed_size: 0
    .sgpr_count:     40
    .sgpr_spill_count: 0
    .symbol:         _ZL13mul_mat_vec_qIL9ggml_type11ELi1ELb1ELb1EEvPKvS2_PKi31ggml_cuda_mm_fusion_args_devicePfj15HIP_vector_typeIjLj3EEjjjS8_jjjS8_jjjj.kd
    .uniform_work_group_size: 1
    .uses_dynamic_stack: false
    .vgpr_count:     72
    .vgpr_spill_count: 0
    .wavefront_size: 32
    .workgroup_processor_mode: 1
  - .args:
      - .address_space:  global
        .offset:         0
        .size:           8
        .value_kind:     global_buffer
      - .address_space:  global
        .offset:         8
        .size:           8
        .value_kind:     global_buffer
      - .address_space:  global
        .offset:         16
        .size:           8
        .value_kind:     global_buffer
      - .offset:         24
        .size:           32
        .value_kind:     by_value
      - .address_space:  global
        .offset:         56
        .size:           8
        .value_kind:     global_buffer
      - .offset:         64
        .size:           4
        .value_kind:     by_value
      - .offset:         68
        .size:           12
        .value_kind:     by_value
      - .offset:         80
        .size:           4
        .value_kind:     by_value
      - .offset:         84
        .size:           4
        .value_kind:     by_value
      - .offset:         88
        .size:           4
        .value_kind:     by_value
      - .offset:         92
        .size:           12
        .value_kind:     by_value
      - .offset:         104
        .size:           4
        .value_kind:     by_value
      - .offset:         108
        .size:           4
        .value_kind:     by_value
      - .offset:         112
        .size:           4
        .value_kind:     by_value
      - .offset:         116
        .size:           12
        .value_kind:     by_value
      - .offset:         128
        .size:           4
        .value_kind:     by_value
      - .offset:         132
        .size:           4
        .value_kind:     by_value
      - .offset:         136
        .size:           4
        .value_kind:     by_value
      - .offset:         140
        .size:           4
        .value_kind:     by_value
    .group_segment_fixed_size: 0
    .kernarg_segment_align: 8
    .kernarg_segment_size: 144
    .language:       OpenCL C
    .language_version:
      - 2
      - 0
    .max_flat_workgroup_size: 32
    .name:           _ZL13mul_mat_vec_qIL9ggml_type11ELi1ELb0ELb1EEvPKvS2_PKi31ggml_cuda_mm_fusion_args_devicePfj15HIP_vector_typeIjLj3EEjjjS8_jjjS8_jjjj
    .private_segment_fixed_size: 0
    .sgpr_count:     24
    .sgpr_spill_count: 0
    .symbol:         _ZL13mul_mat_vec_qIL9ggml_type11ELi1ELb0ELb1EEvPKvS2_PKi31ggml_cuda_mm_fusion_args_devicePfj15HIP_vector_typeIjLj3EEjjjS8_jjjS8_jjjj.kd
    .uniform_work_group_size: 1
    .uses_dynamic_stack: false
    .vgpr_count:     57
    .vgpr_spill_count: 0
    .wavefront_size: 32
    .workgroup_processor_mode: 1
  - .args:
      - .address_space:  global
        .offset:         0
        .size:           8
        .value_kind:     global_buffer
      - .address_space:  global
        .offset:         8
        .size:           8
        .value_kind:     global_buffer
      - .address_space:  global
        .offset:         16
        .size:           8
        .value_kind:     global_buffer
      - .offset:         24
        .size:           32
        .value_kind:     by_value
      - .address_space:  global
        .offset:         56
        .size:           8
        .value_kind:     global_buffer
      - .offset:         64
        .size:           4
        .value_kind:     by_value
      - .offset:         68
        .size:           12
        .value_kind:     by_value
      - .offset:         80
        .size:           4
        .value_kind:     by_value
      - .offset:         84
        .size:           4
        .value_kind:     by_value
      - .offset:         88
        .size:           4
        .value_kind:     by_value
      - .offset:         92
        .size:           12
        .value_kind:     by_value
      - .offset:         104
        .size:           4
        .value_kind:     by_value
      - .offset:         108
        .size:           4
        .value_kind:     by_value
      - .offset:         112
        .size:           4
        .value_kind:     by_value
      - .offset:         116
        .size:           12
        .value_kind:     by_value
      - .offset:         128
        .size:           4
        .value_kind:     by_value
      - .offset:         132
        .size:           4
        .value_kind:     by_value
      - .offset:         136
        .size:           4
        .value_kind:     by_value
      - .offset:         140
        .size:           4
        .value_kind:     by_value
    .group_segment_fixed_size: 0
    .kernarg_segment_align: 8
    .kernarg_segment_size: 144
    .language:       OpenCL C
    .language_version:
      - 2
      - 0
    .max_flat_workgroup_size: 32
    .name:           _ZL13mul_mat_vec_qIL9ggml_type11ELi1ELb1ELb0EEvPKvS2_PKi31ggml_cuda_mm_fusion_args_devicePfj15HIP_vector_typeIjLj3EEjjjS8_jjjS8_jjjj
    .private_segment_fixed_size: 0
    .sgpr_count:     40
    .sgpr_spill_count: 0
    .symbol:         _ZL13mul_mat_vec_qIL9ggml_type11ELi1ELb1ELb0EEvPKvS2_PKi31ggml_cuda_mm_fusion_args_devicePfj15HIP_vector_typeIjLj3EEjjjS8_jjjS8_jjjj.kd
    .uniform_work_group_size: 1
    .uses_dynamic_stack: false
    .vgpr_count:     72
    .vgpr_spill_count: 0
    .wavefront_size: 32
    .workgroup_processor_mode: 1
  - .args:
      - .address_space:  global
        .offset:         0
        .size:           8
        .value_kind:     global_buffer
      - .address_space:  global
        .offset:         8
        .size:           8
        .value_kind:     global_buffer
      - .address_space:  global
        .offset:         16
        .size:           8
        .value_kind:     global_buffer
      - .offset:         24
        .size:           32
        .value_kind:     by_value
      - .address_space:  global
        .offset:         56
        .size:           8
        .value_kind:     global_buffer
      - .offset:         64
        .size:           4
        .value_kind:     by_value
      - .offset:         68
        .size:           12
        .value_kind:     by_value
      - .offset:         80
        .size:           4
        .value_kind:     by_value
      - .offset:         84
        .size:           4
        .value_kind:     by_value
      - .offset:         88
        .size:           4
        .value_kind:     by_value
      - .offset:         92
        .size:           12
        .value_kind:     by_value
      - .offset:         104
        .size:           4
        .value_kind:     by_value
      - .offset:         108
        .size:           4
        .value_kind:     by_value
      - .offset:         112
        .size:           4
        .value_kind:     by_value
      - .offset:         116
        .size:           12
        .value_kind:     by_value
      - .offset:         128
        .size:           4
        .value_kind:     by_value
      - .offset:         132
        .size:           4
        .value_kind:     by_value
      - .offset:         136
        .size:           4
        .value_kind:     by_value
      - .offset:         140
        .size:           4
        .value_kind:     by_value
    .group_segment_fixed_size: 0
    .kernarg_segment_align: 8
    .kernarg_segment_size: 144
    .language:       OpenCL C
    .language_version:
      - 2
      - 0
    .max_flat_workgroup_size: 32
    .name:           _ZL13mul_mat_vec_qIL9ggml_type11ELi1ELb0ELb0EEvPKvS2_PKi31ggml_cuda_mm_fusion_args_devicePfj15HIP_vector_typeIjLj3EEjjjS8_jjjS8_jjjj
    .private_segment_fixed_size: 0
    .sgpr_count:     24
    .sgpr_spill_count: 0
    .symbol:         _ZL13mul_mat_vec_qIL9ggml_type11ELi1ELb0ELb0EEvPKvS2_PKi31ggml_cuda_mm_fusion_args_devicePfj15HIP_vector_typeIjLj3EEjjjS8_jjjS8_jjjj.kd
    .uniform_work_group_size: 1
    .uses_dynamic_stack: false
    .vgpr_count:     57
    .vgpr_spill_count: 0
    .wavefront_size: 32
    .workgroup_processor_mode: 1
  - .args:
      - .address_space:  global
        .offset:         0
        .size:           8
        .value_kind:     global_buffer
      - .address_space:  global
        .offset:         8
        .size:           8
        .value_kind:     global_buffer
      - .address_space:  global
        .offset:         16
        .size:           8
        .value_kind:     global_buffer
      - .offset:         24
        .size:           32
        .value_kind:     by_value
      - .address_space:  global
        .offset:         56
        .size:           8
        .value_kind:     global_buffer
      - .offset:         64
        .size:           4
        .value_kind:     by_value
      - .offset:         68
        .size:           12
        .value_kind:     by_value
      - .offset:         80
        .size:           4
        .value_kind:     by_value
      - .offset:         84
        .size:           4
        .value_kind:     by_value
      - .offset:         88
        .size:           4
        .value_kind:     by_value
      - .offset:         92
        .size:           12
        .value_kind:     by_value
      - .offset:         104
        .size:           4
        .value_kind:     by_value
      - .offset:         108
        .size:           4
        .value_kind:     by_value
      - .offset:         112
        .size:           4
        .value_kind:     by_value
      - .offset:         116
        .size:           12
        .value_kind:     by_value
      - .offset:         128
        .size:           4
        .value_kind:     by_value
      - .offset:         132
        .size:           4
        .value_kind:     by_value
      - .offset:         136
        .size:           4
        .value_kind:     by_value
      - .offset:         140
        .size:           4
        .value_kind:     by_value
    .group_segment_fixed_size: 0
    .kernarg_segment_align: 8
    .kernarg_segment_size: 144
    .language:       OpenCL C
    .language_version:
      - 2
      - 0
    .max_flat_workgroup_size: 32
    .name:           _ZL13mul_mat_vec_qIL9ggml_type11ELi2ELb0ELb0EEvPKvS2_PKi31ggml_cuda_mm_fusion_args_devicePfj15HIP_vector_typeIjLj3EEjjjS8_jjjS8_jjjj
    .private_segment_fixed_size: 0
    .sgpr_count:     30
    .sgpr_spill_count: 0
    .symbol:         _ZL13mul_mat_vec_qIL9ggml_type11ELi2ELb0ELb0EEvPKvS2_PKi31ggml_cuda_mm_fusion_args_devicePfj15HIP_vector_typeIjLj3EEjjjS8_jjjS8_jjjj.kd
    .uniform_work_group_size: 1
    .uses_dynamic_stack: false
    .vgpr_count:     70
    .vgpr_spill_count: 0
    .wavefront_size: 32
    .workgroup_processor_mode: 1
  - .args:
      - .address_space:  global
        .offset:         0
        .size:           8
        .value_kind:     global_buffer
      - .address_space:  global
        .offset:         8
        .size:           8
        .value_kind:     global_buffer
      - .address_space:  global
        .offset:         16
        .size:           8
        .value_kind:     global_buffer
      - .offset:         24
        .size:           32
        .value_kind:     by_value
      - .address_space:  global
        .offset:         56
        .size:           8
        .value_kind:     global_buffer
      - .offset:         64
        .size:           4
        .value_kind:     by_value
      - .offset:         68
        .size:           12
        .value_kind:     by_value
      - .offset:         80
        .size:           4
        .value_kind:     by_value
      - .offset:         84
        .size:           4
        .value_kind:     by_value
      - .offset:         88
        .size:           4
        .value_kind:     by_value
      - .offset:         92
        .size:           12
        .value_kind:     by_value
      - .offset:         104
        .size:           4
        .value_kind:     by_value
      - .offset:         108
        .size:           4
        .value_kind:     by_value
      - .offset:         112
        .size:           4
        .value_kind:     by_value
      - .offset:         116
        .size:           12
        .value_kind:     by_value
      - .offset:         128
        .size:           4
        .value_kind:     by_value
      - .offset:         132
        .size:           4
        .value_kind:     by_value
      - .offset:         136
        .size:           4
        .value_kind:     by_value
      - .offset:         140
        .size:           4
        .value_kind:     by_value
    .group_segment_fixed_size: 0
    .kernarg_segment_align: 8
    .kernarg_segment_size: 144
    .language:       OpenCL C
    .language_version:
      - 2
      - 0
    .max_flat_workgroup_size: 32
    .name:           _ZL13mul_mat_vec_qIL9ggml_type11ELi3ELb0ELb0EEvPKvS2_PKi31ggml_cuda_mm_fusion_args_devicePfj15HIP_vector_typeIjLj3EEjjjS8_jjjS8_jjjj
    .private_segment_fixed_size: 0
    .sgpr_count:     30
    .sgpr_spill_count: 0
    .symbol:         _ZL13mul_mat_vec_qIL9ggml_type11ELi3ELb0ELb0EEvPKvS2_PKi31ggml_cuda_mm_fusion_args_devicePfj15HIP_vector_typeIjLj3EEjjjS8_jjjS8_jjjj.kd
    .uniform_work_group_size: 1
    .uses_dynamic_stack: false
    .vgpr_count:     80
    .vgpr_spill_count: 0
    .wavefront_size: 32
    .workgroup_processor_mode: 1
  - .args:
      - .address_space:  global
        .offset:         0
        .size:           8
        .value_kind:     global_buffer
      - .address_space:  global
        .offset:         8
        .size:           8
        .value_kind:     global_buffer
      - .address_space:  global
        .offset:         16
        .size:           8
        .value_kind:     global_buffer
      - .offset:         24
        .size:           32
        .value_kind:     by_value
      - .address_space:  global
        .offset:         56
        .size:           8
        .value_kind:     global_buffer
      - .offset:         64
        .size:           4
        .value_kind:     by_value
      - .offset:         68
        .size:           12
        .value_kind:     by_value
      - .offset:         80
        .size:           4
        .value_kind:     by_value
      - .offset:         84
        .size:           4
        .value_kind:     by_value
      - .offset:         88
        .size:           4
        .value_kind:     by_value
      - .offset:         92
        .size:           12
        .value_kind:     by_value
      - .offset:         104
        .size:           4
        .value_kind:     by_value
      - .offset:         108
        .size:           4
        .value_kind:     by_value
      - .offset:         112
        .size:           4
        .value_kind:     by_value
      - .offset:         116
        .size:           12
        .value_kind:     by_value
      - .offset:         128
        .size:           4
        .value_kind:     by_value
      - .offset:         132
        .size:           4
        .value_kind:     by_value
      - .offset:         136
        .size:           4
        .value_kind:     by_value
      - .offset:         140
        .size:           4
        .value_kind:     by_value
    .group_segment_fixed_size: 0
    .kernarg_segment_align: 8
    .kernarg_segment_size: 144
    .language:       OpenCL C
    .language_version:
      - 2
      - 0
    .max_flat_workgroup_size: 32
    .name:           _ZL13mul_mat_vec_qIL9ggml_type11ELi4ELb0ELb0EEvPKvS2_PKi31ggml_cuda_mm_fusion_args_devicePfj15HIP_vector_typeIjLj3EEjjjS8_jjjS8_jjjj
    .private_segment_fixed_size: 0
    .sgpr_count:     30
    .sgpr_spill_count: 0
    .symbol:         _ZL13mul_mat_vec_qIL9ggml_type11ELi4ELb0ELb0EEvPKvS2_PKi31ggml_cuda_mm_fusion_args_devicePfj15HIP_vector_typeIjLj3EEjjjS8_jjjS8_jjjj.kd
    .uniform_work_group_size: 1
    .uses_dynamic_stack: false
    .vgpr_count:     90
    .vgpr_spill_count: 0
    .wavefront_size: 32
    .workgroup_processor_mode: 1
  - .args:
      - .address_space:  global
        .offset:         0
        .size:           8
        .value_kind:     global_buffer
      - .address_space:  global
        .offset:         8
        .size:           8
        .value_kind:     global_buffer
      - .address_space:  global
        .offset:         16
        .size:           8
        .value_kind:     global_buffer
      - .offset:         24
        .size:           32
        .value_kind:     by_value
      - .address_space:  global
        .offset:         56
        .size:           8
        .value_kind:     global_buffer
      - .offset:         64
        .size:           4
        .value_kind:     by_value
      - .offset:         68
        .size:           12
        .value_kind:     by_value
      - .offset:         80
        .size:           4
        .value_kind:     by_value
      - .offset:         84
        .size:           4
        .value_kind:     by_value
      - .offset:         88
        .size:           4
        .value_kind:     by_value
      - .offset:         92
        .size:           12
        .value_kind:     by_value
      - .offset:         104
        .size:           4
        .value_kind:     by_value
      - .offset:         108
        .size:           4
        .value_kind:     by_value
      - .offset:         112
        .size:           4
        .value_kind:     by_value
      - .offset:         116
        .size:           12
        .value_kind:     by_value
      - .offset:         128
        .size:           4
        .value_kind:     by_value
      - .offset:         132
        .size:           4
        .value_kind:     by_value
      - .offset:         136
        .size:           4
        .value_kind:     by_value
      - .offset:         140
        .size:           4
        .value_kind:     by_value
    .group_segment_fixed_size: 0
    .kernarg_segment_align: 8
    .kernarg_segment_size: 144
    .language:       OpenCL C
    .language_version:
      - 2
      - 0
    .max_flat_workgroup_size: 32
    .name:           _ZL13mul_mat_vec_qIL9ggml_type11ELi5ELb0ELb0EEvPKvS2_PKi31ggml_cuda_mm_fusion_args_devicePfj15HIP_vector_typeIjLj3EEjjjS8_jjjS8_jjjj
    .private_segment_fixed_size: 0
    .sgpr_count:     30
    .sgpr_spill_count: 0
    .symbol:         _ZL13mul_mat_vec_qIL9ggml_type11ELi5ELb0ELb0EEvPKvS2_PKi31ggml_cuda_mm_fusion_args_devicePfj15HIP_vector_typeIjLj3EEjjjS8_jjjS8_jjjj.kd
    .uniform_work_group_size: 1
    .uses_dynamic_stack: false
    .vgpr_count:     93
    .vgpr_spill_count: 0
    .wavefront_size: 32
    .workgroup_processor_mode: 1
  - .args:
      - .address_space:  global
        .offset:         0
        .size:           8
        .value_kind:     global_buffer
      - .address_space:  global
        .offset:         8
        .size:           8
        .value_kind:     global_buffer
      - .address_space:  global
        .offset:         16
        .size:           8
        .value_kind:     global_buffer
      - .offset:         24
        .size:           32
        .value_kind:     by_value
      - .address_space:  global
        .offset:         56
        .size:           8
        .value_kind:     global_buffer
      - .offset:         64
        .size:           4
        .value_kind:     by_value
      - .offset:         68
        .size:           12
        .value_kind:     by_value
      - .offset:         80
        .size:           4
        .value_kind:     by_value
      - .offset:         84
        .size:           4
        .value_kind:     by_value
      - .offset:         88
        .size:           4
        .value_kind:     by_value
      - .offset:         92
        .size:           12
        .value_kind:     by_value
      - .offset:         104
        .size:           4
        .value_kind:     by_value
      - .offset:         108
        .size:           4
        .value_kind:     by_value
      - .offset:         112
        .size:           4
        .value_kind:     by_value
      - .offset:         116
        .size:           12
        .value_kind:     by_value
      - .offset:         128
        .size:           4
        .value_kind:     by_value
      - .offset:         132
        .size:           4
        .value_kind:     by_value
      - .offset:         136
        .size:           4
        .value_kind:     by_value
      - .offset:         140
        .size:           4
        .value_kind:     by_value
    .group_segment_fixed_size: 0
    .kernarg_segment_align: 8
    .kernarg_segment_size: 144
    .language:       OpenCL C
    .language_version:
      - 2
      - 0
    .max_flat_workgroup_size: 32
    .name:           _ZL13mul_mat_vec_qIL9ggml_type11ELi6ELb0ELb0EEvPKvS2_PKi31ggml_cuda_mm_fusion_args_devicePfj15HIP_vector_typeIjLj3EEjjjS8_jjjS8_jjjj
    .private_segment_fixed_size: 0
    .sgpr_count:     30
    .sgpr_spill_count: 0
    .symbol:         _ZL13mul_mat_vec_qIL9ggml_type11ELi6ELb0ELb0EEvPKvS2_PKi31ggml_cuda_mm_fusion_args_devicePfj15HIP_vector_typeIjLj3EEjjjS8_jjjS8_jjjj.kd
    .uniform_work_group_size: 1
    .uses_dynamic_stack: false
    .vgpr_count:     57
    .vgpr_spill_count: 0
    .wavefront_size: 32
    .workgroup_processor_mode: 1
  - .args:
      - .address_space:  global
        .offset:         0
        .size:           8
        .value_kind:     global_buffer
      - .address_space:  global
        .offset:         8
        .size:           8
        .value_kind:     global_buffer
      - .address_space:  global
        .offset:         16
        .size:           8
        .value_kind:     global_buffer
      - .offset:         24
        .size:           32
        .value_kind:     by_value
      - .address_space:  global
        .offset:         56
        .size:           8
        .value_kind:     global_buffer
      - .offset:         64
        .size:           4
        .value_kind:     by_value
      - .offset:         68
        .size:           12
        .value_kind:     by_value
      - .offset:         80
        .size:           4
        .value_kind:     by_value
      - .offset:         84
        .size:           4
        .value_kind:     by_value
      - .offset:         88
        .size:           4
        .value_kind:     by_value
      - .offset:         92
        .size:           12
        .value_kind:     by_value
      - .offset:         104
        .size:           4
        .value_kind:     by_value
      - .offset:         108
        .size:           4
        .value_kind:     by_value
      - .offset:         112
        .size:           4
        .value_kind:     by_value
      - .offset:         116
        .size:           12
        .value_kind:     by_value
      - .offset:         128
        .size:           4
        .value_kind:     by_value
      - .offset:         132
        .size:           4
        .value_kind:     by_value
      - .offset:         136
        .size:           4
        .value_kind:     by_value
      - .offset:         140
        .size:           4
        .value_kind:     by_value
    .group_segment_fixed_size: 0
    .kernarg_segment_align: 8
    .kernarg_segment_size: 144
    .language:       OpenCL C
    .language_version:
      - 2
      - 0
    .max_flat_workgroup_size: 32
    .name:           _ZL13mul_mat_vec_qIL9ggml_type11ELi7ELb0ELb0EEvPKvS2_PKi31ggml_cuda_mm_fusion_args_devicePfj15HIP_vector_typeIjLj3EEjjjS8_jjjS8_jjjj
    .private_segment_fixed_size: 0
    .sgpr_count:     30
    .sgpr_spill_count: 0
    .symbol:         _ZL13mul_mat_vec_qIL9ggml_type11ELi7ELb0ELb0EEvPKvS2_PKi31ggml_cuda_mm_fusion_args_devicePfj15HIP_vector_typeIjLj3EEjjjS8_jjjS8_jjjj.kd
    .uniform_work_group_size: 1
    .uses_dynamic_stack: false
    .vgpr_count:     54
    .vgpr_spill_count: 0
    .wavefront_size: 32
    .workgroup_processor_mode: 1
  - .args:
      - .address_space:  global
        .offset:         0
        .size:           8
        .value_kind:     global_buffer
      - .address_space:  global
        .offset:         8
        .size:           8
        .value_kind:     global_buffer
      - .address_space:  global
        .offset:         16
        .size:           8
        .value_kind:     global_buffer
      - .offset:         24
        .size:           32
        .value_kind:     by_value
      - .address_space:  global
        .offset:         56
        .size:           8
        .value_kind:     global_buffer
      - .offset:         64
        .size:           4
        .value_kind:     by_value
      - .offset:         68
        .size:           12
        .value_kind:     by_value
      - .offset:         80
        .size:           4
        .value_kind:     by_value
      - .offset:         84
        .size:           4
        .value_kind:     by_value
      - .offset:         88
        .size:           4
        .value_kind:     by_value
      - .offset:         92
        .size:           12
        .value_kind:     by_value
      - .offset:         104
        .size:           4
        .value_kind:     by_value
      - .offset:         108
        .size:           4
        .value_kind:     by_value
      - .offset:         112
        .size:           4
        .value_kind:     by_value
      - .offset:         116
        .size:           12
        .value_kind:     by_value
      - .offset:         128
        .size:           4
        .value_kind:     by_value
      - .offset:         132
        .size:           4
        .value_kind:     by_value
      - .offset:         136
        .size:           4
        .value_kind:     by_value
      - .offset:         140
        .size:           4
        .value_kind:     by_value
    .group_segment_fixed_size: 0
    .kernarg_segment_align: 8
    .kernarg_segment_size: 144
    .language:       OpenCL C
    .language_version:
      - 2
      - 0
    .max_flat_workgroup_size: 32
    .name:           _ZL13mul_mat_vec_qIL9ggml_type11ELi8ELb0ELb0EEvPKvS2_PKi31ggml_cuda_mm_fusion_args_devicePfj15HIP_vector_typeIjLj3EEjjjS8_jjjS8_jjjj
    .private_segment_fixed_size: 0
    .sgpr_count:     30
    .sgpr_spill_count: 0
    .symbol:         _ZL13mul_mat_vec_qIL9ggml_type11ELi8ELb0ELb0EEvPKvS2_PKi31ggml_cuda_mm_fusion_args_devicePfj15HIP_vector_typeIjLj3EEjjjS8_jjjS8_jjjj.kd
    .uniform_work_group_size: 1
    .uses_dynamic_stack: false
    .vgpr_count:     55
    .vgpr_spill_count: 0
    .wavefront_size: 32
    .workgroup_processor_mode: 1
  - .args:
      - .address_space:  global
        .offset:         0
        .size:           8
        .value_kind:     global_buffer
      - .address_space:  global
        .offset:         8
        .size:           8
        .value_kind:     global_buffer
      - .address_space:  global
        .offset:         16
        .size:           8
        .value_kind:     global_buffer
      - .address_space:  global
        .offset:         24
        .size:           8
        .value_kind:     global_buffer
      - .offset:         32
        .size:           4
        .value_kind:     by_value
      - .offset:         36
        .size:           12
        .value_kind:     by_value
      - .offset:         48
        .size:           4
        .value_kind:     by_value
      - .offset:         52
        .size:           4
        .value_kind:     by_value
      - .offset:         56
        .size:           4
        .value_kind:     by_value
      - .offset:         60
        .size:           4
        .value_kind:     by_value
      - .offset:         64
        .size:           4
        .value_kind:     by_value
      - .offset:         68
        .size:           4
        .value_kind:     by_value
      - .offset:         72
        .size:           4
        .value_kind:     by_value
      - .offset:         76
        .size:           4
        .value_kind:     by_value
      - .offset:         80
        .size:           4
        .value_kind:     by_value
    .group_segment_fixed_size: 0
    .kernarg_segment_align: 8
    .kernarg_segment_size: 84
    .language:       OpenCL C
    .language_version:
      - 2
      - 0
    .max_flat_workgroup_size: 128
    .name:           _ZL17mul_mat_vec_q_moeIL9ggml_type12ELi2EEvPKvS2_PKiPfj15HIP_vector_typeIjLj3EEjjjjjjjjj
    .private_segment_fixed_size: 0
    .sgpr_count:     26
    .sgpr_spill_count: 0
    .symbol:         _ZL17mul_mat_vec_q_moeIL9ggml_type12ELi2EEvPKvS2_PKiPfj15HIP_vector_typeIjLj3EEjjjjjjjjj.kd
    .uniform_work_group_size: 1
    .uses_dynamic_stack: false
    .vgpr_count:     39
    .vgpr_spill_count: 0
    .wavefront_size: 32
    .workgroup_processor_mode: 1
  - .args:
      - .address_space:  global
        .offset:         0
        .size:           8
        .value_kind:     global_buffer
      - .address_space:  global
        .offset:         8
        .size:           8
        .value_kind:     global_buffer
      - .address_space:  global
        .offset:         16
        .size:           8
        .value_kind:     global_buffer
      - .offset:         24
        .size:           32
        .value_kind:     by_value
      - .address_space:  global
        .offset:         56
        .size:           8
        .value_kind:     global_buffer
      - .offset:         64
        .size:           4
        .value_kind:     by_value
      - .offset:         68
        .size:           12
        .value_kind:     by_value
      - .offset:         80
        .size:           4
        .value_kind:     by_value
      - .offset:         84
        .size:           4
        .value_kind:     by_value
      - .offset:         88
        .size:           4
        .value_kind:     by_value
      - .offset:         92
        .size:           12
        .value_kind:     by_value
      - .offset:         104
        .size:           4
        .value_kind:     by_value
      - .offset:         108
        .size:           4
        .value_kind:     by_value
      - .offset:         112
        .size:           4
        .value_kind:     by_value
      - .offset:         116
        .size:           12
        .value_kind:     by_value
      - .offset:         128
        .size:           4
        .value_kind:     by_value
      - .offset:         132
        .size:           4
        .value_kind:     by_value
      - .offset:         136
        .size:           4
        .value_kind:     by_value
      - .offset:         140
        .size:           4
        .value_kind:     by_value
    .group_segment_fixed_size: 1792
    .kernarg_segment_align: 8
    .kernarg_segment_size: 144
    .language:       OpenCL C
    .language_version:
      - 2
      - 0
    .max_flat_workgroup_size: 256
    .name:           _ZL13mul_mat_vec_qIL9ggml_type12ELi1ELb1ELb1EEvPKvS2_PKi31ggml_cuda_mm_fusion_args_devicePfj15HIP_vector_typeIjLj3EEjjjS8_jjjS8_jjjj
    .private_segment_fixed_size: 0
    .sgpr_count:     40
    .sgpr_spill_count: 0
    .symbol:         _ZL13mul_mat_vec_qIL9ggml_type12ELi1ELb1ELb1EEvPKvS2_PKi31ggml_cuda_mm_fusion_args_devicePfj15HIP_vector_typeIjLj3EEjjjS8_jjjS8_jjjj.kd
    .uniform_work_group_size: 1
    .uses_dynamic_stack: false
    .vgpr_count:     35
    .vgpr_spill_count: 0
    .wavefront_size: 32
    .workgroup_processor_mode: 1
  - .args:
      - .address_space:  global
        .offset:         0
        .size:           8
        .value_kind:     global_buffer
      - .address_space:  global
        .offset:         8
        .size:           8
        .value_kind:     global_buffer
      - .address_space:  global
        .offset:         16
        .size:           8
        .value_kind:     global_buffer
      - .offset:         24
        .size:           32
        .value_kind:     by_value
      - .address_space:  global
        .offset:         56
        .size:           8
        .value_kind:     global_buffer
      - .offset:         64
        .size:           4
        .value_kind:     by_value
      - .offset:         68
        .size:           12
        .value_kind:     by_value
      - .offset:         80
        .size:           4
        .value_kind:     by_value
      - .offset:         84
        .size:           4
        .value_kind:     by_value
      - .offset:         88
        .size:           4
        .value_kind:     by_value
      - .offset:         92
        .size:           12
        .value_kind:     by_value
      - .offset:         104
        .size:           4
        .value_kind:     by_value
      - .offset:         108
        .size:           4
        .value_kind:     by_value
      - .offset:         112
        .size:           4
        .value_kind:     by_value
      - .offset:         116
        .size:           12
        .value_kind:     by_value
      - .offset:         128
        .size:           4
        .value_kind:     by_value
      - .offset:         132
        .size:           4
        .value_kind:     by_value
      - .offset:         136
        .size:           4
        .value_kind:     by_value
      - .offset:         140
        .size:           4
        .value_kind:     by_value
    .group_segment_fixed_size: 896
    .kernarg_segment_align: 8
    .kernarg_segment_size: 144
    .language:       OpenCL C
    .language_version:
      - 2
      - 0
    .max_flat_workgroup_size: 256
    .name:           _ZL13mul_mat_vec_qIL9ggml_type12ELi1ELb0ELb1EEvPKvS2_PKi31ggml_cuda_mm_fusion_args_devicePfj15HIP_vector_typeIjLj3EEjjjS8_jjjS8_jjjj
    .private_segment_fixed_size: 0
    .sgpr_count:     23
    .sgpr_spill_count: 0
    .symbol:         _ZL13mul_mat_vec_qIL9ggml_type12ELi1ELb0ELb1EEvPKvS2_PKi31ggml_cuda_mm_fusion_args_devicePfj15HIP_vector_typeIjLj3EEjjjS8_jjjS8_jjjj.kd
    .uniform_work_group_size: 1
    .uses_dynamic_stack: false
    .vgpr_count:     23
    .vgpr_spill_count: 0
    .wavefront_size: 32
    .workgroup_processor_mode: 1
  - .args:
      - .address_space:  global
        .offset:         0
        .size:           8
        .value_kind:     global_buffer
      - .address_space:  global
        .offset:         8
        .size:           8
        .value_kind:     global_buffer
      - .address_space:  global
        .offset:         16
        .size:           8
        .value_kind:     global_buffer
      - .offset:         24
        .size:           32
        .value_kind:     by_value
      - .address_space:  global
        .offset:         56
        .size:           8
        .value_kind:     global_buffer
      - .offset:         64
        .size:           4
        .value_kind:     by_value
      - .offset:         68
        .size:           12
        .value_kind:     by_value
      - .offset:         80
        .size:           4
        .value_kind:     by_value
      - .offset:         84
        .size:           4
        .value_kind:     by_value
      - .offset:         88
        .size:           4
        .value_kind:     by_value
      - .offset:         92
        .size:           12
        .value_kind:     by_value
      - .offset:         104
        .size:           4
        .value_kind:     by_value
      - .offset:         108
        .size:           4
        .value_kind:     by_value
      - .offset:         112
        .size:           4
        .value_kind:     by_value
      - .offset:         116
        .size:           12
        .value_kind:     by_value
      - .offset:         128
        .size:           4
        .value_kind:     by_value
      - .offset:         132
        .size:           4
        .value_kind:     by_value
      - .offset:         136
        .size:           4
        .value_kind:     by_value
      - .offset:         140
        .size:           4
        .value_kind:     by_value
    .group_segment_fixed_size: 1792
    .kernarg_segment_align: 8
    .kernarg_segment_size: 144
    .language:       OpenCL C
    .language_version:
      - 2
      - 0
    .max_flat_workgroup_size: 256
    .name:           _ZL13mul_mat_vec_qIL9ggml_type12ELi1ELb1ELb0EEvPKvS2_PKi31ggml_cuda_mm_fusion_args_devicePfj15HIP_vector_typeIjLj3EEjjjS8_jjjS8_jjjj
    .private_segment_fixed_size: 0
    .sgpr_count:     40
    .sgpr_spill_count: 0
    .symbol:         _ZL13mul_mat_vec_qIL9ggml_type12ELi1ELb1ELb0EEvPKvS2_PKi31ggml_cuda_mm_fusion_args_devicePfj15HIP_vector_typeIjLj3EEjjjS8_jjjS8_jjjj.kd
    .uniform_work_group_size: 1
    .uses_dynamic_stack: false
    .vgpr_count:     35
    .vgpr_spill_count: 0
    .wavefront_size: 32
    .workgroup_processor_mode: 1
  - .args:
      - .address_space:  global
        .offset:         0
        .size:           8
        .value_kind:     global_buffer
      - .address_space:  global
        .offset:         8
        .size:           8
        .value_kind:     global_buffer
      - .address_space:  global
        .offset:         16
        .size:           8
        .value_kind:     global_buffer
      - .offset:         24
        .size:           32
        .value_kind:     by_value
      - .address_space:  global
        .offset:         56
        .size:           8
        .value_kind:     global_buffer
      - .offset:         64
        .size:           4
        .value_kind:     by_value
      - .offset:         68
        .size:           12
        .value_kind:     by_value
      - .offset:         80
        .size:           4
        .value_kind:     by_value
      - .offset:         84
        .size:           4
        .value_kind:     by_value
      - .offset:         88
        .size:           4
        .value_kind:     by_value
      - .offset:         92
        .size:           12
        .value_kind:     by_value
      - .offset:         104
        .size:           4
        .value_kind:     by_value
      - .offset:         108
        .size:           4
        .value_kind:     by_value
      - .offset:         112
        .size:           4
        .value_kind:     by_value
      - .offset:         116
        .size:           12
        .value_kind:     by_value
      - .offset:         128
        .size:           4
        .value_kind:     by_value
      - .offset:         132
        .size:           4
        .value_kind:     by_value
      - .offset:         136
        .size:           4
        .value_kind:     by_value
      - .offset:         140
        .size:           4
        .value_kind:     by_value
    .group_segment_fixed_size: 896
    .kernarg_segment_align: 8
    .kernarg_segment_size: 144
    .language:       OpenCL C
    .language_version:
      - 2
      - 0
    .max_flat_workgroup_size: 256
    .name:           _ZL13mul_mat_vec_qIL9ggml_type12ELi1ELb0ELb0EEvPKvS2_PKi31ggml_cuda_mm_fusion_args_devicePfj15HIP_vector_typeIjLj3EEjjjS8_jjjS8_jjjj
    .private_segment_fixed_size: 0
    .sgpr_count:     23
    .sgpr_spill_count: 0
    .symbol:         _ZL13mul_mat_vec_qIL9ggml_type12ELi1ELb0ELb0EEvPKvS2_PKi31ggml_cuda_mm_fusion_args_devicePfj15HIP_vector_typeIjLj3EEjjjS8_jjjS8_jjjj.kd
    .uniform_work_group_size: 1
    .uses_dynamic_stack: false
    .vgpr_count:     23
    .vgpr_spill_count: 0
    .wavefront_size: 32
    .workgroup_processor_mode: 1
  - .args:
      - .address_space:  global
        .offset:         0
        .size:           8
        .value_kind:     global_buffer
      - .address_space:  global
        .offset:         8
        .size:           8
        .value_kind:     global_buffer
      - .address_space:  global
        .offset:         16
        .size:           8
        .value_kind:     global_buffer
      - .offset:         24
        .size:           32
        .value_kind:     by_value
      - .address_space:  global
        .offset:         56
        .size:           8
        .value_kind:     global_buffer
      - .offset:         64
        .size:           4
        .value_kind:     by_value
      - .offset:         68
        .size:           12
        .value_kind:     by_value
      - .offset:         80
        .size:           4
        .value_kind:     by_value
      - .offset:         84
        .size:           4
        .value_kind:     by_value
      - .offset:         88
        .size:           4
        .value_kind:     by_value
      - .offset:         92
        .size:           12
        .value_kind:     by_value
      - .offset:         104
        .size:           4
        .value_kind:     by_value
      - .offset:         108
        .size:           4
        .value_kind:     by_value
      - .offset:         112
        .size:           4
        .value_kind:     by_value
      - .offset:         116
        .size:           12
        .value_kind:     by_value
      - .offset:         128
        .size:           4
        .value_kind:     by_value
      - .offset:         132
        .size:           4
        .value_kind:     by_value
      - .offset:         136
        .size:           4
        .value_kind:     by_value
      - .offset:         140
        .size:           4
        .value_kind:     by_value
    .group_segment_fixed_size: 0
    .kernarg_segment_align: 8
    .kernarg_segment_size: 144
    .language:       OpenCL C
    .language_version:
      - 2
      - 0
    .max_flat_workgroup_size: 32
    .name:           _ZL13mul_mat_vec_qIL9ggml_type12ELi2ELb0ELb0EEvPKvS2_PKi31ggml_cuda_mm_fusion_args_devicePfj15HIP_vector_typeIjLj3EEjjjS8_jjjS8_jjjj
    .private_segment_fixed_size: 0
    .sgpr_count:     30
    .sgpr_spill_count: 0
    .symbol:         _ZL13mul_mat_vec_qIL9ggml_type12ELi2ELb0ELb0EEvPKvS2_PKi31ggml_cuda_mm_fusion_args_devicePfj15HIP_vector_typeIjLj3EEjjjS8_jjjS8_jjjj.kd
    .uniform_work_group_size: 1
    .uses_dynamic_stack: false
    .vgpr_count:     40
    .vgpr_spill_count: 0
    .wavefront_size: 32
    .workgroup_processor_mode: 1
  - .args:
      - .address_space:  global
        .offset:         0
        .size:           8
        .value_kind:     global_buffer
      - .address_space:  global
        .offset:         8
        .size:           8
        .value_kind:     global_buffer
      - .address_space:  global
        .offset:         16
        .size:           8
        .value_kind:     global_buffer
      - .offset:         24
        .size:           32
        .value_kind:     by_value
      - .address_space:  global
        .offset:         56
        .size:           8
        .value_kind:     global_buffer
      - .offset:         64
        .size:           4
        .value_kind:     by_value
      - .offset:         68
        .size:           12
        .value_kind:     by_value
      - .offset:         80
        .size:           4
        .value_kind:     by_value
      - .offset:         84
        .size:           4
        .value_kind:     by_value
      - .offset:         88
        .size:           4
        .value_kind:     by_value
      - .offset:         92
        .size:           12
        .value_kind:     by_value
      - .offset:         104
        .size:           4
        .value_kind:     by_value
      - .offset:         108
        .size:           4
        .value_kind:     by_value
      - .offset:         112
        .size:           4
        .value_kind:     by_value
      - .offset:         116
        .size:           12
        .value_kind:     by_value
      - .offset:         128
        .size:           4
        .value_kind:     by_value
      - .offset:         132
        .size:           4
        .value_kind:     by_value
      - .offset:         136
        .size:           4
        .value_kind:     by_value
      - .offset:         140
        .size:           4
        .value_kind:     by_value
    .group_segment_fixed_size: 0
    .kernarg_segment_align: 8
    .kernarg_segment_size: 144
    .language:       OpenCL C
    .language_version:
      - 2
      - 0
    .max_flat_workgroup_size: 32
    .name:           _ZL13mul_mat_vec_qIL9ggml_type12ELi3ELb0ELb0EEvPKvS2_PKi31ggml_cuda_mm_fusion_args_devicePfj15HIP_vector_typeIjLj3EEjjjS8_jjjS8_jjjj
    .private_segment_fixed_size: 0
    .sgpr_count:     30
    .sgpr_spill_count: 0
    .symbol:         _ZL13mul_mat_vec_qIL9ggml_type12ELi3ELb0ELb0EEvPKvS2_PKi31ggml_cuda_mm_fusion_args_devicePfj15HIP_vector_typeIjLj3EEjjjS8_jjjS8_jjjj.kd
    .uniform_work_group_size: 1
    .uses_dynamic_stack: false
    .vgpr_count:     48
    .vgpr_spill_count: 0
    .wavefront_size: 32
    .workgroup_processor_mode: 1
  - .args:
      - .address_space:  global
        .offset:         0
        .size:           8
        .value_kind:     global_buffer
      - .address_space:  global
        .offset:         8
        .size:           8
        .value_kind:     global_buffer
      - .address_space:  global
        .offset:         16
        .size:           8
        .value_kind:     global_buffer
      - .offset:         24
        .size:           32
        .value_kind:     by_value
      - .address_space:  global
        .offset:         56
        .size:           8
        .value_kind:     global_buffer
      - .offset:         64
        .size:           4
        .value_kind:     by_value
      - .offset:         68
        .size:           12
        .value_kind:     by_value
      - .offset:         80
        .size:           4
        .value_kind:     by_value
      - .offset:         84
        .size:           4
        .value_kind:     by_value
      - .offset:         88
        .size:           4
        .value_kind:     by_value
      - .offset:         92
        .size:           12
        .value_kind:     by_value
      - .offset:         104
        .size:           4
        .value_kind:     by_value
      - .offset:         108
        .size:           4
        .value_kind:     by_value
      - .offset:         112
        .size:           4
        .value_kind:     by_value
      - .offset:         116
        .size:           12
        .value_kind:     by_value
      - .offset:         128
        .size:           4
        .value_kind:     by_value
      - .offset:         132
        .size:           4
        .value_kind:     by_value
      - .offset:         136
        .size:           4
        .value_kind:     by_value
      - .offset:         140
        .size:           4
        .value_kind:     by_value
    .group_segment_fixed_size: 0
    .kernarg_segment_align: 8
    .kernarg_segment_size: 144
    .language:       OpenCL C
    .language_version:
      - 2
      - 0
    .max_flat_workgroup_size: 32
    .name:           _ZL13mul_mat_vec_qIL9ggml_type12ELi4ELb0ELb0EEvPKvS2_PKi31ggml_cuda_mm_fusion_args_devicePfj15HIP_vector_typeIjLj3EEjjjS8_jjjS8_jjjj
    .private_segment_fixed_size: 0
    .sgpr_count:     30
    .sgpr_spill_count: 0
    .symbol:         _ZL13mul_mat_vec_qIL9ggml_type12ELi4ELb0ELb0EEvPKvS2_PKi31ggml_cuda_mm_fusion_args_devicePfj15HIP_vector_typeIjLj3EEjjjS8_jjjS8_jjjj.kd
    .uniform_work_group_size: 1
    .uses_dynamic_stack: false
    .vgpr_count:     58
    .vgpr_spill_count: 0
    .wavefront_size: 32
    .workgroup_processor_mode: 1
  - .args:
      - .address_space:  global
        .offset:         0
        .size:           8
        .value_kind:     global_buffer
      - .address_space:  global
        .offset:         8
        .size:           8
        .value_kind:     global_buffer
      - .address_space:  global
        .offset:         16
        .size:           8
        .value_kind:     global_buffer
      - .offset:         24
        .size:           32
        .value_kind:     by_value
      - .address_space:  global
        .offset:         56
        .size:           8
        .value_kind:     global_buffer
      - .offset:         64
        .size:           4
        .value_kind:     by_value
      - .offset:         68
        .size:           12
        .value_kind:     by_value
      - .offset:         80
        .size:           4
        .value_kind:     by_value
      - .offset:         84
        .size:           4
        .value_kind:     by_value
      - .offset:         88
        .size:           4
        .value_kind:     by_value
      - .offset:         92
        .size:           12
        .value_kind:     by_value
      - .offset:         104
        .size:           4
        .value_kind:     by_value
      - .offset:         108
        .size:           4
        .value_kind:     by_value
      - .offset:         112
        .size:           4
        .value_kind:     by_value
      - .offset:         116
        .size:           12
        .value_kind:     by_value
      - .offset:         128
        .size:           4
        .value_kind:     by_value
      - .offset:         132
        .size:           4
        .value_kind:     by_value
      - .offset:         136
        .size:           4
        .value_kind:     by_value
      - .offset:         140
        .size:           4
        .value_kind:     by_value
    .group_segment_fixed_size: 0
    .kernarg_segment_align: 8
    .kernarg_segment_size: 144
    .language:       OpenCL C
    .language_version:
      - 2
      - 0
    .max_flat_workgroup_size: 32
    .name:           _ZL13mul_mat_vec_qIL9ggml_type12ELi5ELb0ELb0EEvPKvS2_PKi31ggml_cuda_mm_fusion_args_devicePfj15HIP_vector_typeIjLj3EEjjjS8_jjjS8_jjjj
    .private_segment_fixed_size: 0
    .sgpr_count:     30
    .sgpr_spill_count: 0
    .symbol:         _ZL13mul_mat_vec_qIL9ggml_type12ELi5ELb0ELb0EEvPKvS2_PKi31ggml_cuda_mm_fusion_args_devicePfj15HIP_vector_typeIjLj3EEjjjS8_jjjS8_jjjj.kd
    .uniform_work_group_size: 1
    .uses_dynamic_stack: false
    .vgpr_count:     68
    .vgpr_spill_count: 0
    .wavefront_size: 32
    .workgroup_processor_mode: 1
  - .args:
      - .address_space:  global
        .offset:         0
        .size:           8
        .value_kind:     global_buffer
      - .address_space:  global
        .offset:         8
        .size:           8
        .value_kind:     global_buffer
      - .address_space:  global
        .offset:         16
        .size:           8
        .value_kind:     global_buffer
      - .offset:         24
        .size:           32
        .value_kind:     by_value
      - .address_space:  global
        .offset:         56
        .size:           8
        .value_kind:     global_buffer
      - .offset:         64
        .size:           4
        .value_kind:     by_value
      - .offset:         68
        .size:           12
        .value_kind:     by_value
      - .offset:         80
        .size:           4
        .value_kind:     by_value
      - .offset:         84
        .size:           4
        .value_kind:     by_value
      - .offset:         88
        .size:           4
        .value_kind:     by_value
      - .offset:         92
        .size:           12
        .value_kind:     by_value
      - .offset:         104
        .size:           4
        .value_kind:     by_value
      - .offset:         108
        .size:           4
        .value_kind:     by_value
      - .offset:         112
        .size:           4
        .value_kind:     by_value
      - .offset:         116
        .size:           12
        .value_kind:     by_value
      - .offset:         128
        .size:           4
        .value_kind:     by_value
      - .offset:         132
        .size:           4
        .value_kind:     by_value
      - .offset:         136
        .size:           4
        .value_kind:     by_value
      - .offset:         140
        .size:           4
        .value_kind:     by_value
    .group_segment_fixed_size: 0
    .kernarg_segment_align: 8
    .kernarg_segment_size: 144
    .language:       OpenCL C
    .language_version:
      - 2
      - 0
    .max_flat_workgroup_size: 32
    .name:           _ZL13mul_mat_vec_qIL9ggml_type12ELi6ELb0ELb0EEvPKvS2_PKi31ggml_cuda_mm_fusion_args_devicePfj15HIP_vector_typeIjLj3EEjjjS8_jjjS8_jjjj
    .private_segment_fixed_size: 0
    .sgpr_count:     30
    .sgpr_spill_count: 0
    .symbol:         _ZL13mul_mat_vec_qIL9ggml_type12ELi6ELb0ELb0EEvPKvS2_PKi31ggml_cuda_mm_fusion_args_devicePfj15HIP_vector_typeIjLj3EEjjjS8_jjjS8_jjjj.kd
    .uniform_work_group_size: 1
    .uses_dynamic_stack: false
    .vgpr_count:     78
    .vgpr_spill_count: 0
    .wavefront_size: 32
    .workgroup_processor_mode: 1
  - .args:
      - .address_space:  global
        .offset:         0
        .size:           8
        .value_kind:     global_buffer
      - .address_space:  global
        .offset:         8
        .size:           8
        .value_kind:     global_buffer
      - .address_space:  global
        .offset:         16
        .size:           8
        .value_kind:     global_buffer
      - .offset:         24
        .size:           32
        .value_kind:     by_value
      - .address_space:  global
        .offset:         56
        .size:           8
        .value_kind:     global_buffer
      - .offset:         64
        .size:           4
        .value_kind:     by_value
      - .offset:         68
        .size:           12
        .value_kind:     by_value
      - .offset:         80
        .size:           4
        .value_kind:     by_value
      - .offset:         84
        .size:           4
        .value_kind:     by_value
      - .offset:         88
        .size:           4
        .value_kind:     by_value
      - .offset:         92
        .size:           12
        .value_kind:     by_value
      - .offset:         104
        .size:           4
        .value_kind:     by_value
      - .offset:         108
        .size:           4
        .value_kind:     by_value
      - .offset:         112
        .size:           4
        .value_kind:     by_value
      - .offset:         116
        .size:           12
        .value_kind:     by_value
      - .offset:         128
        .size:           4
        .value_kind:     by_value
      - .offset:         132
        .size:           4
        .value_kind:     by_value
      - .offset:         136
        .size:           4
        .value_kind:     by_value
      - .offset:         140
        .size:           4
        .value_kind:     by_value
    .group_segment_fixed_size: 0
    .kernarg_segment_align: 8
    .kernarg_segment_size: 144
    .language:       OpenCL C
    .language_version:
      - 2
      - 0
    .max_flat_workgroup_size: 32
    .name:           _ZL13mul_mat_vec_qIL9ggml_type12ELi7ELb0ELb0EEvPKvS2_PKi31ggml_cuda_mm_fusion_args_devicePfj15HIP_vector_typeIjLj3EEjjjS8_jjjS8_jjjj
    .private_segment_fixed_size: 0
    .sgpr_count:     30
    .sgpr_spill_count: 0
    .symbol:         _ZL13mul_mat_vec_qIL9ggml_type12ELi7ELb0ELb0EEvPKvS2_PKi31ggml_cuda_mm_fusion_args_devicePfj15HIP_vector_typeIjLj3EEjjjS8_jjjS8_jjjj.kd
    .uniform_work_group_size: 1
    .uses_dynamic_stack: false
    .vgpr_count:     83
    .vgpr_spill_count: 0
    .wavefront_size: 32
    .workgroup_processor_mode: 1
  - .args:
      - .address_space:  global
        .offset:         0
        .size:           8
        .value_kind:     global_buffer
      - .address_space:  global
        .offset:         8
        .size:           8
        .value_kind:     global_buffer
      - .address_space:  global
        .offset:         16
        .size:           8
        .value_kind:     global_buffer
      - .offset:         24
        .size:           32
        .value_kind:     by_value
      - .address_space:  global
        .offset:         56
        .size:           8
        .value_kind:     global_buffer
      - .offset:         64
        .size:           4
        .value_kind:     by_value
      - .offset:         68
        .size:           12
        .value_kind:     by_value
      - .offset:         80
        .size:           4
        .value_kind:     by_value
      - .offset:         84
        .size:           4
        .value_kind:     by_value
      - .offset:         88
        .size:           4
        .value_kind:     by_value
      - .offset:         92
        .size:           12
        .value_kind:     by_value
      - .offset:         104
        .size:           4
        .value_kind:     by_value
      - .offset:         108
        .size:           4
        .value_kind:     by_value
      - .offset:         112
        .size:           4
        .value_kind:     by_value
      - .offset:         116
        .size:           12
        .value_kind:     by_value
      - .offset:         128
        .size:           4
        .value_kind:     by_value
      - .offset:         132
        .size:           4
        .value_kind:     by_value
      - .offset:         136
        .size:           4
        .value_kind:     by_value
      - .offset:         140
        .size:           4
        .value_kind:     by_value
    .group_segment_fixed_size: 0
    .kernarg_segment_align: 8
    .kernarg_segment_size: 144
    .language:       OpenCL C
    .language_version:
      - 2
      - 0
    .max_flat_workgroup_size: 32
    .name:           _ZL13mul_mat_vec_qIL9ggml_type12ELi8ELb0ELb0EEvPKvS2_PKi31ggml_cuda_mm_fusion_args_devicePfj15HIP_vector_typeIjLj3EEjjjS8_jjjS8_jjjj
    .private_segment_fixed_size: 0
    .sgpr_count:     30
    .sgpr_spill_count: 0
    .symbol:         _ZL13mul_mat_vec_qIL9ggml_type12ELi8ELb0ELb0EEvPKvS2_PKi31ggml_cuda_mm_fusion_args_devicePfj15HIP_vector_typeIjLj3EEjjjS8_jjjS8_jjjj.kd
    .uniform_work_group_size: 1
    .uses_dynamic_stack: false
    .vgpr_count:     92
    .vgpr_spill_count: 0
    .wavefront_size: 32
    .workgroup_processor_mode: 1
  - .args:
      - .address_space:  global
        .offset:         0
        .size:           8
        .value_kind:     global_buffer
      - .address_space:  global
        .offset:         8
        .size:           8
        .value_kind:     global_buffer
      - .address_space:  global
        .offset:         16
        .size:           8
        .value_kind:     global_buffer
      - .address_space:  global
        .offset:         24
        .size:           8
        .value_kind:     global_buffer
      - .offset:         32
        .size:           4
        .value_kind:     by_value
      - .offset:         36
        .size:           12
        .value_kind:     by_value
      - .offset:         48
        .size:           4
        .value_kind:     by_value
      - .offset:         52
        .size:           4
        .value_kind:     by_value
      - .offset:         56
        .size:           4
        .value_kind:     by_value
      - .offset:         60
        .size:           4
        .value_kind:     by_value
      - .offset:         64
        .size:           4
        .value_kind:     by_value
      - .offset:         68
        .size:           4
        .value_kind:     by_value
      - .offset:         72
        .size:           4
        .value_kind:     by_value
      - .offset:         76
        .size:           4
        .value_kind:     by_value
      - .offset:         80
        .size:           4
        .value_kind:     by_value
    .group_segment_fixed_size: 0
    .kernarg_segment_align: 8
    .kernarg_segment_size: 84
    .language:       OpenCL C
    .language_version:
      - 2
      - 0
    .max_flat_workgroup_size: 160
    .name:           _ZL17mul_mat_vec_q_moeIL9ggml_type13ELi2EEvPKvS2_PKiPfj15HIP_vector_typeIjLj3EEjjjjjjjjj
    .private_segment_fixed_size: 0
    .sgpr_count:     26
    .sgpr_spill_count: 0
    .symbol:         _ZL17mul_mat_vec_q_moeIL9ggml_type13ELi2EEvPKvS2_PKiPfj15HIP_vector_typeIjLj3EEjjjjjjjjj.kd
    .uniform_work_group_size: 1
    .uses_dynamic_stack: false
    .vgpr_count:     48
    .vgpr_spill_count: 0
    .wavefront_size: 32
    .workgroup_processor_mode: 1
  - .args:
      - .address_space:  global
        .offset:         0
        .size:           8
        .value_kind:     global_buffer
      - .address_space:  global
        .offset:         8
        .size:           8
        .value_kind:     global_buffer
      - .address_space:  global
        .offset:         16
        .size:           8
        .value_kind:     global_buffer
      - .offset:         24
        .size:           32
        .value_kind:     by_value
      - .address_space:  global
        .offset:         56
        .size:           8
        .value_kind:     global_buffer
      - .offset:         64
        .size:           4
        .value_kind:     by_value
      - .offset:         68
        .size:           12
        .value_kind:     by_value
      - .offset:         80
        .size:           4
        .value_kind:     by_value
      - .offset:         84
        .size:           4
        .value_kind:     by_value
      - .offset:         88
        .size:           4
        .value_kind:     by_value
      - .offset:         92
        .size:           12
        .value_kind:     by_value
      - .offset:         104
        .size:           4
        .value_kind:     by_value
      - .offset:         108
        .size:           4
        .value_kind:     by_value
      - .offset:         112
        .size:           4
        .value_kind:     by_value
      - .offset:         116
        .size:           12
        .value_kind:     by_value
      - .offset:         128
        .size:           4
        .value_kind:     by_value
      - .offset:         132
        .size:           4
        .value_kind:     by_value
      - .offset:         136
        .size:           4
        .value_kind:     by_value
      - .offset:         140
        .size:           4
        .value_kind:     by_value
    .group_segment_fixed_size: 1792
    .kernarg_segment_align: 8
    .kernarg_segment_size: 144
    .language:       OpenCL C
    .language_version:
      - 2
      - 0
    .max_flat_workgroup_size: 256
    .name:           _ZL13mul_mat_vec_qIL9ggml_type13ELi1ELb1ELb1EEvPKvS2_PKi31ggml_cuda_mm_fusion_args_devicePfj15HIP_vector_typeIjLj3EEjjjS8_jjjS8_jjjj
    .private_segment_fixed_size: 0
    .sgpr_count:     40
    .sgpr_spill_count: 0
    .symbol:         _ZL13mul_mat_vec_qIL9ggml_type13ELi1ELb1ELb1EEvPKvS2_PKi31ggml_cuda_mm_fusion_args_devicePfj15HIP_vector_typeIjLj3EEjjjS8_jjjS8_jjjj.kd
    .uniform_work_group_size: 1
    .uses_dynamic_stack: false
    .vgpr_count:     40
    .vgpr_spill_count: 0
    .wavefront_size: 32
    .workgroup_processor_mode: 1
  - .args:
      - .address_space:  global
        .offset:         0
        .size:           8
        .value_kind:     global_buffer
      - .address_space:  global
        .offset:         8
        .size:           8
        .value_kind:     global_buffer
      - .address_space:  global
        .offset:         16
        .size:           8
        .value_kind:     global_buffer
      - .offset:         24
        .size:           32
        .value_kind:     by_value
      - .address_space:  global
        .offset:         56
        .size:           8
        .value_kind:     global_buffer
      - .offset:         64
        .size:           4
        .value_kind:     by_value
      - .offset:         68
        .size:           12
        .value_kind:     by_value
      - .offset:         80
        .size:           4
        .value_kind:     by_value
      - .offset:         84
        .size:           4
        .value_kind:     by_value
      - .offset:         88
        .size:           4
        .value_kind:     by_value
      - .offset:         92
        .size:           12
        .value_kind:     by_value
      - .offset:         104
        .size:           4
        .value_kind:     by_value
      - .offset:         108
        .size:           4
        .value_kind:     by_value
      - .offset:         112
        .size:           4
        .value_kind:     by_value
      - .offset:         116
        .size:           12
        .value_kind:     by_value
      - .offset:         128
        .size:           4
        .value_kind:     by_value
      - .offset:         132
        .size:           4
        .value_kind:     by_value
      - .offset:         136
        .size:           4
        .value_kind:     by_value
      - .offset:         140
        .size:           4
        .value_kind:     by_value
    .group_segment_fixed_size: 896
    .kernarg_segment_align: 8
    .kernarg_segment_size: 144
    .language:       OpenCL C
    .language_version:
      - 2
      - 0
    .max_flat_workgroup_size: 256
    .name:           _ZL13mul_mat_vec_qIL9ggml_type13ELi1ELb0ELb1EEvPKvS2_PKi31ggml_cuda_mm_fusion_args_devicePfj15HIP_vector_typeIjLj3EEjjjS8_jjjS8_jjjj
    .private_segment_fixed_size: 0
    .sgpr_count:     24
    .sgpr_spill_count: 0
    .symbol:         _ZL13mul_mat_vec_qIL9ggml_type13ELi1ELb0ELb1EEvPKvS2_PKi31ggml_cuda_mm_fusion_args_devicePfj15HIP_vector_typeIjLj3EEjjjS8_jjjS8_jjjj.kd
    .uniform_work_group_size: 1
    .uses_dynamic_stack: false
    .vgpr_count:     27
    .vgpr_spill_count: 0
    .wavefront_size: 32
    .workgroup_processor_mode: 1
  - .args:
      - .address_space:  global
        .offset:         0
        .size:           8
        .value_kind:     global_buffer
      - .address_space:  global
        .offset:         8
        .size:           8
        .value_kind:     global_buffer
      - .address_space:  global
        .offset:         16
        .size:           8
        .value_kind:     global_buffer
      - .offset:         24
        .size:           32
        .value_kind:     by_value
      - .address_space:  global
        .offset:         56
        .size:           8
        .value_kind:     global_buffer
      - .offset:         64
        .size:           4
        .value_kind:     by_value
      - .offset:         68
        .size:           12
        .value_kind:     by_value
      - .offset:         80
        .size:           4
        .value_kind:     by_value
      - .offset:         84
        .size:           4
        .value_kind:     by_value
      - .offset:         88
        .size:           4
        .value_kind:     by_value
      - .offset:         92
        .size:           12
        .value_kind:     by_value
      - .offset:         104
        .size:           4
        .value_kind:     by_value
      - .offset:         108
        .size:           4
        .value_kind:     by_value
      - .offset:         112
        .size:           4
        .value_kind:     by_value
      - .offset:         116
        .size:           12
        .value_kind:     by_value
      - .offset:         128
        .size:           4
        .value_kind:     by_value
      - .offset:         132
        .size:           4
        .value_kind:     by_value
      - .offset:         136
        .size:           4
        .value_kind:     by_value
      - .offset:         140
        .size:           4
        .value_kind:     by_value
    .group_segment_fixed_size: 1792
    .kernarg_segment_align: 8
    .kernarg_segment_size: 144
    .language:       OpenCL C
    .language_version:
      - 2
      - 0
    .max_flat_workgroup_size: 256
    .name:           _ZL13mul_mat_vec_qIL9ggml_type13ELi1ELb1ELb0EEvPKvS2_PKi31ggml_cuda_mm_fusion_args_devicePfj15HIP_vector_typeIjLj3EEjjjS8_jjjS8_jjjj
    .private_segment_fixed_size: 0
    .sgpr_count:     40
    .sgpr_spill_count: 0
    .symbol:         _ZL13mul_mat_vec_qIL9ggml_type13ELi1ELb1ELb0EEvPKvS2_PKi31ggml_cuda_mm_fusion_args_devicePfj15HIP_vector_typeIjLj3EEjjjS8_jjjS8_jjjj.kd
    .uniform_work_group_size: 1
    .uses_dynamic_stack: false
    .vgpr_count:     40
    .vgpr_spill_count: 0
    .wavefront_size: 32
    .workgroup_processor_mode: 1
  - .args:
      - .address_space:  global
        .offset:         0
        .size:           8
        .value_kind:     global_buffer
      - .address_space:  global
        .offset:         8
        .size:           8
        .value_kind:     global_buffer
      - .address_space:  global
        .offset:         16
        .size:           8
        .value_kind:     global_buffer
      - .offset:         24
        .size:           32
        .value_kind:     by_value
      - .address_space:  global
        .offset:         56
        .size:           8
        .value_kind:     global_buffer
      - .offset:         64
        .size:           4
        .value_kind:     by_value
      - .offset:         68
        .size:           12
        .value_kind:     by_value
      - .offset:         80
        .size:           4
        .value_kind:     by_value
      - .offset:         84
        .size:           4
        .value_kind:     by_value
      - .offset:         88
        .size:           4
        .value_kind:     by_value
      - .offset:         92
        .size:           12
        .value_kind:     by_value
      - .offset:         104
        .size:           4
        .value_kind:     by_value
      - .offset:         108
        .size:           4
        .value_kind:     by_value
      - .offset:         112
        .size:           4
        .value_kind:     by_value
      - .offset:         116
        .size:           12
        .value_kind:     by_value
      - .offset:         128
        .size:           4
        .value_kind:     by_value
      - .offset:         132
        .size:           4
        .value_kind:     by_value
      - .offset:         136
        .size:           4
        .value_kind:     by_value
      - .offset:         140
        .size:           4
        .value_kind:     by_value
    .group_segment_fixed_size: 896
    .kernarg_segment_align: 8
    .kernarg_segment_size: 144
    .language:       OpenCL C
    .language_version:
      - 2
      - 0
    .max_flat_workgroup_size: 256
    .name:           _ZL13mul_mat_vec_qIL9ggml_type13ELi1ELb0ELb0EEvPKvS2_PKi31ggml_cuda_mm_fusion_args_devicePfj15HIP_vector_typeIjLj3EEjjjS8_jjjS8_jjjj
    .private_segment_fixed_size: 0
    .sgpr_count:     24
    .sgpr_spill_count: 0
    .symbol:         _ZL13mul_mat_vec_qIL9ggml_type13ELi1ELb0ELb0EEvPKvS2_PKi31ggml_cuda_mm_fusion_args_devicePfj15HIP_vector_typeIjLj3EEjjjS8_jjjS8_jjjj.kd
    .uniform_work_group_size: 1
    .uses_dynamic_stack: false
    .vgpr_count:     27
    .vgpr_spill_count: 0
    .wavefront_size: 32
    .workgroup_processor_mode: 1
  - .args:
      - .address_space:  global
        .offset:         0
        .size:           8
        .value_kind:     global_buffer
      - .address_space:  global
        .offset:         8
        .size:           8
        .value_kind:     global_buffer
      - .address_space:  global
        .offset:         16
        .size:           8
        .value_kind:     global_buffer
      - .offset:         24
        .size:           32
        .value_kind:     by_value
      - .address_space:  global
        .offset:         56
        .size:           8
        .value_kind:     global_buffer
      - .offset:         64
        .size:           4
        .value_kind:     by_value
      - .offset:         68
        .size:           12
        .value_kind:     by_value
      - .offset:         80
        .size:           4
        .value_kind:     by_value
      - .offset:         84
        .size:           4
        .value_kind:     by_value
      - .offset:         88
        .size:           4
        .value_kind:     by_value
      - .offset:         92
        .size:           12
        .value_kind:     by_value
      - .offset:         104
        .size:           4
        .value_kind:     by_value
      - .offset:         108
        .size:           4
        .value_kind:     by_value
      - .offset:         112
        .size:           4
        .value_kind:     by_value
      - .offset:         116
        .size:           12
        .value_kind:     by_value
      - .offset:         128
        .size:           4
        .value_kind:     by_value
      - .offset:         132
        .size:           4
        .value_kind:     by_value
      - .offset:         136
        .size:           4
        .value_kind:     by_value
      - .offset:         140
        .size:           4
        .value_kind:     by_value
    .group_segment_fixed_size: 0
    .kernarg_segment_align: 8
    .kernarg_segment_size: 144
    .language:       OpenCL C
    .language_version:
      - 2
      - 0
    .max_flat_workgroup_size: 32
    .name:           _ZL13mul_mat_vec_qIL9ggml_type13ELi2ELb0ELb0EEvPKvS2_PKi31ggml_cuda_mm_fusion_args_devicePfj15HIP_vector_typeIjLj3EEjjjS8_jjjS8_jjjj
    .private_segment_fixed_size: 0
    .sgpr_count:     30
    .sgpr_spill_count: 0
    .symbol:         _ZL13mul_mat_vec_qIL9ggml_type13ELi2ELb0ELb0EEvPKvS2_PKi31ggml_cuda_mm_fusion_args_devicePfj15HIP_vector_typeIjLj3EEjjjS8_jjjS8_jjjj.kd
    .uniform_work_group_size: 1
    .uses_dynamic_stack: false
    .vgpr_count:     44
    .vgpr_spill_count: 0
    .wavefront_size: 32
    .workgroup_processor_mode: 1
  - .args:
      - .address_space:  global
        .offset:         0
        .size:           8
        .value_kind:     global_buffer
      - .address_space:  global
        .offset:         8
        .size:           8
        .value_kind:     global_buffer
      - .address_space:  global
        .offset:         16
        .size:           8
        .value_kind:     global_buffer
      - .offset:         24
        .size:           32
        .value_kind:     by_value
      - .address_space:  global
        .offset:         56
        .size:           8
        .value_kind:     global_buffer
      - .offset:         64
        .size:           4
        .value_kind:     by_value
      - .offset:         68
        .size:           12
        .value_kind:     by_value
      - .offset:         80
        .size:           4
        .value_kind:     by_value
      - .offset:         84
        .size:           4
        .value_kind:     by_value
      - .offset:         88
        .size:           4
        .value_kind:     by_value
      - .offset:         92
        .size:           12
        .value_kind:     by_value
      - .offset:         104
        .size:           4
        .value_kind:     by_value
      - .offset:         108
        .size:           4
        .value_kind:     by_value
      - .offset:         112
        .size:           4
        .value_kind:     by_value
      - .offset:         116
        .size:           12
        .value_kind:     by_value
      - .offset:         128
        .size:           4
        .value_kind:     by_value
      - .offset:         132
        .size:           4
        .value_kind:     by_value
      - .offset:         136
        .size:           4
        .value_kind:     by_value
      - .offset:         140
        .size:           4
        .value_kind:     by_value
    .group_segment_fixed_size: 0
    .kernarg_segment_align: 8
    .kernarg_segment_size: 144
    .language:       OpenCL C
    .language_version:
      - 2
      - 0
    .max_flat_workgroup_size: 32
    .name:           _ZL13mul_mat_vec_qIL9ggml_type13ELi3ELb0ELb0EEvPKvS2_PKi31ggml_cuda_mm_fusion_args_devicePfj15HIP_vector_typeIjLj3EEjjjS8_jjjS8_jjjj
    .private_segment_fixed_size: 0
    .sgpr_count:     30
    .sgpr_spill_count: 0
    .symbol:         _ZL13mul_mat_vec_qIL9ggml_type13ELi3ELb0ELb0EEvPKvS2_PKi31ggml_cuda_mm_fusion_args_devicePfj15HIP_vector_typeIjLj3EEjjjS8_jjjS8_jjjj.kd
    .uniform_work_group_size: 1
    .uses_dynamic_stack: false
    .vgpr_count:     51
    .vgpr_spill_count: 0
    .wavefront_size: 32
    .workgroup_processor_mode: 1
  - .args:
      - .address_space:  global
        .offset:         0
        .size:           8
        .value_kind:     global_buffer
      - .address_space:  global
        .offset:         8
        .size:           8
        .value_kind:     global_buffer
      - .address_space:  global
        .offset:         16
        .size:           8
        .value_kind:     global_buffer
      - .offset:         24
        .size:           32
        .value_kind:     by_value
      - .address_space:  global
        .offset:         56
        .size:           8
        .value_kind:     global_buffer
      - .offset:         64
        .size:           4
        .value_kind:     by_value
      - .offset:         68
        .size:           12
        .value_kind:     by_value
      - .offset:         80
        .size:           4
        .value_kind:     by_value
      - .offset:         84
        .size:           4
        .value_kind:     by_value
      - .offset:         88
        .size:           4
        .value_kind:     by_value
      - .offset:         92
        .size:           12
        .value_kind:     by_value
      - .offset:         104
        .size:           4
        .value_kind:     by_value
      - .offset:         108
        .size:           4
        .value_kind:     by_value
      - .offset:         112
        .size:           4
        .value_kind:     by_value
      - .offset:         116
        .size:           12
        .value_kind:     by_value
      - .offset:         128
        .size:           4
        .value_kind:     by_value
      - .offset:         132
        .size:           4
        .value_kind:     by_value
      - .offset:         136
        .size:           4
        .value_kind:     by_value
      - .offset:         140
        .size:           4
        .value_kind:     by_value
    .group_segment_fixed_size: 0
    .kernarg_segment_align: 8
    .kernarg_segment_size: 144
    .language:       OpenCL C
    .language_version:
      - 2
      - 0
    .max_flat_workgroup_size: 32
    .name:           _ZL13mul_mat_vec_qIL9ggml_type13ELi4ELb0ELb0EEvPKvS2_PKi31ggml_cuda_mm_fusion_args_devicePfj15HIP_vector_typeIjLj3EEjjjS8_jjjS8_jjjj
    .private_segment_fixed_size: 0
    .sgpr_count:     30
    .sgpr_spill_count: 0
    .symbol:         _ZL13mul_mat_vec_qIL9ggml_type13ELi4ELb0ELb0EEvPKvS2_PKi31ggml_cuda_mm_fusion_args_devicePfj15HIP_vector_typeIjLj3EEjjjS8_jjjS8_jjjj.kd
    .uniform_work_group_size: 1
    .uses_dynamic_stack: false
    .vgpr_count:     61
    .vgpr_spill_count: 0
    .wavefront_size: 32
    .workgroup_processor_mode: 1
  - .args:
      - .address_space:  global
        .offset:         0
        .size:           8
        .value_kind:     global_buffer
      - .address_space:  global
        .offset:         8
        .size:           8
        .value_kind:     global_buffer
      - .address_space:  global
        .offset:         16
        .size:           8
        .value_kind:     global_buffer
      - .offset:         24
        .size:           32
        .value_kind:     by_value
      - .address_space:  global
        .offset:         56
        .size:           8
        .value_kind:     global_buffer
      - .offset:         64
        .size:           4
        .value_kind:     by_value
      - .offset:         68
        .size:           12
        .value_kind:     by_value
      - .offset:         80
        .size:           4
        .value_kind:     by_value
      - .offset:         84
        .size:           4
        .value_kind:     by_value
      - .offset:         88
        .size:           4
        .value_kind:     by_value
      - .offset:         92
        .size:           12
        .value_kind:     by_value
      - .offset:         104
        .size:           4
        .value_kind:     by_value
      - .offset:         108
        .size:           4
        .value_kind:     by_value
      - .offset:         112
        .size:           4
        .value_kind:     by_value
      - .offset:         116
        .size:           12
        .value_kind:     by_value
      - .offset:         128
        .size:           4
        .value_kind:     by_value
      - .offset:         132
        .size:           4
        .value_kind:     by_value
      - .offset:         136
        .size:           4
        .value_kind:     by_value
      - .offset:         140
        .size:           4
        .value_kind:     by_value
    .group_segment_fixed_size: 0
    .kernarg_segment_align: 8
    .kernarg_segment_size: 144
    .language:       OpenCL C
    .language_version:
      - 2
      - 0
    .max_flat_workgroup_size: 32
    .name:           _ZL13mul_mat_vec_qIL9ggml_type13ELi5ELb0ELb0EEvPKvS2_PKi31ggml_cuda_mm_fusion_args_devicePfj15HIP_vector_typeIjLj3EEjjjS8_jjjS8_jjjj
    .private_segment_fixed_size: 0
    .sgpr_count:     30
    .sgpr_spill_count: 0
    .symbol:         _ZL13mul_mat_vec_qIL9ggml_type13ELi5ELb0ELb0EEvPKvS2_PKi31ggml_cuda_mm_fusion_args_devicePfj15HIP_vector_typeIjLj3EEjjjS8_jjjS8_jjjj.kd
    .uniform_work_group_size: 1
    .uses_dynamic_stack: false
    .vgpr_count:     71
    .vgpr_spill_count: 0
    .wavefront_size: 32
    .workgroup_processor_mode: 1
  - .args:
      - .address_space:  global
        .offset:         0
        .size:           8
        .value_kind:     global_buffer
      - .address_space:  global
        .offset:         8
        .size:           8
        .value_kind:     global_buffer
      - .address_space:  global
        .offset:         16
        .size:           8
        .value_kind:     global_buffer
      - .offset:         24
        .size:           32
        .value_kind:     by_value
      - .address_space:  global
        .offset:         56
        .size:           8
        .value_kind:     global_buffer
      - .offset:         64
        .size:           4
        .value_kind:     by_value
      - .offset:         68
        .size:           12
        .value_kind:     by_value
      - .offset:         80
        .size:           4
        .value_kind:     by_value
      - .offset:         84
        .size:           4
        .value_kind:     by_value
      - .offset:         88
        .size:           4
        .value_kind:     by_value
      - .offset:         92
        .size:           12
        .value_kind:     by_value
      - .offset:         104
        .size:           4
        .value_kind:     by_value
      - .offset:         108
        .size:           4
        .value_kind:     by_value
      - .offset:         112
        .size:           4
        .value_kind:     by_value
      - .offset:         116
        .size:           12
        .value_kind:     by_value
      - .offset:         128
        .size:           4
        .value_kind:     by_value
      - .offset:         132
        .size:           4
        .value_kind:     by_value
      - .offset:         136
        .size:           4
        .value_kind:     by_value
      - .offset:         140
        .size:           4
        .value_kind:     by_value
    .group_segment_fixed_size: 0
    .kernarg_segment_align: 8
    .kernarg_segment_size: 144
    .language:       OpenCL C
    .language_version:
      - 2
      - 0
    .max_flat_workgroup_size: 32
    .name:           _ZL13mul_mat_vec_qIL9ggml_type13ELi6ELb0ELb0EEvPKvS2_PKi31ggml_cuda_mm_fusion_args_devicePfj15HIP_vector_typeIjLj3EEjjjS8_jjjS8_jjjj
    .private_segment_fixed_size: 0
    .sgpr_count:     30
    .sgpr_spill_count: 0
    .symbol:         _ZL13mul_mat_vec_qIL9ggml_type13ELi6ELb0ELb0EEvPKvS2_PKi31ggml_cuda_mm_fusion_args_devicePfj15HIP_vector_typeIjLj3EEjjjS8_jjjS8_jjjj.kd
    .uniform_work_group_size: 1
    .uses_dynamic_stack: false
    .vgpr_count:     81
    .vgpr_spill_count: 0
    .wavefront_size: 32
    .workgroup_processor_mode: 1
  - .args:
      - .address_space:  global
        .offset:         0
        .size:           8
        .value_kind:     global_buffer
      - .address_space:  global
        .offset:         8
        .size:           8
        .value_kind:     global_buffer
      - .address_space:  global
        .offset:         16
        .size:           8
        .value_kind:     global_buffer
      - .offset:         24
        .size:           32
        .value_kind:     by_value
      - .address_space:  global
        .offset:         56
        .size:           8
        .value_kind:     global_buffer
      - .offset:         64
        .size:           4
        .value_kind:     by_value
      - .offset:         68
        .size:           12
        .value_kind:     by_value
      - .offset:         80
        .size:           4
        .value_kind:     by_value
      - .offset:         84
        .size:           4
        .value_kind:     by_value
      - .offset:         88
        .size:           4
        .value_kind:     by_value
      - .offset:         92
        .size:           12
        .value_kind:     by_value
      - .offset:         104
        .size:           4
        .value_kind:     by_value
      - .offset:         108
        .size:           4
        .value_kind:     by_value
      - .offset:         112
        .size:           4
        .value_kind:     by_value
      - .offset:         116
        .size:           12
        .value_kind:     by_value
      - .offset:         128
        .size:           4
        .value_kind:     by_value
      - .offset:         132
        .size:           4
        .value_kind:     by_value
      - .offset:         136
        .size:           4
        .value_kind:     by_value
      - .offset:         140
        .size:           4
        .value_kind:     by_value
    .group_segment_fixed_size: 0
    .kernarg_segment_align: 8
    .kernarg_segment_size: 144
    .language:       OpenCL C
    .language_version:
      - 2
      - 0
    .max_flat_workgroup_size: 32
    .name:           _ZL13mul_mat_vec_qIL9ggml_type13ELi7ELb0ELb0EEvPKvS2_PKi31ggml_cuda_mm_fusion_args_devicePfj15HIP_vector_typeIjLj3EEjjjS8_jjjS8_jjjj
    .private_segment_fixed_size: 0
    .sgpr_count:     30
    .sgpr_spill_count: 0
    .symbol:         _ZL13mul_mat_vec_qIL9ggml_type13ELi7ELb0ELb0EEvPKvS2_PKi31ggml_cuda_mm_fusion_args_devicePfj15HIP_vector_typeIjLj3EEjjjS8_jjjS8_jjjj.kd
    .uniform_work_group_size: 1
    .uses_dynamic_stack: false
    .vgpr_count:     86
    .vgpr_spill_count: 0
    .wavefront_size: 32
    .workgroup_processor_mode: 1
  - .args:
      - .address_space:  global
        .offset:         0
        .size:           8
        .value_kind:     global_buffer
      - .address_space:  global
        .offset:         8
        .size:           8
        .value_kind:     global_buffer
      - .address_space:  global
        .offset:         16
        .size:           8
        .value_kind:     global_buffer
      - .offset:         24
        .size:           32
        .value_kind:     by_value
      - .address_space:  global
        .offset:         56
        .size:           8
        .value_kind:     global_buffer
      - .offset:         64
        .size:           4
        .value_kind:     by_value
      - .offset:         68
        .size:           12
        .value_kind:     by_value
      - .offset:         80
        .size:           4
        .value_kind:     by_value
      - .offset:         84
        .size:           4
        .value_kind:     by_value
      - .offset:         88
        .size:           4
        .value_kind:     by_value
      - .offset:         92
        .size:           12
        .value_kind:     by_value
      - .offset:         104
        .size:           4
        .value_kind:     by_value
      - .offset:         108
        .size:           4
        .value_kind:     by_value
      - .offset:         112
        .size:           4
        .value_kind:     by_value
      - .offset:         116
        .size:           12
        .value_kind:     by_value
      - .offset:         128
        .size:           4
        .value_kind:     by_value
      - .offset:         132
        .size:           4
        .value_kind:     by_value
      - .offset:         136
        .size:           4
        .value_kind:     by_value
      - .offset:         140
        .size:           4
        .value_kind:     by_value
    .group_segment_fixed_size: 0
    .kernarg_segment_align: 8
    .kernarg_segment_size: 144
    .language:       OpenCL C
    .language_version:
      - 2
      - 0
    .max_flat_workgroup_size: 32
    .name:           _ZL13mul_mat_vec_qIL9ggml_type13ELi8ELb0ELb0EEvPKvS2_PKi31ggml_cuda_mm_fusion_args_devicePfj15HIP_vector_typeIjLj3EEjjjS8_jjjS8_jjjj
    .private_segment_fixed_size: 0
    .sgpr_count:     30
    .sgpr_spill_count: 0
    .symbol:         _ZL13mul_mat_vec_qIL9ggml_type13ELi8ELb0ELb0EEvPKvS2_PKi31ggml_cuda_mm_fusion_args_devicePfj15HIP_vector_typeIjLj3EEjjjS8_jjjS8_jjjj.kd
    .uniform_work_group_size: 1
    .uses_dynamic_stack: false
    .vgpr_count:     95
    .vgpr_spill_count: 0
    .wavefront_size: 32
    .workgroup_processor_mode: 1
  - .args:
      - .address_space:  global
        .offset:         0
        .size:           8
        .value_kind:     global_buffer
      - .address_space:  global
        .offset:         8
        .size:           8
        .value_kind:     global_buffer
      - .address_space:  global
        .offset:         16
        .size:           8
        .value_kind:     global_buffer
      - .address_space:  global
        .offset:         24
        .size:           8
        .value_kind:     global_buffer
      - .offset:         32
        .size:           4
        .value_kind:     by_value
      - .offset:         36
        .size:           12
        .value_kind:     by_value
      - .offset:         48
        .size:           4
        .value_kind:     by_value
      - .offset:         52
        .size:           4
        .value_kind:     by_value
      - .offset:         56
        .size:           4
        .value_kind:     by_value
      - .offset:         60
        .size:           4
        .value_kind:     by_value
      - .offset:         64
        .size:           4
        .value_kind:     by_value
      - .offset:         68
        .size:           4
        .value_kind:     by_value
      - .offset:         72
        .size:           4
        .value_kind:     by_value
      - .offset:         76
        .size:           4
        .value_kind:     by_value
      - .offset:         80
        .size:           4
        .value_kind:     by_value
    .group_segment_fixed_size: 0
    .kernarg_segment_align: 8
    .kernarg_segment_size: 84
    .language:       OpenCL C
    .language_version:
      - 2
      - 0
    .max_flat_workgroup_size: 160
    .name:           _ZL17mul_mat_vec_q_moeIL9ggml_type14ELi2EEvPKvS2_PKiPfj15HIP_vector_typeIjLj3EEjjjjjjjjj
    .private_segment_fixed_size: 0
    .sgpr_count:     26
    .sgpr_spill_count: 0
    .symbol:         _ZL17mul_mat_vec_q_moeIL9ggml_type14ELi2EEvPKvS2_PKiPfj15HIP_vector_typeIjLj3EEjjjjjjjjj.kd
    .uniform_work_group_size: 1
    .uses_dynamic_stack: false
    .vgpr_count:     40
    .vgpr_spill_count: 0
    .wavefront_size: 32
    .workgroup_processor_mode: 1
  - .args:
      - .address_space:  global
        .offset:         0
        .size:           8
        .value_kind:     global_buffer
      - .address_space:  global
        .offset:         8
        .size:           8
        .value_kind:     global_buffer
      - .address_space:  global
        .offset:         16
        .size:           8
        .value_kind:     global_buffer
      - .offset:         24
        .size:           32
        .value_kind:     by_value
      - .address_space:  global
        .offset:         56
        .size:           8
        .value_kind:     global_buffer
      - .offset:         64
        .size:           4
        .value_kind:     by_value
      - .offset:         68
        .size:           12
        .value_kind:     by_value
      - .offset:         80
        .size:           4
        .value_kind:     by_value
      - .offset:         84
        .size:           4
        .value_kind:     by_value
      - .offset:         88
        .size:           4
        .value_kind:     by_value
      - .offset:         92
        .size:           12
        .value_kind:     by_value
      - .offset:         104
        .size:           4
        .value_kind:     by_value
      - .offset:         108
        .size:           4
        .value_kind:     by_value
      - .offset:         112
        .size:           4
        .value_kind:     by_value
      - .offset:         116
        .size:           12
        .value_kind:     by_value
      - .offset:         128
        .size:           4
        .value_kind:     by_value
      - .offset:         132
        .size:           4
        .value_kind:     by_value
      - .offset:         136
        .size:           4
        .value_kind:     by_value
      - .offset:         140
        .size:           4
        .value_kind:     by_value
    .group_segment_fixed_size: 1792
    .kernarg_segment_align: 8
    .kernarg_segment_size: 144
    .language:       OpenCL C
    .language_version:
      - 2
      - 0
    .max_flat_workgroup_size: 256
    .name:           _ZL13mul_mat_vec_qIL9ggml_type14ELi1ELb1ELb1EEvPKvS2_PKi31ggml_cuda_mm_fusion_args_devicePfj15HIP_vector_typeIjLj3EEjjjS8_jjjS8_jjjj
    .private_segment_fixed_size: 0
    .sgpr_count:     40
    .sgpr_spill_count: 0
    .symbol:         _ZL13mul_mat_vec_qIL9ggml_type14ELi1ELb1ELb1EEvPKvS2_PKi31ggml_cuda_mm_fusion_args_devicePfj15HIP_vector_typeIjLj3EEjjjS8_jjjS8_jjjj.kd
    .uniform_work_group_size: 1
    .uses_dynamic_stack: false
    .vgpr_count:     36
    .vgpr_spill_count: 0
    .wavefront_size: 32
    .workgroup_processor_mode: 1
  - .args:
      - .address_space:  global
        .offset:         0
        .size:           8
        .value_kind:     global_buffer
      - .address_space:  global
        .offset:         8
        .size:           8
        .value_kind:     global_buffer
      - .address_space:  global
        .offset:         16
        .size:           8
        .value_kind:     global_buffer
      - .offset:         24
        .size:           32
        .value_kind:     by_value
      - .address_space:  global
        .offset:         56
        .size:           8
        .value_kind:     global_buffer
      - .offset:         64
        .size:           4
        .value_kind:     by_value
      - .offset:         68
        .size:           12
        .value_kind:     by_value
      - .offset:         80
        .size:           4
        .value_kind:     by_value
      - .offset:         84
        .size:           4
        .value_kind:     by_value
      - .offset:         88
        .size:           4
        .value_kind:     by_value
      - .offset:         92
        .size:           12
        .value_kind:     by_value
      - .offset:         104
        .size:           4
        .value_kind:     by_value
      - .offset:         108
        .size:           4
        .value_kind:     by_value
      - .offset:         112
        .size:           4
        .value_kind:     by_value
      - .offset:         116
        .size:           12
        .value_kind:     by_value
      - .offset:         128
        .size:           4
        .value_kind:     by_value
      - .offset:         132
        .size:           4
        .value_kind:     by_value
      - .offset:         136
        .size:           4
        .value_kind:     by_value
      - .offset:         140
        .size:           4
        .value_kind:     by_value
    .group_segment_fixed_size: 896
    .kernarg_segment_align: 8
    .kernarg_segment_size: 144
    .language:       OpenCL C
    .language_version:
      - 2
      - 0
    .max_flat_workgroup_size: 256
    .name:           _ZL13mul_mat_vec_qIL9ggml_type14ELi1ELb0ELb1EEvPKvS2_PKi31ggml_cuda_mm_fusion_args_devicePfj15HIP_vector_typeIjLj3EEjjjS8_jjjS8_jjjj
    .private_segment_fixed_size: 0
    .sgpr_count:     26
    .sgpr_spill_count: 0
    .symbol:         _ZL13mul_mat_vec_qIL9ggml_type14ELi1ELb0ELb1EEvPKvS2_PKi31ggml_cuda_mm_fusion_args_devicePfj15HIP_vector_typeIjLj3EEjjjS8_jjjS8_jjjj.kd
    .uniform_work_group_size: 1
    .uses_dynamic_stack: false
    .vgpr_count:     26
    .vgpr_spill_count: 0
    .wavefront_size: 32
    .workgroup_processor_mode: 1
  - .args:
      - .address_space:  global
        .offset:         0
        .size:           8
        .value_kind:     global_buffer
      - .address_space:  global
        .offset:         8
        .size:           8
        .value_kind:     global_buffer
      - .address_space:  global
        .offset:         16
        .size:           8
        .value_kind:     global_buffer
      - .offset:         24
        .size:           32
        .value_kind:     by_value
      - .address_space:  global
        .offset:         56
        .size:           8
        .value_kind:     global_buffer
      - .offset:         64
        .size:           4
        .value_kind:     by_value
      - .offset:         68
        .size:           12
        .value_kind:     by_value
      - .offset:         80
        .size:           4
        .value_kind:     by_value
      - .offset:         84
        .size:           4
        .value_kind:     by_value
      - .offset:         88
        .size:           4
        .value_kind:     by_value
      - .offset:         92
        .size:           12
        .value_kind:     by_value
      - .offset:         104
        .size:           4
        .value_kind:     by_value
      - .offset:         108
        .size:           4
        .value_kind:     by_value
      - .offset:         112
        .size:           4
        .value_kind:     by_value
      - .offset:         116
        .size:           12
        .value_kind:     by_value
      - .offset:         128
        .size:           4
        .value_kind:     by_value
      - .offset:         132
        .size:           4
        .value_kind:     by_value
      - .offset:         136
        .size:           4
        .value_kind:     by_value
      - .offset:         140
        .size:           4
        .value_kind:     by_value
    .group_segment_fixed_size: 1792
    .kernarg_segment_align: 8
    .kernarg_segment_size: 144
    .language:       OpenCL C
    .language_version:
      - 2
      - 0
    .max_flat_workgroup_size: 256
    .name:           _ZL13mul_mat_vec_qIL9ggml_type14ELi1ELb1ELb0EEvPKvS2_PKi31ggml_cuda_mm_fusion_args_devicePfj15HIP_vector_typeIjLj3EEjjjS8_jjjS8_jjjj
    .private_segment_fixed_size: 0
    .sgpr_count:     40
    .sgpr_spill_count: 0
    .symbol:         _ZL13mul_mat_vec_qIL9ggml_type14ELi1ELb1ELb0EEvPKvS2_PKi31ggml_cuda_mm_fusion_args_devicePfj15HIP_vector_typeIjLj3EEjjjS8_jjjS8_jjjj.kd
    .uniform_work_group_size: 1
    .uses_dynamic_stack: false
    .vgpr_count:     36
    .vgpr_spill_count: 0
    .wavefront_size: 32
    .workgroup_processor_mode: 1
  - .args:
      - .address_space:  global
        .offset:         0
        .size:           8
        .value_kind:     global_buffer
      - .address_space:  global
        .offset:         8
        .size:           8
        .value_kind:     global_buffer
      - .address_space:  global
        .offset:         16
        .size:           8
        .value_kind:     global_buffer
      - .offset:         24
        .size:           32
        .value_kind:     by_value
      - .address_space:  global
        .offset:         56
        .size:           8
        .value_kind:     global_buffer
      - .offset:         64
        .size:           4
        .value_kind:     by_value
      - .offset:         68
        .size:           12
        .value_kind:     by_value
      - .offset:         80
        .size:           4
        .value_kind:     by_value
      - .offset:         84
        .size:           4
        .value_kind:     by_value
      - .offset:         88
        .size:           4
        .value_kind:     by_value
      - .offset:         92
        .size:           12
        .value_kind:     by_value
      - .offset:         104
        .size:           4
        .value_kind:     by_value
      - .offset:         108
        .size:           4
        .value_kind:     by_value
      - .offset:         112
        .size:           4
        .value_kind:     by_value
      - .offset:         116
        .size:           12
        .value_kind:     by_value
      - .offset:         128
        .size:           4
        .value_kind:     by_value
      - .offset:         132
        .size:           4
        .value_kind:     by_value
      - .offset:         136
        .size:           4
        .value_kind:     by_value
      - .offset:         140
        .size:           4
        .value_kind:     by_value
    .group_segment_fixed_size: 896
    .kernarg_segment_align: 8
    .kernarg_segment_size: 144
    .language:       OpenCL C
    .language_version:
      - 2
      - 0
    .max_flat_workgroup_size: 256
    .name:           _ZL13mul_mat_vec_qIL9ggml_type14ELi1ELb0ELb0EEvPKvS2_PKi31ggml_cuda_mm_fusion_args_devicePfj15HIP_vector_typeIjLj3EEjjjS8_jjjS8_jjjj
    .private_segment_fixed_size: 0
    .sgpr_count:     26
    .sgpr_spill_count: 0
    .symbol:         _ZL13mul_mat_vec_qIL9ggml_type14ELi1ELb0ELb0EEvPKvS2_PKi31ggml_cuda_mm_fusion_args_devicePfj15HIP_vector_typeIjLj3EEjjjS8_jjjS8_jjjj.kd
    .uniform_work_group_size: 1
    .uses_dynamic_stack: false
    .vgpr_count:     26
    .vgpr_spill_count: 0
    .wavefront_size: 32
    .workgroup_processor_mode: 1
  - .args:
      - .address_space:  global
        .offset:         0
        .size:           8
        .value_kind:     global_buffer
      - .address_space:  global
        .offset:         8
        .size:           8
        .value_kind:     global_buffer
      - .address_space:  global
        .offset:         16
        .size:           8
        .value_kind:     global_buffer
      - .offset:         24
        .size:           32
        .value_kind:     by_value
      - .address_space:  global
        .offset:         56
        .size:           8
        .value_kind:     global_buffer
      - .offset:         64
        .size:           4
        .value_kind:     by_value
      - .offset:         68
        .size:           12
        .value_kind:     by_value
      - .offset:         80
        .size:           4
        .value_kind:     by_value
      - .offset:         84
        .size:           4
        .value_kind:     by_value
      - .offset:         88
        .size:           4
        .value_kind:     by_value
      - .offset:         92
        .size:           12
        .value_kind:     by_value
      - .offset:         104
        .size:           4
        .value_kind:     by_value
      - .offset:         108
        .size:           4
        .value_kind:     by_value
      - .offset:         112
        .size:           4
        .value_kind:     by_value
      - .offset:         116
        .size:           12
        .value_kind:     by_value
      - .offset:         128
        .size:           4
        .value_kind:     by_value
      - .offset:         132
        .size:           4
        .value_kind:     by_value
      - .offset:         136
        .size:           4
        .value_kind:     by_value
      - .offset:         140
        .size:           4
        .value_kind:     by_value
    .group_segment_fixed_size: 0
    .kernarg_segment_align: 8
    .kernarg_segment_size: 144
    .language:       OpenCL C
    .language_version:
      - 2
      - 0
    .max_flat_workgroup_size: 32
    .name:           _ZL13mul_mat_vec_qIL9ggml_type14ELi2ELb0ELb0EEvPKvS2_PKi31ggml_cuda_mm_fusion_args_devicePfj15HIP_vector_typeIjLj3EEjjjS8_jjjS8_jjjj
    .private_segment_fixed_size: 0
    .sgpr_count:     32
    .sgpr_spill_count: 0
    .symbol:         _ZL13mul_mat_vec_qIL9ggml_type14ELi2ELb0ELb0EEvPKvS2_PKi31ggml_cuda_mm_fusion_args_devicePfj15HIP_vector_typeIjLj3EEjjjS8_jjjS8_jjjj.kd
    .uniform_work_group_size: 1
    .uses_dynamic_stack: false
    .vgpr_count:     35
    .vgpr_spill_count: 0
    .wavefront_size: 32
    .workgroup_processor_mode: 1
  - .args:
      - .address_space:  global
        .offset:         0
        .size:           8
        .value_kind:     global_buffer
      - .address_space:  global
        .offset:         8
        .size:           8
        .value_kind:     global_buffer
      - .address_space:  global
        .offset:         16
        .size:           8
        .value_kind:     global_buffer
      - .offset:         24
        .size:           32
        .value_kind:     by_value
      - .address_space:  global
        .offset:         56
        .size:           8
        .value_kind:     global_buffer
      - .offset:         64
        .size:           4
        .value_kind:     by_value
      - .offset:         68
        .size:           12
        .value_kind:     by_value
      - .offset:         80
        .size:           4
        .value_kind:     by_value
      - .offset:         84
        .size:           4
        .value_kind:     by_value
      - .offset:         88
        .size:           4
        .value_kind:     by_value
      - .offset:         92
        .size:           12
        .value_kind:     by_value
      - .offset:         104
        .size:           4
        .value_kind:     by_value
      - .offset:         108
        .size:           4
        .value_kind:     by_value
      - .offset:         112
        .size:           4
        .value_kind:     by_value
      - .offset:         116
        .size:           12
        .value_kind:     by_value
      - .offset:         128
        .size:           4
        .value_kind:     by_value
      - .offset:         132
        .size:           4
        .value_kind:     by_value
      - .offset:         136
        .size:           4
        .value_kind:     by_value
      - .offset:         140
        .size:           4
        .value_kind:     by_value
    .group_segment_fixed_size: 0
    .kernarg_segment_align: 8
    .kernarg_segment_size: 144
    .language:       OpenCL C
    .language_version:
      - 2
      - 0
    .max_flat_workgroup_size: 32
    .name:           _ZL13mul_mat_vec_qIL9ggml_type14ELi3ELb0ELb0EEvPKvS2_PKi31ggml_cuda_mm_fusion_args_devicePfj15HIP_vector_typeIjLj3EEjjjS8_jjjS8_jjjj
    .private_segment_fixed_size: 0
    .sgpr_count:     32
    .sgpr_spill_count: 0
    .symbol:         _ZL13mul_mat_vec_qIL9ggml_type14ELi3ELb0ELb0EEvPKvS2_PKi31ggml_cuda_mm_fusion_args_devicePfj15HIP_vector_typeIjLj3EEjjjS8_jjjS8_jjjj.kd
    .uniform_work_group_size: 1
    .uses_dynamic_stack: false
    .vgpr_count:     41
    .vgpr_spill_count: 0
    .wavefront_size: 32
    .workgroup_processor_mode: 1
  - .args:
      - .address_space:  global
        .offset:         0
        .size:           8
        .value_kind:     global_buffer
      - .address_space:  global
        .offset:         8
        .size:           8
        .value_kind:     global_buffer
      - .address_space:  global
        .offset:         16
        .size:           8
        .value_kind:     global_buffer
      - .offset:         24
        .size:           32
        .value_kind:     by_value
      - .address_space:  global
        .offset:         56
        .size:           8
        .value_kind:     global_buffer
      - .offset:         64
        .size:           4
        .value_kind:     by_value
      - .offset:         68
        .size:           12
        .value_kind:     by_value
      - .offset:         80
        .size:           4
        .value_kind:     by_value
      - .offset:         84
        .size:           4
        .value_kind:     by_value
      - .offset:         88
        .size:           4
        .value_kind:     by_value
      - .offset:         92
        .size:           12
        .value_kind:     by_value
      - .offset:         104
        .size:           4
        .value_kind:     by_value
      - .offset:         108
        .size:           4
        .value_kind:     by_value
      - .offset:         112
        .size:           4
        .value_kind:     by_value
      - .offset:         116
        .size:           12
        .value_kind:     by_value
      - .offset:         128
        .size:           4
        .value_kind:     by_value
      - .offset:         132
        .size:           4
        .value_kind:     by_value
      - .offset:         136
        .size:           4
        .value_kind:     by_value
      - .offset:         140
        .size:           4
        .value_kind:     by_value
    .group_segment_fixed_size: 0
    .kernarg_segment_align: 8
    .kernarg_segment_size: 144
    .language:       OpenCL C
    .language_version:
      - 2
      - 0
    .max_flat_workgroup_size: 32
    .name:           _ZL13mul_mat_vec_qIL9ggml_type14ELi4ELb0ELb0EEvPKvS2_PKi31ggml_cuda_mm_fusion_args_devicePfj15HIP_vector_typeIjLj3EEjjjS8_jjjS8_jjjj
    .private_segment_fixed_size: 0
    .sgpr_count:     32
    .sgpr_spill_count: 0
    .symbol:         _ZL13mul_mat_vec_qIL9ggml_type14ELi4ELb0ELb0EEvPKvS2_PKi31ggml_cuda_mm_fusion_args_devicePfj15HIP_vector_typeIjLj3EEjjjS8_jjjS8_jjjj.kd
    .uniform_work_group_size: 1
    .uses_dynamic_stack: false
    .vgpr_count:     47
    .vgpr_spill_count: 0
    .wavefront_size: 32
    .workgroup_processor_mode: 1
  - .args:
      - .address_space:  global
        .offset:         0
        .size:           8
        .value_kind:     global_buffer
      - .address_space:  global
        .offset:         8
        .size:           8
        .value_kind:     global_buffer
      - .address_space:  global
        .offset:         16
        .size:           8
        .value_kind:     global_buffer
      - .offset:         24
        .size:           32
        .value_kind:     by_value
      - .address_space:  global
        .offset:         56
        .size:           8
        .value_kind:     global_buffer
      - .offset:         64
        .size:           4
        .value_kind:     by_value
      - .offset:         68
        .size:           12
        .value_kind:     by_value
      - .offset:         80
        .size:           4
        .value_kind:     by_value
      - .offset:         84
        .size:           4
        .value_kind:     by_value
      - .offset:         88
        .size:           4
        .value_kind:     by_value
      - .offset:         92
        .size:           12
        .value_kind:     by_value
      - .offset:         104
        .size:           4
        .value_kind:     by_value
      - .offset:         108
        .size:           4
        .value_kind:     by_value
      - .offset:         112
        .size:           4
        .value_kind:     by_value
      - .offset:         116
        .size:           12
        .value_kind:     by_value
      - .offset:         128
        .size:           4
        .value_kind:     by_value
      - .offset:         132
        .size:           4
        .value_kind:     by_value
      - .offset:         136
        .size:           4
        .value_kind:     by_value
      - .offset:         140
        .size:           4
        .value_kind:     by_value
    .group_segment_fixed_size: 0
    .kernarg_segment_align: 8
    .kernarg_segment_size: 144
    .language:       OpenCL C
    .language_version:
      - 2
      - 0
    .max_flat_workgroup_size: 32
    .name:           _ZL13mul_mat_vec_qIL9ggml_type14ELi5ELb0ELb0EEvPKvS2_PKi31ggml_cuda_mm_fusion_args_devicePfj15HIP_vector_typeIjLj3EEjjjS8_jjjS8_jjjj
    .private_segment_fixed_size: 0
    .sgpr_count:     32
    .sgpr_spill_count: 0
    .symbol:         _ZL13mul_mat_vec_qIL9ggml_type14ELi5ELb0ELb0EEvPKvS2_PKi31ggml_cuda_mm_fusion_args_devicePfj15HIP_vector_typeIjLj3EEjjjS8_jjjS8_jjjj.kd
    .uniform_work_group_size: 1
    .uses_dynamic_stack: false
    .vgpr_count:     50
    .vgpr_spill_count: 0
    .wavefront_size: 32
    .workgroup_processor_mode: 1
  - .args:
      - .address_space:  global
        .offset:         0
        .size:           8
        .value_kind:     global_buffer
      - .address_space:  global
        .offset:         8
        .size:           8
        .value_kind:     global_buffer
      - .address_space:  global
        .offset:         16
        .size:           8
        .value_kind:     global_buffer
      - .offset:         24
        .size:           32
        .value_kind:     by_value
      - .address_space:  global
        .offset:         56
        .size:           8
        .value_kind:     global_buffer
      - .offset:         64
        .size:           4
        .value_kind:     by_value
      - .offset:         68
        .size:           12
        .value_kind:     by_value
      - .offset:         80
        .size:           4
        .value_kind:     by_value
      - .offset:         84
        .size:           4
        .value_kind:     by_value
      - .offset:         88
        .size:           4
        .value_kind:     by_value
      - .offset:         92
        .size:           12
        .value_kind:     by_value
      - .offset:         104
        .size:           4
        .value_kind:     by_value
      - .offset:         108
        .size:           4
        .value_kind:     by_value
      - .offset:         112
        .size:           4
        .value_kind:     by_value
      - .offset:         116
        .size:           12
        .value_kind:     by_value
      - .offset:         128
        .size:           4
        .value_kind:     by_value
      - .offset:         132
        .size:           4
        .value_kind:     by_value
      - .offset:         136
        .size:           4
        .value_kind:     by_value
      - .offset:         140
        .size:           4
        .value_kind:     by_value
    .group_segment_fixed_size: 0
    .kernarg_segment_align: 8
    .kernarg_segment_size: 144
    .language:       OpenCL C
    .language_version:
      - 2
      - 0
    .max_flat_workgroup_size: 32
    .name:           _ZL13mul_mat_vec_qIL9ggml_type14ELi6ELb0ELb0EEvPKvS2_PKi31ggml_cuda_mm_fusion_args_devicePfj15HIP_vector_typeIjLj3EEjjjS8_jjjS8_jjjj
    .private_segment_fixed_size: 0
    .sgpr_count:     32
    .sgpr_spill_count: 0
    .symbol:         _ZL13mul_mat_vec_qIL9ggml_type14ELi6ELb0ELb0EEvPKvS2_PKi31ggml_cuda_mm_fusion_args_devicePfj15HIP_vector_typeIjLj3EEjjjS8_jjjS8_jjjj.kd
    .uniform_work_group_size: 1
    .uses_dynamic_stack: false
    .vgpr_count:     55
    .vgpr_spill_count: 0
    .wavefront_size: 32
    .workgroup_processor_mode: 1
  - .args:
      - .address_space:  global
        .offset:         0
        .size:           8
        .value_kind:     global_buffer
      - .address_space:  global
        .offset:         8
        .size:           8
        .value_kind:     global_buffer
      - .address_space:  global
        .offset:         16
        .size:           8
        .value_kind:     global_buffer
      - .offset:         24
        .size:           32
        .value_kind:     by_value
      - .address_space:  global
        .offset:         56
        .size:           8
        .value_kind:     global_buffer
      - .offset:         64
        .size:           4
        .value_kind:     by_value
      - .offset:         68
        .size:           12
        .value_kind:     by_value
      - .offset:         80
        .size:           4
        .value_kind:     by_value
      - .offset:         84
        .size:           4
        .value_kind:     by_value
      - .offset:         88
        .size:           4
        .value_kind:     by_value
      - .offset:         92
        .size:           12
        .value_kind:     by_value
      - .offset:         104
        .size:           4
        .value_kind:     by_value
      - .offset:         108
        .size:           4
        .value_kind:     by_value
      - .offset:         112
        .size:           4
        .value_kind:     by_value
      - .offset:         116
        .size:           12
        .value_kind:     by_value
      - .offset:         128
        .size:           4
        .value_kind:     by_value
      - .offset:         132
        .size:           4
        .value_kind:     by_value
      - .offset:         136
        .size:           4
        .value_kind:     by_value
      - .offset:         140
        .size:           4
        .value_kind:     by_value
    .group_segment_fixed_size: 0
    .kernarg_segment_align: 8
    .kernarg_segment_size: 144
    .language:       OpenCL C
    .language_version:
      - 2
      - 0
    .max_flat_workgroup_size: 32
    .name:           _ZL13mul_mat_vec_qIL9ggml_type14ELi7ELb0ELb0EEvPKvS2_PKi31ggml_cuda_mm_fusion_args_devicePfj15HIP_vector_typeIjLj3EEjjjS8_jjjS8_jjjj
    .private_segment_fixed_size: 0
    .sgpr_count:     32
    .sgpr_spill_count: 0
    .symbol:         _ZL13mul_mat_vec_qIL9ggml_type14ELi7ELb0ELb0EEvPKvS2_PKi31ggml_cuda_mm_fusion_args_devicePfj15HIP_vector_typeIjLj3EEjjjS8_jjjS8_jjjj.kd
    .uniform_work_group_size: 1
    .uses_dynamic_stack: false
    .vgpr_count:     61
    .vgpr_spill_count: 0
    .wavefront_size: 32
    .workgroup_processor_mode: 1
  - .args:
      - .address_space:  global
        .offset:         0
        .size:           8
        .value_kind:     global_buffer
      - .address_space:  global
        .offset:         8
        .size:           8
        .value_kind:     global_buffer
      - .address_space:  global
        .offset:         16
        .size:           8
        .value_kind:     global_buffer
      - .offset:         24
        .size:           32
        .value_kind:     by_value
      - .address_space:  global
        .offset:         56
        .size:           8
        .value_kind:     global_buffer
      - .offset:         64
        .size:           4
        .value_kind:     by_value
      - .offset:         68
        .size:           12
        .value_kind:     by_value
      - .offset:         80
        .size:           4
        .value_kind:     by_value
      - .offset:         84
        .size:           4
        .value_kind:     by_value
      - .offset:         88
        .size:           4
        .value_kind:     by_value
      - .offset:         92
        .size:           12
        .value_kind:     by_value
      - .offset:         104
        .size:           4
        .value_kind:     by_value
      - .offset:         108
        .size:           4
        .value_kind:     by_value
      - .offset:         112
        .size:           4
        .value_kind:     by_value
      - .offset:         116
        .size:           12
        .value_kind:     by_value
      - .offset:         128
        .size:           4
        .value_kind:     by_value
      - .offset:         132
        .size:           4
        .value_kind:     by_value
      - .offset:         136
        .size:           4
        .value_kind:     by_value
      - .offset:         140
        .size:           4
        .value_kind:     by_value
    .group_segment_fixed_size: 0
    .kernarg_segment_align: 8
    .kernarg_segment_size: 144
    .language:       OpenCL C
    .language_version:
      - 2
      - 0
    .max_flat_workgroup_size: 32
    .name:           _ZL13mul_mat_vec_qIL9ggml_type14ELi8ELb0ELb0EEvPKvS2_PKi31ggml_cuda_mm_fusion_args_devicePfj15HIP_vector_typeIjLj3EEjjjS8_jjjS8_jjjj
    .private_segment_fixed_size: 0
    .sgpr_count:     32
    .sgpr_spill_count: 0
    .symbol:         _ZL13mul_mat_vec_qIL9ggml_type14ELi8ELb0ELb0EEvPKvS2_PKi31ggml_cuda_mm_fusion_args_devicePfj15HIP_vector_typeIjLj3EEjjjS8_jjjS8_jjjj.kd
    .uniform_work_group_size: 1
    .uses_dynamic_stack: false
    .vgpr_count:     67
    .vgpr_spill_count: 0
    .wavefront_size: 32
    .workgroup_processor_mode: 1
  - .args:
      - .address_space:  global
        .offset:         0
        .size:           8
        .value_kind:     global_buffer
      - .address_space:  global
        .offset:         8
        .size:           8
        .value_kind:     global_buffer
      - .address_space:  global
        .offset:         16
        .size:           8
        .value_kind:     global_buffer
      - .address_space:  global
        .offset:         24
        .size:           8
        .value_kind:     global_buffer
      - .offset:         32
        .size:           4
        .value_kind:     by_value
      - .offset:         36
        .size:           12
        .value_kind:     by_value
      - .offset:         48
        .size:           4
        .value_kind:     by_value
      - .offset:         52
        .size:           4
        .value_kind:     by_value
      - .offset:         56
        .size:           4
        .value_kind:     by_value
      - .offset:         60
        .size:           4
        .value_kind:     by_value
      - .offset:         64
        .size:           4
        .value_kind:     by_value
      - .offset:         68
        .size:           4
        .value_kind:     by_value
      - .offset:         72
        .size:           4
        .value_kind:     by_value
      - .offset:         76
        .size:           4
        .value_kind:     by_value
      - .offset:         80
        .size:           4
        .value_kind:     by_value
    .group_segment_fixed_size: 0
    .kernarg_segment_align: 8
    .kernarg_segment_size: 84
    .language:       OpenCL C
    .language_version:
      - 2
      - 0
    .max_flat_workgroup_size: 128
    .name:           _ZL17mul_mat_vec_q_moeIL9ggml_type16ELi2EEvPKvS2_PKiPfj15HIP_vector_typeIjLj3EEjjjjjjjjj
    .private_segment_fixed_size: 0
    .sgpr_count:     26
    .sgpr_spill_count: 0
    .symbol:         _ZL17mul_mat_vec_q_moeIL9ggml_type16ELi2EEvPKvS2_PKiPfj15HIP_vector_typeIjLj3EEjjjjjjjjj.kd
    .uniform_work_group_size: 1
    .uses_dynamic_stack: false
    .vgpr_count:     115
    .vgpr_spill_count: 0
    .wavefront_size: 32
    .workgroup_processor_mode: 1
  - .args:
      - .address_space:  global
        .offset:         0
        .size:           8
        .value_kind:     global_buffer
      - .address_space:  global
        .offset:         8
        .size:           8
        .value_kind:     global_buffer
      - .address_space:  global
        .offset:         16
        .size:           8
        .value_kind:     global_buffer
      - .offset:         24
        .size:           32
        .value_kind:     by_value
      - .address_space:  global
        .offset:         56
        .size:           8
        .value_kind:     global_buffer
      - .offset:         64
        .size:           4
        .value_kind:     by_value
      - .offset:         68
        .size:           12
        .value_kind:     by_value
      - .offset:         80
        .size:           4
        .value_kind:     by_value
      - .offset:         84
        .size:           4
        .value_kind:     by_value
      - .offset:         88
        .size:           4
        .value_kind:     by_value
      - .offset:         92
        .size:           12
        .value_kind:     by_value
      - .offset:         104
        .size:           4
        .value_kind:     by_value
      - .offset:         108
        .size:           4
        .value_kind:     by_value
      - .offset:         112
        .size:           4
        .value_kind:     by_value
      - .offset:         116
        .size:           12
        .value_kind:     by_value
      - .offset:         128
        .size:           4
        .value_kind:     by_value
      - .offset:         132
        .size:           4
        .value_kind:     by_value
      - .offset:         136
        .size:           4
        .value_kind:     by_value
      - .offset:         140
        .size:           4
        .value_kind:     by_value
    .group_segment_fixed_size: 0
    .kernarg_segment_align: 8
    .kernarg_segment_size: 144
    .language:       OpenCL C
    .language_version:
      - 2
      - 0
    .max_flat_workgroup_size: 32
    .name:           _ZL13mul_mat_vec_qIL9ggml_type16ELi1ELb1ELb1EEvPKvS2_PKi31ggml_cuda_mm_fusion_args_devicePfj15HIP_vector_typeIjLj3EEjjjS8_jjjS8_jjjj
    .private_segment_fixed_size: 0
    .sgpr_count:     40
    .sgpr_spill_count: 0
    .symbol:         _ZL13mul_mat_vec_qIL9ggml_type16ELi1ELb1ELb1EEvPKvS2_PKi31ggml_cuda_mm_fusion_args_devicePfj15HIP_vector_typeIjLj3EEjjjS8_jjjS8_jjjj.kd
    .uniform_work_group_size: 1
    .uses_dynamic_stack: false
    .vgpr_count:     88
    .vgpr_spill_count: 0
    .wavefront_size: 32
    .workgroup_processor_mode: 1
  - .args:
      - .address_space:  global
        .offset:         0
        .size:           8
        .value_kind:     global_buffer
      - .address_space:  global
        .offset:         8
        .size:           8
        .value_kind:     global_buffer
      - .address_space:  global
        .offset:         16
        .size:           8
        .value_kind:     global_buffer
      - .offset:         24
        .size:           32
        .value_kind:     by_value
      - .address_space:  global
        .offset:         56
        .size:           8
        .value_kind:     global_buffer
      - .offset:         64
        .size:           4
        .value_kind:     by_value
      - .offset:         68
        .size:           12
        .value_kind:     by_value
      - .offset:         80
        .size:           4
        .value_kind:     by_value
      - .offset:         84
        .size:           4
        .value_kind:     by_value
      - .offset:         88
        .size:           4
        .value_kind:     by_value
      - .offset:         92
        .size:           12
        .value_kind:     by_value
      - .offset:         104
        .size:           4
        .value_kind:     by_value
      - .offset:         108
        .size:           4
        .value_kind:     by_value
      - .offset:         112
        .size:           4
        .value_kind:     by_value
      - .offset:         116
        .size:           12
        .value_kind:     by_value
      - .offset:         128
        .size:           4
        .value_kind:     by_value
      - .offset:         132
        .size:           4
        .value_kind:     by_value
      - .offset:         136
        .size:           4
        .value_kind:     by_value
      - .offset:         140
        .size:           4
        .value_kind:     by_value
    .group_segment_fixed_size: 0
    .kernarg_segment_align: 8
    .kernarg_segment_size: 144
    .language:       OpenCL C
    .language_version:
      - 2
      - 0
    .max_flat_workgroup_size: 32
    .name:           _ZL13mul_mat_vec_qIL9ggml_type16ELi1ELb0ELb1EEvPKvS2_PKi31ggml_cuda_mm_fusion_args_devicePfj15HIP_vector_typeIjLj3EEjjjS8_jjjS8_jjjj
    .private_segment_fixed_size: 0
    .sgpr_count:     24
    .sgpr_spill_count: 0
    .symbol:         _ZL13mul_mat_vec_qIL9ggml_type16ELi1ELb0ELb1EEvPKvS2_PKi31ggml_cuda_mm_fusion_args_devicePfj15HIP_vector_typeIjLj3EEjjjS8_jjjS8_jjjj.kd
    .uniform_work_group_size: 1
    .uses_dynamic_stack: false
    .vgpr_count:     74
    .vgpr_spill_count: 0
    .wavefront_size: 32
    .workgroup_processor_mode: 1
  - .args:
      - .address_space:  global
        .offset:         0
        .size:           8
        .value_kind:     global_buffer
      - .address_space:  global
        .offset:         8
        .size:           8
        .value_kind:     global_buffer
      - .address_space:  global
        .offset:         16
        .size:           8
        .value_kind:     global_buffer
      - .offset:         24
        .size:           32
        .value_kind:     by_value
      - .address_space:  global
        .offset:         56
        .size:           8
        .value_kind:     global_buffer
      - .offset:         64
        .size:           4
        .value_kind:     by_value
      - .offset:         68
        .size:           12
        .value_kind:     by_value
      - .offset:         80
        .size:           4
        .value_kind:     by_value
      - .offset:         84
        .size:           4
        .value_kind:     by_value
      - .offset:         88
        .size:           4
        .value_kind:     by_value
      - .offset:         92
        .size:           12
        .value_kind:     by_value
      - .offset:         104
        .size:           4
        .value_kind:     by_value
      - .offset:         108
        .size:           4
        .value_kind:     by_value
      - .offset:         112
        .size:           4
        .value_kind:     by_value
      - .offset:         116
        .size:           12
        .value_kind:     by_value
      - .offset:         128
        .size:           4
        .value_kind:     by_value
      - .offset:         132
        .size:           4
        .value_kind:     by_value
      - .offset:         136
        .size:           4
        .value_kind:     by_value
      - .offset:         140
        .size:           4
        .value_kind:     by_value
    .group_segment_fixed_size: 0
    .kernarg_segment_align: 8
    .kernarg_segment_size: 144
    .language:       OpenCL C
    .language_version:
      - 2
      - 0
    .max_flat_workgroup_size: 32
    .name:           _ZL13mul_mat_vec_qIL9ggml_type16ELi1ELb1ELb0EEvPKvS2_PKi31ggml_cuda_mm_fusion_args_devicePfj15HIP_vector_typeIjLj3EEjjjS8_jjjS8_jjjj
    .private_segment_fixed_size: 0
    .sgpr_count:     40
    .sgpr_spill_count: 0
    .symbol:         _ZL13mul_mat_vec_qIL9ggml_type16ELi1ELb1ELb0EEvPKvS2_PKi31ggml_cuda_mm_fusion_args_devicePfj15HIP_vector_typeIjLj3EEjjjS8_jjjS8_jjjj.kd
    .uniform_work_group_size: 1
    .uses_dynamic_stack: false
    .vgpr_count:     88
    .vgpr_spill_count: 0
    .wavefront_size: 32
    .workgroup_processor_mode: 1
  - .args:
      - .address_space:  global
        .offset:         0
        .size:           8
        .value_kind:     global_buffer
      - .address_space:  global
        .offset:         8
        .size:           8
        .value_kind:     global_buffer
      - .address_space:  global
        .offset:         16
        .size:           8
        .value_kind:     global_buffer
      - .offset:         24
        .size:           32
        .value_kind:     by_value
      - .address_space:  global
        .offset:         56
        .size:           8
        .value_kind:     global_buffer
      - .offset:         64
        .size:           4
        .value_kind:     by_value
      - .offset:         68
        .size:           12
        .value_kind:     by_value
      - .offset:         80
        .size:           4
        .value_kind:     by_value
      - .offset:         84
        .size:           4
        .value_kind:     by_value
      - .offset:         88
        .size:           4
        .value_kind:     by_value
      - .offset:         92
        .size:           12
        .value_kind:     by_value
      - .offset:         104
        .size:           4
        .value_kind:     by_value
      - .offset:         108
        .size:           4
        .value_kind:     by_value
      - .offset:         112
        .size:           4
        .value_kind:     by_value
      - .offset:         116
        .size:           12
        .value_kind:     by_value
      - .offset:         128
        .size:           4
        .value_kind:     by_value
      - .offset:         132
        .size:           4
        .value_kind:     by_value
      - .offset:         136
        .size:           4
        .value_kind:     by_value
      - .offset:         140
        .size:           4
        .value_kind:     by_value
    .group_segment_fixed_size: 0
    .kernarg_segment_align: 8
    .kernarg_segment_size: 144
    .language:       OpenCL C
    .language_version:
      - 2
      - 0
    .max_flat_workgroup_size: 32
    .name:           _ZL13mul_mat_vec_qIL9ggml_type16ELi1ELb0ELb0EEvPKvS2_PKi31ggml_cuda_mm_fusion_args_devicePfj15HIP_vector_typeIjLj3EEjjjS8_jjjS8_jjjj
    .private_segment_fixed_size: 0
    .sgpr_count:     24
    .sgpr_spill_count: 0
    .symbol:         _ZL13mul_mat_vec_qIL9ggml_type16ELi1ELb0ELb0EEvPKvS2_PKi31ggml_cuda_mm_fusion_args_devicePfj15HIP_vector_typeIjLj3EEjjjS8_jjjS8_jjjj.kd
    .uniform_work_group_size: 1
    .uses_dynamic_stack: false
    .vgpr_count:     74
    .vgpr_spill_count: 0
    .wavefront_size: 32
    .workgroup_processor_mode: 1
  - .args:
      - .address_space:  global
        .offset:         0
        .size:           8
        .value_kind:     global_buffer
      - .address_space:  global
        .offset:         8
        .size:           8
        .value_kind:     global_buffer
      - .address_space:  global
        .offset:         16
        .size:           8
        .value_kind:     global_buffer
      - .offset:         24
        .size:           32
        .value_kind:     by_value
      - .address_space:  global
        .offset:         56
        .size:           8
        .value_kind:     global_buffer
      - .offset:         64
        .size:           4
        .value_kind:     by_value
      - .offset:         68
        .size:           12
        .value_kind:     by_value
      - .offset:         80
        .size:           4
        .value_kind:     by_value
      - .offset:         84
        .size:           4
        .value_kind:     by_value
      - .offset:         88
        .size:           4
        .value_kind:     by_value
      - .offset:         92
        .size:           12
        .value_kind:     by_value
      - .offset:         104
        .size:           4
        .value_kind:     by_value
      - .offset:         108
        .size:           4
        .value_kind:     by_value
      - .offset:         112
        .size:           4
        .value_kind:     by_value
      - .offset:         116
        .size:           12
        .value_kind:     by_value
      - .offset:         128
        .size:           4
        .value_kind:     by_value
      - .offset:         132
        .size:           4
        .value_kind:     by_value
      - .offset:         136
        .size:           4
        .value_kind:     by_value
      - .offset:         140
        .size:           4
        .value_kind:     by_value
    .group_segment_fixed_size: 0
    .kernarg_segment_align: 8
    .kernarg_segment_size: 144
    .language:       OpenCL C
    .language_version:
      - 2
      - 0
    .max_flat_workgroup_size: 32
    .name:           _ZL13mul_mat_vec_qIL9ggml_type16ELi2ELb0ELb0EEvPKvS2_PKi31ggml_cuda_mm_fusion_args_devicePfj15HIP_vector_typeIjLj3EEjjjS8_jjjS8_jjjj
    .private_segment_fixed_size: 0
    .sgpr_count:     30
    .sgpr_spill_count: 0
    .symbol:         _ZL13mul_mat_vec_qIL9ggml_type16ELi2ELb0ELb0EEvPKvS2_PKi31ggml_cuda_mm_fusion_args_devicePfj15HIP_vector_typeIjLj3EEjjjS8_jjjS8_jjjj.kd
    .uniform_work_group_size: 1
    .uses_dynamic_stack: false
    .vgpr_count:     87
    .vgpr_spill_count: 0
    .wavefront_size: 32
    .workgroup_processor_mode: 1
  - .args:
      - .address_space:  global
        .offset:         0
        .size:           8
        .value_kind:     global_buffer
      - .address_space:  global
        .offset:         8
        .size:           8
        .value_kind:     global_buffer
      - .address_space:  global
        .offset:         16
        .size:           8
        .value_kind:     global_buffer
      - .offset:         24
        .size:           32
        .value_kind:     by_value
      - .address_space:  global
        .offset:         56
        .size:           8
        .value_kind:     global_buffer
      - .offset:         64
        .size:           4
        .value_kind:     by_value
      - .offset:         68
        .size:           12
        .value_kind:     by_value
      - .offset:         80
        .size:           4
        .value_kind:     by_value
      - .offset:         84
        .size:           4
        .value_kind:     by_value
      - .offset:         88
        .size:           4
        .value_kind:     by_value
      - .offset:         92
        .size:           12
        .value_kind:     by_value
      - .offset:         104
        .size:           4
        .value_kind:     by_value
      - .offset:         108
        .size:           4
        .value_kind:     by_value
      - .offset:         112
        .size:           4
        .value_kind:     by_value
      - .offset:         116
        .size:           12
        .value_kind:     by_value
      - .offset:         128
        .size:           4
        .value_kind:     by_value
      - .offset:         132
        .size:           4
        .value_kind:     by_value
      - .offset:         136
        .size:           4
        .value_kind:     by_value
      - .offset:         140
        .size:           4
        .value_kind:     by_value
    .group_segment_fixed_size: 0
    .kernarg_segment_align: 8
    .kernarg_segment_size: 144
    .language:       OpenCL C
    .language_version:
      - 2
      - 0
    .max_flat_workgroup_size: 32
    .name:           _ZL13mul_mat_vec_qIL9ggml_type16ELi3ELb0ELb0EEvPKvS2_PKi31ggml_cuda_mm_fusion_args_devicePfj15HIP_vector_typeIjLj3EEjjjS8_jjjS8_jjjj
    .private_segment_fixed_size: 0
    .sgpr_count:     30
    .sgpr_spill_count: 0
    .symbol:         _ZL13mul_mat_vec_qIL9ggml_type16ELi3ELb0ELb0EEvPKvS2_PKi31ggml_cuda_mm_fusion_args_devicePfj15HIP_vector_typeIjLj3EEjjjS8_jjjS8_jjjj.kd
    .uniform_work_group_size: 1
    .uses_dynamic_stack: false
    .vgpr_count:     94
    .vgpr_spill_count: 0
    .wavefront_size: 32
    .workgroup_processor_mode: 1
  - .args:
      - .address_space:  global
        .offset:         0
        .size:           8
        .value_kind:     global_buffer
      - .address_space:  global
        .offset:         8
        .size:           8
        .value_kind:     global_buffer
      - .address_space:  global
        .offset:         16
        .size:           8
        .value_kind:     global_buffer
      - .offset:         24
        .size:           32
        .value_kind:     by_value
      - .address_space:  global
        .offset:         56
        .size:           8
        .value_kind:     global_buffer
      - .offset:         64
        .size:           4
        .value_kind:     by_value
      - .offset:         68
        .size:           12
        .value_kind:     by_value
      - .offset:         80
        .size:           4
        .value_kind:     by_value
      - .offset:         84
        .size:           4
        .value_kind:     by_value
      - .offset:         88
        .size:           4
        .value_kind:     by_value
      - .offset:         92
        .size:           12
        .value_kind:     by_value
      - .offset:         104
        .size:           4
        .value_kind:     by_value
      - .offset:         108
        .size:           4
        .value_kind:     by_value
      - .offset:         112
        .size:           4
        .value_kind:     by_value
      - .offset:         116
        .size:           12
        .value_kind:     by_value
      - .offset:         128
        .size:           4
        .value_kind:     by_value
      - .offset:         132
        .size:           4
        .value_kind:     by_value
      - .offset:         136
        .size:           4
        .value_kind:     by_value
      - .offset:         140
        .size:           4
        .value_kind:     by_value
    .group_segment_fixed_size: 0
    .kernarg_segment_align: 8
    .kernarg_segment_size: 144
    .language:       OpenCL C
    .language_version:
      - 2
      - 0
    .max_flat_workgroup_size: 32
    .name:           _ZL13mul_mat_vec_qIL9ggml_type16ELi4ELb0ELb0EEvPKvS2_PKi31ggml_cuda_mm_fusion_args_devicePfj15HIP_vector_typeIjLj3EEjjjS8_jjjS8_jjjj
    .private_segment_fixed_size: 0
    .sgpr_count:     28
    .sgpr_spill_count: 0
    .symbol:         _ZL13mul_mat_vec_qIL9ggml_type16ELi4ELb0ELb0EEvPKvS2_PKi31ggml_cuda_mm_fusion_args_devicePfj15HIP_vector_typeIjLj3EEjjjS8_jjjS8_jjjj.kd
    .uniform_work_group_size: 1
    .uses_dynamic_stack: false
    .vgpr_count:     93
    .vgpr_spill_count: 0
    .wavefront_size: 32
    .workgroup_processor_mode: 1
  - .args:
      - .address_space:  global
        .offset:         0
        .size:           8
        .value_kind:     global_buffer
      - .address_space:  global
        .offset:         8
        .size:           8
        .value_kind:     global_buffer
      - .address_space:  global
        .offset:         16
        .size:           8
        .value_kind:     global_buffer
      - .offset:         24
        .size:           32
        .value_kind:     by_value
      - .address_space:  global
        .offset:         56
        .size:           8
        .value_kind:     global_buffer
      - .offset:         64
        .size:           4
        .value_kind:     by_value
      - .offset:         68
        .size:           12
        .value_kind:     by_value
      - .offset:         80
        .size:           4
        .value_kind:     by_value
      - .offset:         84
        .size:           4
        .value_kind:     by_value
      - .offset:         88
        .size:           4
        .value_kind:     by_value
      - .offset:         92
        .size:           12
        .value_kind:     by_value
      - .offset:         104
        .size:           4
        .value_kind:     by_value
      - .offset:         108
        .size:           4
        .value_kind:     by_value
      - .offset:         112
        .size:           4
        .value_kind:     by_value
      - .offset:         116
        .size:           12
        .value_kind:     by_value
      - .offset:         128
        .size:           4
        .value_kind:     by_value
      - .offset:         132
        .size:           4
        .value_kind:     by_value
      - .offset:         136
        .size:           4
        .value_kind:     by_value
      - .offset:         140
        .size:           4
        .value_kind:     by_value
    .group_segment_fixed_size: 0
    .kernarg_segment_align: 8
    .kernarg_segment_size: 144
    .language:       OpenCL C
    .language_version:
      - 2
      - 0
    .max_flat_workgroup_size: 32
    .name:           _ZL13mul_mat_vec_qIL9ggml_type16ELi5ELb0ELb0EEvPKvS2_PKi31ggml_cuda_mm_fusion_args_devicePfj15HIP_vector_typeIjLj3EEjjjS8_jjjS8_jjjj
    .private_segment_fixed_size: 0
    .sgpr_count:     32
    .sgpr_spill_count: 0
    .symbol:         _ZL13mul_mat_vec_qIL9ggml_type16ELi5ELb0ELb0EEvPKvS2_PKi31ggml_cuda_mm_fusion_args_devicePfj15HIP_vector_typeIjLj3EEjjjS8_jjjS8_jjjj.kd
    .uniform_work_group_size: 1
    .uses_dynamic_stack: false
    .vgpr_count:     99
    .vgpr_spill_count: 0
    .wavefront_size: 32
    .workgroup_processor_mode: 1
  - .args:
      - .address_space:  global
        .offset:         0
        .size:           8
        .value_kind:     global_buffer
      - .address_space:  global
        .offset:         8
        .size:           8
        .value_kind:     global_buffer
      - .address_space:  global
        .offset:         16
        .size:           8
        .value_kind:     global_buffer
      - .offset:         24
        .size:           32
        .value_kind:     by_value
      - .address_space:  global
        .offset:         56
        .size:           8
        .value_kind:     global_buffer
      - .offset:         64
        .size:           4
        .value_kind:     by_value
      - .offset:         68
        .size:           12
        .value_kind:     by_value
      - .offset:         80
        .size:           4
        .value_kind:     by_value
      - .offset:         84
        .size:           4
        .value_kind:     by_value
      - .offset:         88
        .size:           4
        .value_kind:     by_value
      - .offset:         92
        .size:           12
        .value_kind:     by_value
      - .offset:         104
        .size:           4
        .value_kind:     by_value
      - .offset:         108
        .size:           4
        .value_kind:     by_value
      - .offset:         112
        .size:           4
        .value_kind:     by_value
      - .offset:         116
        .size:           12
        .value_kind:     by_value
      - .offset:         128
        .size:           4
        .value_kind:     by_value
      - .offset:         132
        .size:           4
        .value_kind:     by_value
      - .offset:         136
        .size:           4
        .value_kind:     by_value
      - .offset:         140
        .size:           4
        .value_kind:     by_value
    .group_segment_fixed_size: 0
    .kernarg_segment_align: 8
    .kernarg_segment_size: 144
    .language:       OpenCL C
    .language_version:
      - 2
      - 0
    .max_flat_workgroup_size: 32
    .name:           _ZL13mul_mat_vec_qIL9ggml_type16ELi6ELb0ELb0EEvPKvS2_PKi31ggml_cuda_mm_fusion_args_devicePfj15HIP_vector_typeIjLj3EEjjjS8_jjjS8_jjjj
    .private_segment_fixed_size: 0
    .sgpr_count:     30
    .sgpr_spill_count: 0
    .symbol:         _ZL13mul_mat_vec_qIL9ggml_type16ELi6ELb0ELb0EEvPKvS2_PKi31ggml_cuda_mm_fusion_args_devicePfj15HIP_vector_typeIjLj3EEjjjS8_jjjS8_jjjj.kd
    .uniform_work_group_size: 1
    .uses_dynamic_stack: false
    .vgpr_count:     38
    .vgpr_spill_count: 0
    .wavefront_size: 32
    .workgroup_processor_mode: 1
  - .args:
      - .address_space:  global
        .offset:         0
        .size:           8
        .value_kind:     global_buffer
      - .address_space:  global
        .offset:         8
        .size:           8
        .value_kind:     global_buffer
      - .address_space:  global
        .offset:         16
        .size:           8
        .value_kind:     global_buffer
      - .offset:         24
        .size:           32
        .value_kind:     by_value
      - .address_space:  global
        .offset:         56
        .size:           8
        .value_kind:     global_buffer
      - .offset:         64
        .size:           4
        .value_kind:     by_value
      - .offset:         68
        .size:           12
        .value_kind:     by_value
      - .offset:         80
        .size:           4
        .value_kind:     by_value
      - .offset:         84
        .size:           4
        .value_kind:     by_value
      - .offset:         88
        .size:           4
        .value_kind:     by_value
      - .offset:         92
        .size:           12
        .value_kind:     by_value
      - .offset:         104
        .size:           4
        .value_kind:     by_value
      - .offset:         108
        .size:           4
        .value_kind:     by_value
      - .offset:         112
        .size:           4
        .value_kind:     by_value
      - .offset:         116
        .size:           12
        .value_kind:     by_value
      - .offset:         128
        .size:           4
        .value_kind:     by_value
      - .offset:         132
        .size:           4
        .value_kind:     by_value
      - .offset:         136
        .size:           4
        .value_kind:     by_value
      - .offset:         140
        .size:           4
        .value_kind:     by_value
    .group_segment_fixed_size: 0
    .kernarg_segment_align: 8
    .kernarg_segment_size: 144
    .language:       OpenCL C
    .language_version:
      - 2
      - 0
    .max_flat_workgroup_size: 32
    .name:           _ZL13mul_mat_vec_qIL9ggml_type16ELi7ELb0ELb0EEvPKvS2_PKi31ggml_cuda_mm_fusion_args_devicePfj15HIP_vector_typeIjLj3EEjjjS8_jjjS8_jjjj
    .private_segment_fixed_size: 0
    .sgpr_count:     32
    .sgpr_spill_count: 0
    .symbol:         _ZL13mul_mat_vec_qIL9ggml_type16ELi7ELb0ELb0EEvPKvS2_PKi31ggml_cuda_mm_fusion_args_devicePfj15HIP_vector_typeIjLj3EEjjjS8_jjjS8_jjjj.kd
    .uniform_work_group_size: 1
    .uses_dynamic_stack: false
    .vgpr_count:     40
    .vgpr_spill_count: 0
    .wavefront_size: 32
    .workgroup_processor_mode: 1
  - .args:
      - .address_space:  global
        .offset:         0
        .size:           8
        .value_kind:     global_buffer
      - .address_space:  global
        .offset:         8
        .size:           8
        .value_kind:     global_buffer
      - .address_space:  global
        .offset:         16
        .size:           8
        .value_kind:     global_buffer
      - .offset:         24
        .size:           32
        .value_kind:     by_value
      - .address_space:  global
        .offset:         56
        .size:           8
        .value_kind:     global_buffer
      - .offset:         64
        .size:           4
        .value_kind:     by_value
      - .offset:         68
        .size:           12
        .value_kind:     by_value
      - .offset:         80
        .size:           4
        .value_kind:     by_value
      - .offset:         84
        .size:           4
        .value_kind:     by_value
      - .offset:         88
        .size:           4
        .value_kind:     by_value
      - .offset:         92
        .size:           12
        .value_kind:     by_value
      - .offset:         104
        .size:           4
        .value_kind:     by_value
      - .offset:         108
        .size:           4
        .value_kind:     by_value
      - .offset:         112
        .size:           4
        .value_kind:     by_value
      - .offset:         116
        .size:           12
        .value_kind:     by_value
      - .offset:         128
        .size:           4
        .value_kind:     by_value
      - .offset:         132
        .size:           4
        .value_kind:     by_value
      - .offset:         136
        .size:           4
        .value_kind:     by_value
      - .offset:         140
        .size:           4
        .value_kind:     by_value
    .group_segment_fixed_size: 0
    .kernarg_segment_align: 8
    .kernarg_segment_size: 144
    .language:       OpenCL C
    .language_version:
      - 2
      - 0
    .max_flat_workgroup_size: 32
    .name:           _ZL13mul_mat_vec_qIL9ggml_type16ELi8ELb0ELb0EEvPKvS2_PKi31ggml_cuda_mm_fusion_args_devicePfj15HIP_vector_typeIjLj3EEjjjS8_jjjS8_jjjj
    .private_segment_fixed_size: 0
    .sgpr_count:     30
    .sgpr_spill_count: 0
    .symbol:         _ZL13mul_mat_vec_qIL9ggml_type16ELi8ELb0ELb0EEvPKvS2_PKi31ggml_cuda_mm_fusion_args_devicePfj15HIP_vector_typeIjLj3EEjjjS8_jjjS8_jjjj.kd
    .uniform_work_group_size: 1
    .uses_dynamic_stack: false
    .vgpr_count:     36
    .vgpr_spill_count: 0
    .wavefront_size: 32
    .workgroup_processor_mode: 1
  - .args:
      - .address_space:  global
        .offset:         0
        .size:           8
        .value_kind:     global_buffer
      - .address_space:  global
        .offset:         8
        .size:           8
        .value_kind:     global_buffer
      - .address_space:  global
        .offset:         16
        .size:           8
        .value_kind:     global_buffer
      - .address_space:  global
        .offset:         24
        .size:           8
        .value_kind:     global_buffer
      - .offset:         32
        .size:           4
        .value_kind:     by_value
      - .offset:         36
        .size:           12
        .value_kind:     by_value
      - .offset:         48
        .size:           4
        .value_kind:     by_value
      - .offset:         52
        .size:           4
        .value_kind:     by_value
      - .offset:         56
        .size:           4
        .value_kind:     by_value
      - .offset:         60
        .size:           4
        .value_kind:     by_value
      - .offset:         64
        .size:           4
        .value_kind:     by_value
      - .offset:         68
        .size:           4
        .value_kind:     by_value
      - .offset:         72
        .size:           4
        .value_kind:     by_value
      - .offset:         76
        .size:           4
        .value_kind:     by_value
      - .offset:         80
        .size:           4
        .value_kind:     by_value
    .group_segment_fixed_size: 0
    .kernarg_segment_align: 8
    .kernarg_segment_size: 84
    .language:       OpenCL C
    .language_version:
      - 2
      - 0
    .max_flat_workgroup_size: 128
    .name:           _ZL17mul_mat_vec_q_moeIL9ggml_type17ELi2EEvPKvS2_PKiPfj15HIP_vector_typeIjLj3EEjjjjjjjjj
    .private_segment_fixed_size: 0
    .sgpr_count:     26
    .sgpr_spill_count: 0
    .symbol:         _ZL17mul_mat_vec_q_moeIL9ggml_type17ELi2EEvPKvS2_PKiPfj15HIP_vector_typeIjLj3EEjjjjjjjjj.kd
    .uniform_work_group_size: 1
    .uses_dynamic_stack: false
    .vgpr_count:     115
    .vgpr_spill_count: 0
    .wavefront_size: 32
    .workgroup_processor_mode: 1
  - .args:
      - .address_space:  global
        .offset:         0
        .size:           8
        .value_kind:     global_buffer
      - .address_space:  global
        .offset:         8
        .size:           8
        .value_kind:     global_buffer
      - .address_space:  global
        .offset:         16
        .size:           8
        .value_kind:     global_buffer
      - .offset:         24
        .size:           32
        .value_kind:     by_value
      - .address_space:  global
        .offset:         56
        .size:           8
        .value_kind:     global_buffer
      - .offset:         64
        .size:           4
        .value_kind:     by_value
      - .offset:         68
        .size:           12
        .value_kind:     by_value
      - .offset:         80
        .size:           4
        .value_kind:     by_value
      - .offset:         84
        .size:           4
        .value_kind:     by_value
      - .offset:         88
        .size:           4
        .value_kind:     by_value
      - .offset:         92
        .size:           12
        .value_kind:     by_value
      - .offset:         104
        .size:           4
        .value_kind:     by_value
      - .offset:         108
        .size:           4
        .value_kind:     by_value
      - .offset:         112
        .size:           4
        .value_kind:     by_value
      - .offset:         116
        .size:           12
        .value_kind:     by_value
      - .offset:         128
        .size:           4
        .value_kind:     by_value
      - .offset:         132
        .size:           4
        .value_kind:     by_value
      - .offset:         136
        .size:           4
        .value_kind:     by_value
      - .offset:         140
        .size:           4
        .value_kind:     by_value
    .group_segment_fixed_size: 0
    .kernarg_segment_align: 8
    .kernarg_segment_size: 144
    .language:       OpenCL C
    .language_version:
      - 2
      - 0
    .max_flat_workgroup_size: 32
    .name:           _ZL13mul_mat_vec_qIL9ggml_type17ELi1ELb1ELb1EEvPKvS2_PKi31ggml_cuda_mm_fusion_args_devicePfj15HIP_vector_typeIjLj3EEjjjS8_jjjS8_jjjj
    .private_segment_fixed_size: 0
    .sgpr_count:     40
    .sgpr_spill_count: 0
    .symbol:         _ZL13mul_mat_vec_qIL9ggml_type17ELi1ELb1ELb1EEvPKvS2_PKi31ggml_cuda_mm_fusion_args_devicePfj15HIP_vector_typeIjLj3EEjjjS8_jjjS8_jjjj.kd
    .uniform_work_group_size: 1
    .uses_dynamic_stack: false
    .vgpr_count:     91
    .vgpr_spill_count: 0
    .wavefront_size: 32
    .workgroup_processor_mode: 1
  - .args:
      - .address_space:  global
        .offset:         0
        .size:           8
        .value_kind:     global_buffer
      - .address_space:  global
        .offset:         8
        .size:           8
        .value_kind:     global_buffer
      - .address_space:  global
        .offset:         16
        .size:           8
        .value_kind:     global_buffer
      - .offset:         24
        .size:           32
        .value_kind:     by_value
      - .address_space:  global
        .offset:         56
        .size:           8
        .value_kind:     global_buffer
      - .offset:         64
        .size:           4
        .value_kind:     by_value
      - .offset:         68
        .size:           12
        .value_kind:     by_value
      - .offset:         80
        .size:           4
        .value_kind:     by_value
      - .offset:         84
        .size:           4
        .value_kind:     by_value
      - .offset:         88
        .size:           4
        .value_kind:     by_value
      - .offset:         92
        .size:           12
        .value_kind:     by_value
      - .offset:         104
        .size:           4
        .value_kind:     by_value
      - .offset:         108
        .size:           4
        .value_kind:     by_value
      - .offset:         112
        .size:           4
        .value_kind:     by_value
      - .offset:         116
        .size:           12
        .value_kind:     by_value
      - .offset:         128
        .size:           4
        .value_kind:     by_value
      - .offset:         132
        .size:           4
        .value_kind:     by_value
      - .offset:         136
        .size:           4
        .value_kind:     by_value
      - .offset:         140
        .size:           4
        .value_kind:     by_value
    .group_segment_fixed_size: 0
    .kernarg_segment_align: 8
    .kernarg_segment_size: 144
    .language:       OpenCL C
    .language_version:
      - 2
      - 0
    .max_flat_workgroup_size: 32
    .name:           _ZL13mul_mat_vec_qIL9ggml_type17ELi1ELb0ELb1EEvPKvS2_PKi31ggml_cuda_mm_fusion_args_devicePfj15HIP_vector_typeIjLj3EEjjjS8_jjjS8_jjjj
    .private_segment_fixed_size: 0
    .sgpr_count:     24
    .sgpr_spill_count: 0
    .symbol:         _ZL13mul_mat_vec_qIL9ggml_type17ELi1ELb0ELb1EEvPKvS2_PKi31ggml_cuda_mm_fusion_args_devicePfj15HIP_vector_typeIjLj3EEjjjS8_jjjS8_jjjj.kd
    .uniform_work_group_size: 1
    .uses_dynamic_stack: false
    .vgpr_count:     75
    .vgpr_spill_count: 0
    .wavefront_size: 32
    .workgroup_processor_mode: 1
  - .args:
      - .address_space:  global
        .offset:         0
        .size:           8
        .value_kind:     global_buffer
      - .address_space:  global
        .offset:         8
        .size:           8
        .value_kind:     global_buffer
      - .address_space:  global
        .offset:         16
        .size:           8
        .value_kind:     global_buffer
      - .offset:         24
        .size:           32
        .value_kind:     by_value
      - .address_space:  global
        .offset:         56
        .size:           8
        .value_kind:     global_buffer
      - .offset:         64
        .size:           4
        .value_kind:     by_value
      - .offset:         68
        .size:           12
        .value_kind:     by_value
      - .offset:         80
        .size:           4
        .value_kind:     by_value
      - .offset:         84
        .size:           4
        .value_kind:     by_value
      - .offset:         88
        .size:           4
        .value_kind:     by_value
      - .offset:         92
        .size:           12
        .value_kind:     by_value
      - .offset:         104
        .size:           4
        .value_kind:     by_value
      - .offset:         108
        .size:           4
        .value_kind:     by_value
      - .offset:         112
        .size:           4
        .value_kind:     by_value
      - .offset:         116
        .size:           12
        .value_kind:     by_value
      - .offset:         128
        .size:           4
        .value_kind:     by_value
      - .offset:         132
        .size:           4
        .value_kind:     by_value
      - .offset:         136
        .size:           4
        .value_kind:     by_value
      - .offset:         140
        .size:           4
        .value_kind:     by_value
    .group_segment_fixed_size: 0
    .kernarg_segment_align: 8
    .kernarg_segment_size: 144
    .language:       OpenCL C
    .language_version:
      - 2
      - 0
    .max_flat_workgroup_size: 32
    .name:           _ZL13mul_mat_vec_qIL9ggml_type17ELi1ELb1ELb0EEvPKvS2_PKi31ggml_cuda_mm_fusion_args_devicePfj15HIP_vector_typeIjLj3EEjjjS8_jjjS8_jjjj
    .private_segment_fixed_size: 0
    .sgpr_count:     40
    .sgpr_spill_count: 0
    .symbol:         _ZL13mul_mat_vec_qIL9ggml_type17ELi1ELb1ELb0EEvPKvS2_PKi31ggml_cuda_mm_fusion_args_devicePfj15HIP_vector_typeIjLj3EEjjjS8_jjjS8_jjjj.kd
    .uniform_work_group_size: 1
    .uses_dynamic_stack: false
    .vgpr_count:     91
    .vgpr_spill_count: 0
    .wavefront_size: 32
    .workgroup_processor_mode: 1
  - .args:
      - .address_space:  global
        .offset:         0
        .size:           8
        .value_kind:     global_buffer
      - .address_space:  global
        .offset:         8
        .size:           8
        .value_kind:     global_buffer
      - .address_space:  global
        .offset:         16
        .size:           8
        .value_kind:     global_buffer
      - .offset:         24
        .size:           32
        .value_kind:     by_value
      - .address_space:  global
        .offset:         56
        .size:           8
        .value_kind:     global_buffer
      - .offset:         64
        .size:           4
        .value_kind:     by_value
      - .offset:         68
        .size:           12
        .value_kind:     by_value
      - .offset:         80
        .size:           4
        .value_kind:     by_value
      - .offset:         84
        .size:           4
        .value_kind:     by_value
      - .offset:         88
        .size:           4
        .value_kind:     by_value
      - .offset:         92
        .size:           12
        .value_kind:     by_value
      - .offset:         104
        .size:           4
        .value_kind:     by_value
      - .offset:         108
        .size:           4
        .value_kind:     by_value
      - .offset:         112
        .size:           4
        .value_kind:     by_value
      - .offset:         116
        .size:           12
        .value_kind:     by_value
      - .offset:         128
        .size:           4
        .value_kind:     by_value
      - .offset:         132
        .size:           4
        .value_kind:     by_value
      - .offset:         136
        .size:           4
        .value_kind:     by_value
      - .offset:         140
        .size:           4
        .value_kind:     by_value
    .group_segment_fixed_size: 0
    .kernarg_segment_align: 8
    .kernarg_segment_size: 144
    .language:       OpenCL C
    .language_version:
      - 2
      - 0
    .max_flat_workgroup_size: 32
    .name:           _ZL13mul_mat_vec_qIL9ggml_type17ELi1ELb0ELb0EEvPKvS2_PKi31ggml_cuda_mm_fusion_args_devicePfj15HIP_vector_typeIjLj3EEjjjS8_jjjS8_jjjj
    .private_segment_fixed_size: 0
    .sgpr_count:     24
    .sgpr_spill_count: 0
    .symbol:         _ZL13mul_mat_vec_qIL9ggml_type17ELi1ELb0ELb0EEvPKvS2_PKi31ggml_cuda_mm_fusion_args_devicePfj15HIP_vector_typeIjLj3EEjjjS8_jjjS8_jjjj.kd
    .uniform_work_group_size: 1
    .uses_dynamic_stack: false
    .vgpr_count:     75
    .vgpr_spill_count: 0
    .wavefront_size: 32
    .workgroup_processor_mode: 1
  - .args:
      - .address_space:  global
        .offset:         0
        .size:           8
        .value_kind:     global_buffer
      - .address_space:  global
        .offset:         8
        .size:           8
        .value_kind:     global_buffer
      - .address_space:  global
        .offset:         16
        .size:           8
        .value_kind:     global_buffer
      - .offset:         24
        .size:           32
        .value_kind:     by_value
      - .address_space:  global
        .offset:         56
        .size:           8
        .value_kind:     global_buffer
      - .offset:         64
        .size:           4
        .value_kind:     by_value
      - .offset:         68
        .size:           12
        .value_kind:     by_value
      - .offset:         80
        .size:           4
        .value_kind:     by_value
      - .offset:         84
        .size:           4
        .value_kind:     by_value
      - .offset:         88
        .size:           4
        .value_kind:     by_value
      - .offset:         92
        .size:           12
        .value_kind:     by_value
      - .offset:         104
        .size:           4
        .value_kind:     by_value
      - .offset:         108
        .size:           4
        .value_kind:     by_value
      - .offset:         112
        .size:           4
        .value_kind:     by_value
      - .offset:         116
        .size:           12
        .value_kind:     by_value
      - .offset:         128
        .size:           4
        .value_kind:     by_value
      - .offset:         132
        .size:           4
        .value_kind:     by_value
      - .offset:         136
        .size:           4
        .value_kind:     by_value
      - .offset:         140
        .size:           4
        .value_kind:     by_value
    .group_segment_fixed_size: 0
    .kernarg_segment_align: 8
    .kernarg_segment_size: 144
    .language:       OpenCL C
    .language_version:
      - 2
      - 0
    .max_flat_workgroup_size: 32
    .name:           _ZL13mul_mat_vec_qIL9ggml_type17ELi2ELb0ELb0EEvPKvS2_PKi31ggml_cuda_mm_fusion_args_devicePfj15HIP_vector_typeIjLj3EEjjjS8_jjjS8_jjjj
    .private_segment_fixed_size: 0
    .sgpr_count:     30
    .sgpr_spill_count: 0
    .symbol:         _ZL13mul_mat_vec_qIL9ggml_type17ELi2ELb0ELb0EEvPKvS2_PKi31ggml_cuda_mm_fusion_args_devicePfj15HIP_vector_typeIjLj3EEjjjS8_jjjS8_jjjj.kd
    .uniform_work_group_size: 1
    .uses_dynamic_stack: false
    .vgpr_count:     88
    .vgpr_spill_count: 0
    .wavefront_size: 32
    .workgroup_processor_mode: 1
  - .args:
      - .address_space:  global
        .offset:         0
        .size:           8
        .value_kind:     global_buffer
      - .address_space:  global
        .offset:         8
        .size:           8
        .value_kind:     global_buffer
      - .address_space:  global
        .offset:         16
        .size:           8
        .value_kind:     global_buffer
      - .offset:         24
        .size:           32
        .value_kind:     by_value
      - .address_space:  global
        .offset:         56
        .size:           8
        .value_kind:     global_buffer
      - .offset:         64
        .size:           4
        .value_kind:     by_value
      - .offset:         68
        .size:           12
        .value_kind:     by_value
      - .offset:         80
        .size:           4
        .value_kind:     by_value
      - .offset:         84
        .size:           4
        .value_kind:     by_value
      - .offset:         88
        .size:           4
        .value_kind:     by_value
      - .offset:         92
        .size:           12
        .value_kind:     by_value
      - .offset:         104
        .size:           4
        .value_kind:     by_value
      - .offset:         108
        .size:           4
        .value_kind:     by_value
      - .offset:         112
        .size:           4
        .value_kind:     by_value
      - .offset:         116
        .size:           12
        .value_kind:     by_value
      - .offset:         128
        .size:           4
        .value_kind:     by_value
      - .offset:         132
        .size:           4
        .value_kind:     by_value
      - .offset:         136
        .size:           4
        .value_kind:     by_value
      - .offset:         140
        .size:           4
        .value_kind:     by_value
    .group_segment_fixed_size: 0
    .kernarg_segment_align: 8
    .kernarg_segment_size: 144
    .language:       OpenCL C
    .language_version:
      - 2
      - 0
    .max_flat_workgroup_size: 32
    .name:           _ZL13mul_mat_vec_qIL9ggml_type17ELi3ELb0ELb0EEvPKvS2_PKi31ggml_cuda_mm_fusion_args_devicePfj15HIP_vector_typeIjLj3EEjjjS8_jjjS8_jjjj
    .private_segment_fixed_size: 0
    .sgpr_count:     30
    .sgpr_spill_count: 0
    .symbol:         _ZL13mul_mat_vec_qIL9ggml_type17ELi3ELb0ELb0EEvPKvS2_PKi31ggml_cuda_mm_fusion_args_devicePfj15HIP_vector_typeIjLj3EEjjjS8_jjjS8_jjjj.kd
    .uniform_work_group_size: 1
    .uses_dynamic_stack: false
    .vgpr_count:     93
    .vgpr_spill_count: 0
    .wavefront_size: 32
    .workgroup_processor_mode: 1
  - .args:
      - .address_space:  global
        .offset:         0
        .size:           8
        .value_kind:     global_buffer
      - .address_space:  global
        .offset:         8
        .size:           8
        .value_kind:     global_buffer
      - .address_space:  global
        .offset:         16
        .size:           8
        .value_kind:     global_buffer
      - .offset:         24
        .size:           32
        .value_kind:     by_value
      - .address_space:  global
        .offset:         56
        .size:           8
        .value_kind:     global_buffer
      - .offset:         64
        .size:           4
        .value_kind:     by_value
      - .offset:         68
        .size:           12
        .value_kind:     by_value
      - .offset:         80
        .size:           4
        .value_kind:     by_value
      - .offset:         84
        .size:           4
        .value_kind:     by_value
      - .offset:         88
        .size:           4
        .value_kind:     by_value
      - .offset:         92
        .size:           12
        .value_kind:     by_value
      - .offset:         104
        .size:           4
        .value_kind:     by_value
      - .offset:         108
        .size:           4
        .value_kind:     by_value
      - .offset:         112
        .size:           4
        .value_kind:     by_value
      - .offset:         116
        .size:           12
        .value_kind:     by_value
      - .offset:         128
        .size:           4
        .value_kind:     by_value
      - .offset:         132
        .size:           4
        .value_kind:     by_value
      - .offset:         136
        .size:           4
        .value_kind:     by_value
      - .offset:         140
        .size:           4
        .value_kind:     by_value
    .group_segment_fixed_size: 0
    .kernarg_segment_align: 8
    .kernarg_segment_size: 144
    .language:       OpenCL C
    .language_version:
      - 2
      - 0
    .max_flat_workgroup_size: 32
    .name:           _ZL13mul_mat_vec_qIL9ggml_type17ELi4ELb0ELb0EEvPKvS2_PKi31ggml_cuda_mm_fusion_args_devicePfj15HIP_vector_typeIjLj3EEjjjS8_jjjS8_jjjj
    .private_segment_fixed_size: 0
    .sgpr_count:     28
    .sgpr_spill_count: 0
    .symbol:         _ZL13mul_mat_vec_qIL9ggml_type17ELi4ELb0ELb0EEvPKvS2_PKi31ggml_cuda_mm_fusion_args_devicePfj15HIP_vector_typeIjLj3EEjjjS8_jjjS8_jjjj.kd
    .uniform_work_group_size: 1
    .uses_dynamic_stack: false
    .vgpr_count:     94
    .vgpr_spill_count: 0
    .wavefront_size: 32
    .workgroup_processor_mode: 1
  - .args:
      - .address_space:  global
        .offset:         0
        .size:           8
        .value_kind:     global_buffer
      - .address_space:  global
        .offset:         8
        .size:           8
        .value_kind:     global_buffer
      - .address_space:  global
        .offset:         16
        .size:           8
        .value_kind:     global_buffer
      - .offset:         24
        .size:           32
        .value_kind:     by_value
      - .address_space:  global
        .offset:         56
        .size:           8
        .value_kind:     global_buffer
      - .offset:         64
        .size:           4
        .value_kind:     by_value
      - .offset:         68
        .size:           12
        .value_kind:     by_value
      - .offset:         80
        .size:           4
        .value_kind:     by_value
      - .offset:         84
        .size:           4
        .value_kind:     by_value
      - .offset:         88
        .size:           4
        .value_kind:     by_value
      - .offset:         92
        .size:           12
        .value_kind:     by_value
      - .offset:         104
        .size:           4
        .value_kind:     by_value
      - .offset:         108
        .size:           4
        .value_kind:     by_value
      - .offset:         112
        .size:           4
        .value_kind:     by_value
      - .offset:         116
        .size:           12
        .value_kind:     by_value
      - .offset:         128
        .size:           4
        .value_kind:     by_value
      - .offset:         132
        .size:           4
        .value_kind:     by_value
      - .offset:         136
        .size:           4
        .value_kind:     by_value
      - .offset:         140
        .size:           4
        .value_kind:     by_value
    .group_segment_fixed_size: 0
    .kernarg_segment_align: 8
    .kernarg_segment_size: 144
    .language:       OpenCL C
    .language_version:
      - 2
      - 0
    .max_flat_workgroup_size: 32
    .name:           _ZL13mul_mat_vec_qIL9ggml_type17ELi5ELb0ELb0EEvPKvS2_PKi31ggml_cuda_mm_fusion_args_devicePfj15HIP_vector_typeIjLj3EEjjjS8_jjjS8_jjjj
    .private_segment_fixed_size: 0
    .sgpr_count:     32
    .sgpr_spill_count: 0
    .symbol:         _ZL13mul_mat_vec_qIL9ggml_type17ELi5ELb0ELb0EEvPKvS2_PKi31ggml_cuda_mm_fusion_args_devicePfj15HIP_vector_typeIjLj3EEjjjS8_jjjS8_jjjj.kd
    .uniform_work_group_size: 1
    .uses_dynamic_stack: false
    .vgpr_count:     38
    .vgpr_spill_count: 0
    .wavefront_size: 32
    .workgroup_processor_mode: 1
  - .args:
      - .address_space:  global
        .offset:         0
        .size:           8
        .value_kind:     global_buffer
      - .address_space:  global
        .offset:         8
        .size:           8
        .value_kind:     global_buffer
      - .address_space:  global
        .offset:         16
        .size:           8
        .value_kind:     global_buffer
      - .offset:         24
        .size:           32
        .value_kind:     by_value
      - .address_space:  global
        .offset:         56
        .size:           8
        .value_kind:     global_buffer
      - .offset:         64
        .size:           4
        .value_kind:     by_value
      - .offset:         68
        .size:           12
        .value_kind:     by_value
      - .offset:         80
        .size:           4
        .value_kind:     by_value
      - .offset:         84
        .size:           4
        .value_kind:     by_value
      - .offset:         88
        .size:           4
        .value_kind:     by_value
      - .offset:         92
        .size:           12
        .value_kind:     by_value
      - .offset:         104
        .size:           4
        .value_kind:     by_value
      - .offset:         108
        .size:           4
        .value_kind:     by_value
      - .offset:         112
        .size:           4
        .value_kind:     by_value
      - .offset:         116
        .size:           12
        .value_kind:     by_value
      - .offset:         128
        .size:           4
        .value_kind:     by_value
      - .offset:         132
        .size:           4
        .value_kind:     by_value
      - .offset:         136
        .size:           4
        .value_kind:     by_value
      - .offset:         140
        .size:           4
        .value_kind:     by_value
    .group_segment_fixed_size: 0
    .kernarg_segment_align: 8
    .kernarg_segment_size: 144
    .language:       OpenCL C
    .language_version:
      - 2
      - 0
    .max_flat_workgroup_size: 32
    .name:           _ZL13mul_mat_vec_qIL9ggml_type17ELi6ELb0ELb0EEvPKvS2_PKi31ggml_cuda_mm_fusion_args_devicePfj15HIP_vector_typeIjLj3EEjjjS8_jjjS8_jjjj
    .private_segment_fixed_size: 0
    .sgpr_count:     30
    .sgpr_spill_count: 0
    .symbol:         _ZL13mul_mat_vec_qIL9ggml_type17ELi6ELb0ELb0EEvPKvS2_PKi31ggml_cuda_mm_fusion_args_devicePfj15HIP_vector_typeIjLj3EEjjjS8_jjjS8_jjjj.kd
    .uniform_work_group_size: 1
    .uses_dynamic_stack: false
    .vgpr_count:     40
    .vgpr_spill_count: 0
    .wavefront_size: 32
    .workgroup_processor_mode: 1
  - .args:
      - .address_space:  global
        .offset:         0
        .size:           8
        .value_kind:     global_buffer
      - .address_space:  global
        .offset:         8
        .size:           8
        .value_kind:     global_buffer
      - .address_space:  global
        .offset:         16
        .size:           8
        .value_kind:     global_buffer
      - .offset:         24
        .size:           32
        .value_kind:     by_value
      - .address_space:  global
        .offset:         56
        .size:           8
        .value_kind:     global_buffer
      - .offset:         64
        .size:           4
        .value_kind:     by_value
      - .offset:         68
        .size:           12
        .value_kind:     by_value
      - .offset:         80
        .size:           4
        .value_kind:     by_value
      - .offset:         84
        .size:           4
        .value_kind:     by_value
      - .offset:         88
        .size:           4
        .value_kind:     by_value
      - .offset:         92
        .size:           12
        .value_kind:     by_value
      - .offset:         104
        .size:           4
        .value_kind:     by_value
      - .offset:         108
        .size:           4
        .value_kind:     by_value
      - .offset:         112
        .size:           4
        .value_kind:     by_value
      - .offset:         116
        .size:           12
        .value_kind:     by_value
      - .offset:         128
        .size:           4
        .value_kind:     by_value
      - .offset:         132
        .size:           4
        .value_kind:     by_value
      - .offset:         136
        .size:           4
        .value_kind:     by_value
      - .offset:         140
        .size:           4
        .value_kind:     by_value
    .group_segment_fixed_size: 0
    .kernarg_segment_align: 8
    .kernarg_segment_size: 144
    .language:       OpenCL C
    .language_version:
      - 2
      - 0
    .max_flat_workgroup_size: 32
    .name:           _ZL13mul_mat_vec_qIL9ggml_type17ELi7ELb0ELb0EEvPKvS2_PKi31ggml_cuda_mm_fusion_args_devicePfj15HIP_vector_typeIjLj3EEjjjS8_jjjS8_jjjj
    .private_segment_fixed_size: 0
    .sgpr_count:     32
    .sgpr_spill_count: 0
    .symbol:         _ZL13mul_mat_vec_qIL9ggml_type17ELi7ELb0ELb0EEvPKvS2_PKi31ggml_cuda_mm_fusion_args_devicePfj15HIP_vector_typeIjLj3EEjjjS8_jjjS8_jjjj.kd
    .uniform_work_group_size: 1
    .uses_dynamic_stack: false
    .vgpr_count:     42
    .vgpr_spill_count: 0
    .wavefront_size: 32
    .workgroup_processor_mode: 1
  - .args:
      - .address_space:  global
        .offset:         0
        .size:           8
        .value_kind:     global_buffer
      - .address_space:  global
        .offset:         8
        .size:           8
        .value_kind:     global_buffer
      - .address_space:  global
        .offset:         16
        .size:           8
        .value_kind:     global_buffer
      - .offset:         24
        .size:           32
        .value_kind:     by_value
      - .address_space:  global
        .offset:         56
        .size:           8
        .value_kind:     global_buffer
      - .offset:         64
        .size:           4
        .value_kind:     by_value
      - .offset:         68
        .size:           12
        .value_kind:     by_value
      - .offset:         80
        .size:           4
        .value_kind:     by_value
      - .offset:         84
        .size:           4
        .value_kind:     by_value
      - .offset:         88
        .size:           4
        .value_kind:     by_value
      - .offset:         92
        .size:           12
        .value_kind:     by_value
      - .offset:         104
        .size:           4
        .value_kind:     by_value
      - .offset:         108
        .size:           4
        .value_kind:     by_value
      - .offset:         112
        .size:           4
        .value_kind:     by_value
      - .offset:         116
        .size:           12
        .value_kind:     by_value
      - .offset:         128
        .size:           4
        .value_kind:     by_value
      - .offset:         132
        .size:           4
        .value_kind:     by_value
      - .offset:         136
        .size:           4
        .value_kind:     by_value
      - .offset:         140
        .size:           4
        .value_kind:     by_value
    .group_segment_fixed_size: 0
    .kernarg_segment_align: 8
    .kernarg_segment_size: 144
    .language:       OpenCL C
    .language_version:
      - 2
      - 0
    .max_flat_workgroup_size: 32
    .name:           _ZL13mul_mat_vec_qIL9ggml_type17ELi8ELb0ELb0EEvPKvS2_PKi31ggml_cuda_mm_fusion_args_devicePfj15HIP_vector_typeIjLj3EEjjjS8_jjjS8_jjjj
    .private_segment_fixed_size: 0
    .sgpr_count:     30
    .sgpr_spill_count: 0
    .symbol:         _ZL13mul_mat_vec_qIL9ggml_type17ELi8ELb0ELb0EEvPKvS2_PKi31ggml_cuda_mm_fusion_args_devicePfj15HIP_vector_typeIjLj3EEjjjS8_jjjS8_jjjj.kd
    .uniform_work_group_size: 1
    .uses_dynamic_stack: false
    .vgpr_count:     38
    .vgpr_spill_count: 0
    .wavefront_size: 32
    .workgroup_processor_mode: 1
  - .args:
      - .address_space:  global
        .offset:         0
        .size:           8
        .value_kind:     global_buffer
      - .address_space:  global
        .offset:         8
        .size:           8
        .value_kind:     global_buffer
      - .address_space:  global
        .offset:         16
        .size:           8
        .value_kind:     global_buffer
      - .address_space:  global
        .offset:         24
        .size:           8
        .value_kind:     global_buffer
      - .offset:         32
        .size:           4
        .value_kind:     by_value
      - .offset:         36
        .size:           12
        .value_kind:     by_value
      - .offset:         48
        .size:           4
        .value_kind:     by_value
      - .offset:         52
        .size:           4
        .value_kind:     by_value
      - .offset:         56
        .size:           4
        .value_kind:     by_value
      - .offset:         60
        .size:           4
        .value_kind:     by_value
      - .offset:         64
        .size:           4
        .value_kind:     by_value
      - .offset:         68
        .size:           4
        .value_kind:     by_value
      - .offset:         72
        .size:           4
        .value_kind:     by_value
      - .offset:         76
        .size:           4
        .value_kind:     by_value
      - .offset:         80
        .size:           4
        .value_kind:     by_value
    .group_segment_fixed_size: 0
    .kernarg_segment_align: 8
    .kernarg_segment_size: 84
    .language:       OpenCL C
    .language_version:
      - 2
      - 0
    .max_flat_workgroup_size: 128
    .name:           _ZL17mul_mat_vec_q_moeIL9ggml_type22ELi2EEvPKvS2_PKiPfj15HIP_vector_typeIjLj3EEjjjjjjjjj
    .private_segment_fixed_size: 0
    .sgpr_count:     26
    .sgpr_spill_count: 0
    .symbol:         _ZL17mul_mat_vec_q_moeIL9ggml_type22ELi2EEvPKvS2_PKiPfj15HIP_vector_typeIjLj3EEjjjjjjjjj.kd
    .uniform_work_group_size: 1
    .uses_dynamic_stack: false
    .vgpr_count:     118
    .vgpr_spill_count: 0
    .wavefront_size: 32
    .workgroup_processor_mode: 1
  - .args:
      - .address_space:  global
        .offset:         0
        .size:           8
        .value_kind:     global_buffer
      - .address_space:  global
        .offset:         8
        .size:           8
        .value_kind:     global_buffer
      - .address_space:  global
        .offset:         16
        .size:           8
        .value_kind:     global_buffer
      - .offset:         24
        .size:           32
        .value_kind:     by_value
      - .address_space:  global
        .offset:         56
        .size:           8
        .value_kind:     global_buffer
      - .offset:         64
        .size:           4
        .value_kind:     by_value
      - .offset:         68
        .size:           12
        .value_kind:     by_value
      - .offset:         80
        .size:           4
        .value_kind:     by_value
      - .offset:         84
        .size:           4
        .value_kind:     by_value
      - .offset:         88
        .size:           4
        .value_kind:     by_value
      - .offset:         92
        .size:           12
        .value_kind:     by_value
      - .offset:         104
        .size:           4
        .value_kind:     by_value
      - .offset:         108
        .size:           4
        .value_kind:     by_value
      - .offset:         112
        .size:           4
        .value_kind:     by_value
      - .offset:         116
        .size:           12
        .value_kind:     by_value
      - .offset:         128
        .size:           4
        .value_kind:     by_value
      - .offset:         132
        .size:           4
        .value_kind:     by_value
      - .offset:         136
        .size:           4
        .value_kind:     by_value
      - .offset:         140
        .size:           4
        .value_kind:     by_value
    .group_segment_fixed_size: 0
    .kernarg_segment_align: 8
    .kernarg_segment_size: 144
    .language:       OpenCL C
    .language_version:
      - 2
      - 0
    .max_flat_workgroup_size: 32
    .name:           _ZL13mul_mat_vec_qIL9ggml_type22ELi1ELb1ELb1EEvPKvS2_PKi31ggml_cuda_mm_fusion_args_devicePfj15HIP_vector_typeIjLj3EEjjjS8_jjjS8_jjjj
    .private_segment_fixed_size: 0
    .sgpr_count:     40
    .sgpr_spill_count: 0
    .symbol:         _ZL13mul_mat_vec_qIL9ggml_type22ELi1ELb1ELb1EEvPKvS2_PKi31ggml_cuda_mm_fusion_args_devicePfj15HIP_vector_typeIjLj3EEjjjS8_jjjS8_jjjj.kd
    .uniform_work_group_size: 1
    .uses_dynamic_stack: false
    .vgpr_count:     90
    .vgpr_spill_count: 0
    .wavefront_size: 32
    .workgroup_processor_mode: 1
  - .args:
      - .address_space:  global
        .offset:         0
        .size:           8
        .value_kind:     global_buffer
      - .address_space:  global
        .offset:         8
        .size:           8
        .value_kind:     global_buffer
      - .address_space:  global
        .offset:         16
        .size:           8
        .value_kind:     global_buffer
      - .offset:         24
        .size:           32
        .value_kind:     by_value
      - .address_space:  global
        .offset:         56
        .size:           8
        .value_kind:     global_buffer
      - .offset:         64
        .size:           4
        .value_kind:     by_value
      - .offset:         68
        .size:           12
        .value_kind:     by_value
      - .offset:         80
        .size:           4
        .value_kind:     by_value
      - .offset:         84
        .size:           4
        .value_kind:     by_value
      - .offset:         88
        .size:           4
        .value_kind:     by_value
      - .offset:         92
        .size:           12
        .value_kind:     by_value
      - .offset:         104
        .size:           4
        .value_kind:     by_value
      - .offset:         108
        .size:           4
        .value_kind:     by_value
      - .offset:         112
        .size:           4
        .value_kind:     by_value
      - .offset:         116
        .size:           12
        .value_kind:     by_value
      - .offset:         128
        .size:           4
        .value_kind:     by_value
      - .offset:         132
        .size:           4
        .value_kind:     by_value
      - .offset:         136
        .size:           4
        .value_kind:     by_value
      - .offset:         140
        .size:           4
        .value_kind:     by_value
    .group_segment_fixed_size: 0
    .kernarg_segment_align: 8
    .kernarg_segment_size: 144
    .language:       OpenCL C
    .language_version:
      - 2
      - 0
    .max_flat_workgroup_size: 32
    .name:           _ZL13mul_mat_vec_qIL9ggml_type22ELi1ELb0ELb1EEvPKvS2_PKi31ggml_cuda_mm_fusion_args_devicePfj15HIP_vector_typeIjLj3EEjjjS8_jjjS8_jjjj
    .private_segment_fixed_size: 0
    .sgpr_count:     24
    .sgpr_spill_count: 0
    .symbol:         _ZL13mul_mat_vec_qIL9ggml_type22ELi1ELb0ELb1EEvPKvS2_PKi31ggml_cuda_mm_fusion_args_devicePfj15HIP_vector_typeIjLj3EEjjjS8_jjjS8_jjjj.kd
    .uniform_work_group_size: 1
    .uses_dynamic_stack: false
    .vgpr_count:     75
    .vgpr_spill_count: 0
    .wavefront_size: 32
    .workgroup_processor_mode: 1
  - .args:
      - .address_space:  global
        .offset:         0
        .size:           8
        .value_kind:     global_buffer
      - .address_space:  global
        .offset:         8
        .size:           8
        .value_kind:     global_buffer
      - .address_space:  global
        .offset:         16
        .size:           8
        .value_kind:     global_buffer
      - .offset:         24
        .size:           32
        .value_kind:     by_value
      - .address_space:  global
        .offset:         56
        .size:           8
        .value_kind:     global_buffer
      - .offset:         64
        .size:           4
        .value_kind:     by_value
      - .offset:         68
        .size:           12
        .value_kind:     by_value
      - .offset:         80
        .size:           4
        .value_kind:     by_value
      - .offset:         84
        .size:           4
        .value_kind:     by_value
      - .offset:         88
        .size:           4
        .value_kind:     by_value
      - .offset:         92
        .size:           12
        .value_kind:     by_value
      - .offset:         104
        .size:           4
        .value_kind:     by_value
      - .offset:         108
        .size:           4
        .value_kind:     by_value
      - .offset:         112
        .size:           4
        .value_kind:     by_value
      - .offset:         116
        .size:           12
        .value_kind:     by_value
      - .offset:         128
        .size:           4
        .value_kind:     by_value
      - .offset:         132
        .size:           4
        .value_kind:     by_value
      - .offset:         136
        .size:           4
        .value_kind:     by_value
      - .offset:         140
        .size:           4
        .value_kind:     by_value
    .group_segment_fixed_size: 0
    .kernarg_segment_align: 8
    .kernarg_segment_size: 144
    .language:       OpenCL C
    .language_version:
      - 2
      - 0
    .max_flat_workgroup_size: 32
    .name:           _ZL13mul_mat_vec_qIL9ggml_type22ELi1ELb1ELb0EEvPKvS2_PKi31ggml_cuda_mm_fusion_args_devicePfj15HIP_vector_typeIjLj3EEjjjS8_jjjS8_jjjj
    .private_segment_fixed_size: 0
    .sgpr_count:     40
    .sgpr_spill_count: 0
    .symbol:         _ZL13mul_mat_vec_qIL9ggml_type22ELi1ELb1ELb0EEvPKvS2_PKi31ggml_cuda_mm_fusion_args_devicePfj15HIP_vector_typeIjLj3EEjjjS8_jjjS8_jjjj.kd
    .uniform_work_group_size: 1
    .uses_dynamic_stack: false
    .vgpr_count:     90
    .vgpr_spill_count: 0
    .wavefront_size: 32
    .workgroup_processor_mode: 1
  - .args:
      - .address_space:  global
        .offset:         0
        .size:           8
        .value_kind:     global_buffer
      - .address_space:  global
        .offset:         8
        .size:           8
        .value_kind:     global_buffer
      - .address_space:  global
        .offset:         16
        .size:           8
        .value_kind:     global_buffer
      - .offset:         24
        .size:           32
        .value_kind:     by_value
      - .address_space:  global
        .offset:         56
        .size:           8
        .value_kind:     global_buffer
      - .offset:         64
        .size:           4
        .value_kind:     by_value
      - .offset:         68
        .size:           12
        .value_kind:     by_value
      - .offset:         80
        .size:           4
        .value_kind:     by_value
      - .offset:         84
        .size:           4
        .value_kind:     by_value
      - .offset:         88
        .size:           4
        .value_kind:     by_value
      - .offset:         92
        .size:           12
        .value_kind:     by_value
      - .offset:         104
        .size:           4
        .value_kind:     by_value
      - .offset:         108
        .size:           4
        .value_kind:     by_value
      - .offset:         112
        .size:           4
        .value_kind:     by_value
      - .offset:         116
        .size:           12
        .value_kind:     by_value
      - .offset:         128
        .size:           4
        .value_kind:     by_value
      - .offset:         132
        .size:           4
        .value_kind:     by_value
      - .offset:         136
        .size:           4
        .value_kind:     by_value
      - .offset:         140
        .size:           4
        .value_kind:     by_value
    .group_segment_fixed_size: 0
    .kernarg_segment_align: 8
    .kernarg_segment_size: 144
    .language:       OpenCL C
    .language_version:
      - 2
      - 0
    .max_flat_workgroup_size: 32
    .name:           _ZL13mul_mat_vec_qIL9ggml_type22ELi1ELb0ELb0EEvPKvS2_PKi31ggml_cuda_mm_fusion_args_devicePfj15HIP_vector_typeIjLj3EEjjjS8_jjjS8_jjjj
    .private_segment_fixed_size: 0
    .sgpr_count:     24
    .sgpr_spill_count: 0
    .symbol:         _ZL13mul_mat_vec_qIL9ggml_type22ELi1ELb0ELb0EEvPKvS2_PKi31ggml_cuda_mm_fusion_args_devicePfj15HIP_vector_typeIjLj3EEjjjS8_jjjS8_jjjj.kd
    .uniform_work_group_size: 1
    .uses_dynamic_stack: false
    .vgpr_count:     75
    .vgpr_spill_count: 0
    .wavefront_size: 32
    .workgroup_processor_mode: 1
  - .args:
      - .address_space:  global
        .offset:         0
        .size:           8
        .value_kind:     global_buffer
      - .address_space:  global
        .offset:         8
        .size:           8
        .value_kind:     global_buffer
      - .address_space:  global
        .offset:         16
        .size:           8
        .value_kind:     global_buffer
      - .offset:         24
        .size:           32
        .value_kind:     by_value
      - .address_space:  global
        .offset:         56
        .size:           8
        .value_kind:     global_buffer
      - .offset:         64
        .size:           4
        .value_kind:     by_value
      - .offset:         68
        .size:           12
        .value_kind:     by_value
      - .offset:         80
        .size:           4
        .value_kind:     by_value
      - .offset:         84
        .size:           4
        .value_kind:     by_value
      - .offset:         88
        .size:           4
        .value_kind:     by_value
      - .offset:         92
        .size:           12
        .value_kind:     by_value
      - .offset:         104
        .size:           4
        .value_kind:     by_value
      - .offset:         108
        .size:           4
        .value_kind:     by_value
      - .offset:         112
        .size:           4
        .value_kind:     by_value
      - .offset:         116
        .size:           12
        .value_kind:     by_value
      - .offset:         128
        .size:           4
        .value_kind:     by_value
      - .offset:         132
        .size:           4
        .value_kind:     by_value
      - .offset:         136
        .size:           4
        .value_kind:     by_value
      - .offset:         140
        .size:           4
        .value_kind:     by_value
    .group_segment_fixed_size: 0
    .kernarg_segment_align: 8
    .kernarg_segment_size: 144
    .language:       OpenCL C
    .language_version:
      - 2
      - 0
    .max_flat_workgroup_size: 32
    .name:           _ZL13mul_mat_vec_qIL9ggml_type22ELi2ELb0ELb0EEvPKvS2_PKi31ggml_cuda_mm_fusion_args_devicePfj15HIP_vector_typeIjLj3EEjjjS8_jjjS8_jjjj
    .private_segment_fixed_size: 0
    .sgpr_count:     30
    .sgpr_spill_count: 0
    .symbol:         _ZL13mul_mat_vec_qIL9ggml_type22ELi2ELb0ELb0EEvPKvS2_PKi31ggml_cuda_mm_fusion_args_devicePfj15HIP_vector_typeIjLj3EEjjjS8_jjjS8_jjjj.kd
    .uniform_work_group_size: 1
    .uses_dynamic_stack: false
    .vgpr_count:     88
    .vgpr_spill_count: 0
    .wavefront_size: 32
    .workgroup_processor_mode: 1
  - .args:
      - .address_space:  global
        .offset:         0
        .size:           8
        .value_kind:     global_buffer
      - .address_space:  global
        .offset:         8
        .size:           8
        .value_kind:     global_buffer
      - .address_space:  global
        .offset:         16
        .size:           8
        .value_kind:     global_buffer
      - .offset:         24
        .size:           32
        .value_kind:     by_value
      - .address_space:  global
        .offset:         56
        .size:           8
        .value_kind:     global_buffer
      - .offset:         64
        .size:           4
        .value_kind:     by_value
      - .offset:         68
        .size:           12
        .value_kind:     by_value
      - .offset:         80
        .size:           4
        .value_kind:     by_value
      - .offset:         84
        .size:           4
        .value_kind:     by_value
      - .offset:         88
        .size:           4
        .value_kind:     by_value
      - .offset:         92
        .size:           12
        .value_kind:     by_value
      - .offset:         104
        .size:           4
        .value_kind:     by_value
      - .offset:         108
        .size:           4
        .value_kind:     by_value
      - .offset:         112
        .size:           4
        .value_kind:     by_value
      - .offset:         116
        .size:           12
        .value_kind:     by_value
      - .offset:         128
        .size:           4
        .value_kind:     by_value
      - .offset:         132
        .size:           4
        .value_kind:     by_value
      - .offset:         136
        .size:           4
        .value_kind:     by_value
      - .offset:         140
        .size:           4
        .value_kind:     by_value
    .group_segment_fixed_size: 0
    .kernarg_segment_align: 8
    .kernarg_segment_size: 144
    .language:       OpenCL C
    .language_version:
      - 2
      - 0
    .max_flat_workgroup_size: 32
    .name:           _ZL13mul_mat_vec_qIL9ggml_type22ELi3ELb0ELb0EEvPKvS2_PKi31ggml_cuda_mm_fusion_args_devicePfj15HIP_vector_typeIjLj3EEjjjS8_jjjS8_jjjj
    .private_segment_fixed_size: 0
    .sgpr_count:     32
    .sgpr_spill_count: 0
    .symbol:         _ZL13mul_mat_vec_qIL9ggml_type22ELi3ELb0ELb0EEvPKvS2_PKi31ggml_cuda_mm_fusion_args_devicePfj15HIP_vector_typeIjLj3EEjjjS8_jjjS8_jjjj.kd
    .uniform_work_group_size: 1
    .uses_dynamic_stack: false
    .vgpr_count:     93
    .vgpr_spill_count: 0
    .wavefront_size: 32
    .workgroup_processor_mode: 1
  - .args:
      - .address_space:  global
        .offset:         0
        .size:           8
        .value_kind:     global_buffer
      - .address_space:  global
        .offset:         8
        .size:           8
        .value_kind:     global_buffer
      - .address_space:  global
        .offset:         16
        .size:           8
        .value_kind:     global_buffer
      - .offset:         24
        .size:           32
        .value_kind:     by_value
      - .address_space:  global
        .offset:         56
        .size:           8
        .value_kind:     global_buffer
      - .offset:         64
        .size:           4
        .value_kind:     by_value
      - .offset:         68
        .size:           12
        .value_kind:     by_value
      - .offset:         80
        .size:           4
        .value_kind:     by_value
      - .offset:         84
        .size:           4
        .value_kind:     by_value
      - .offset:         88
        .size:           4
        .value_kind:     by_value
      - .offset:         92
        .size:           12
        .value_kind:     by_value
      - .offset:         104
        .size:           4
        .value_kind:     by_value
      - .offset:         108
        .size:           4
        .value_kind:     by_value
      - .offset:         112
        .size:           4
        .value_kind:     by_value
      - .offset:         116
        .size:           12
        .value_kind:     by_value
      - .offset:         128
        .size:           4
        .value_kind:     by_value
      - .offset:         132
        .size:           4
        .value_kind:     by_value
      - .offset:         136
        .size:           4
        .value_kind:     by_value
      - .offset:         140
        .size:           4
        .value_kind:     by_value
    .group_segment_fixed_size: 0
    .kernarg_segment_align: 8
    .kernarg_segment_size: 144
    .language:       OpenCL C
    .language_version:
      - 2
      - 0
    .max_flat_workgroup_size: 32
    .name:           _ZL13mul_mat_vec_qIL9ggml_type22ELi4ELb0ELb0EEvPKvS2_PKi31ggml_cuda_mm_fusion_args_devicePfj15HIP_vector_typeIjLj3EEjjjS8_jjjS8_jjjj
    .private_segment_fixed_size: 0
    .sgpr_count:     30
    .sgpr_spill_count: 0
    .symbol:         _ZL13mul_mat_vec_qIL9ggml_type22ELi4ELb0ELb0EEvPKvS2_PKi31ggml_cuda_mm_fusion_args_devicePfj15HIP_vector_typeIjLj3EEjjjS8_jjjS8_jjjj.kd
    .uniform_work_group_size: 1
    .uses_dynamic_stack: false
    .vgpr_count:     94
    .vgpr_spill_count: 0
    .wavefront_size: 32
    .workgroup_processor_mode: 1
  - .args:
      - .address_space:  global
        .offset:         0
        .size:           8
        .value_kind:     global_buffer
      - .address_space:  global
        .offset:         8
        .size:           8
        .value_kind:     global_buffer
      - .address_space:  global
        .offset:         16
        .size:           8
        .value_kind:     global_buffer
      - .offset:         24
        .size:           32
        .value_kind:     by_value
      - .address_space:  global
        .offset:         56
        .size:           8
        .value_kind:     global_buffer
      - .offset:         64
        .size:           4
        .value_kind:     by_value
      - .offset:         68
        .size:           12
        .value_kind:     by_value
      - .offset:         80
        .size:           4
        .value_kind:     by_value
      - .offset:         84
        .size:           4
        .value_kind:     by_value
      - .offset:         88
        .size:           4
        .value_kind:     by_value
      - .offset:         92
        .size:           12
        .value_kind:     by_value
      - .offset:         104
        .size:           4
        .value_kind:     by_value
      - .offset:         108
        .size:           4
        .value_kind:     by_value
      - .offset:         112
        .size:           4
        .value_kind:     by_value
      - .offset:         116
        .size:           12
        .value_kind:     by_value
      - .offset:         128
        .size:           4
        .value_kind:     by_value
      - .offset:         132
        .size:           4
        .value_kind:     by_value
      - .offset:         136
        .size:           4
        .value_kind:     by_value
      - .offset:         140
        .size:           4
        .value_kind:     by_value
    .group_segment_fixed_size: 0
    .kernarg_segment_align: 8
    .kernarg_segment_size: 144
    .language:       OpenCL C
    .language_version:
      - 2
      - 0
    .max_flat_workgroup_size: 32
    .name:           _ZL13mul_mat_vec_qIL9ggml_type22ELi5ELb0ELb0EEvPKvS2_PKi31ggml_cuda_mm_fusion_args_devicePfj15HIP_vector_typeIjLj3EEjjjS8_jjjS8_jjjj
    .private_segment_fixed_size: 0
    .sgpr_count:     28
    .sgpr_spill_count: 0
    .symbol:         _ZL13mul_mat_vec_qIL9ggml_type22ELi5ELb0ELb0EEvPKvS2_PKi31ggml_cuda_mm_fusion_args_devicePfj15HIP_vector_typeIjLj3EEjjjS8_jjjS8_jjjj.kd
    .uniform_work_group_size: 1
    .uses_dynamic_stack: false
    .vgpr_count:     41
    .vgpr_spill_count: 0
    .wavefront_size: 32
    .workgroup_processor_mode: 1
  - .args:
      - .address_space:  global
        .offset:         0
        .size:           8
        .value_kind:     global_buffer
      - .address_space:  global
        .offset:         8
        .size:           8
        .value_kind:     global_buffer
      - .address_space:  global
        .offset:         16
        .size:           8
        .value_kind:     global_buffer
      - .offset:         24
        .size:           32
        .value_kind:     by_value
      - .address_space:  global
        .offset:         56
        .size:           8
        .value_kind:     global_buffer
      - .offset:         64
        .size:           4
        .value_kind:     by_value
      - .offset:         68
        .size:           12
        .value_kind:     by_value
      - .offset:         80
        .size:           4
        .value_kind:     by_value
      - .offset:         84
        .size:           4
        .value_kind:     by_value
      - .offset:         88
        .size:           4
        .value_kind:     by_value
      - .offset:         92
        .size:           12
        .value_kind:     by_value
      - .offset:         104
        .size:           4
        .value_kind:     by_value
      - .offset:         108
        .size:           4
        .value_kind:     by_value
      - .offset:         112
        .size:           4
        .value_kind:     by_value
      - .offset:         116
        .size:           12
        .value_kind:     by_value
      - .offset:         128
        .size:           4
        .value_kind:     by_value
      - .offset:         132
        .size:           4
        .value_kind:     by_value
      - .offset:         136
        .size:           4
        .value_kind:     by_value
      - .offset:         140
        .size:           4
        .value_kind:     by_value
    .group_segment_fixed_size: 0
    .kernarg_segment_align: 8
    .kernarg_segment_size: 144
    .language:       OpenCL C
    .language_version:
      - 2
      - 0
    .max_flat_workgroup_size: 32
    .name:           _ZL13mul_mat_vec_qIL9ggml_type22ELi6ELb0ELb0EEvPKvS2_PKi31ggml_cuda_mm_fusion_args_devicePfj15HIP_vector_typeIjLj3EEjjjS8_jjjS8_jjjj
    .private_segment_fixed_size: 0
    .sgpr_count:     30
    .sgpr_spill_count: 0
    .symbol:         _ZL13mul_mat_vec_qIL9ggml_type22ELi6ELb0ELb0EEvPKvS2_PKi31ggml_cuda_mm_fusion_args_devicePfj15HIP_vector_typeIjLj3EEjjjS8_jjjS8_jjjj.kd
    .uniform_work_group_size: 1
    .uses_dynamic_stack: false
    .vgpr_count:     43
    .vgpr_spill_count: 0
    .wavefront_size: 32
    .workgroup_processor_mode: 1
  - .args:
      - .address_space:  global
        .offset:         0
        .size:           8
        .value_kind:     global_buffer
      - .address_space:  global
        .offset:         8
        .size:           8
        .value_kind:     global_buffer
      - .address_space:  global
        .offset:         16
        .size:           8
        .value_kind:     global_buffer
      - .offset:         24
        .size:           32
        .value_kind:     by_value
      - .address_space:  global
        .offset:         56
        .size:           8
        .value_kind:     global_buffer
      - .offset:         64
        .size:           4
        .value_kind:     by_value
      - .offset:         68
        .size:           12
        .value_kind:     by_value
      - .offset:         80
        .size:           4
        .value_kind:     by_value
      - .offset:         84
        .size:           4
        .value_kind:     by_value
      - .offset:         88
        .size:           4
        .value_kind:     by_value
      - .offset:         92
        .size:           12
        .value_kind:     by_value
      - .offset:         104
        .size:           4
        .value_kind:     by_value
      - .offset:         108
        .size:           4
        .value_kind:     by_value
      - .offset:         112
        .size:           4
        .value_kind:     by_value
      - .offset:         116
        .size:           12
        .value_kind:     by_value
      - .offset:         128
        .size:           4
        .value_kind:     by_value
      - .offset:         132
        .size:           4
        .value_kind:     by_value
      - .offset:         136
        .size:           4
        .value_kind:     by_value
      - .offset:         140
        .size:           4
        .value_kind:     by_value
    .group_segment_fixed_size: 0
    .kernarg_segment_align: 8
    .kernarg_segment_size: 144
    .language:       OpenCL C
    .language_version:
      - 2
      - 0
    .max_flat_workgroup_size: 32
    .name:           _ZL13mul_mat_vec_qIL9ggml_type22ELi7ELb0ELb0EEvPKvS2_PKi31ggml_cuda_mm_fusion_args_devicePfj15HIP_vector_typeIjLj3EEjjjS8_jjjS8_jjjj
    .private_segment_fixed_size: 0
    .sgpr_count:     32
    .sgpr_spill_count: 0
    .symbol:         _ZL13mul_mat_vec_qIL9ggml_type22ELi7ELb0ELb0EEvPKvS2_PKi31ggml_cuda_mm_fusion_args_devicePfj15HIP_vector_typeIjLj3EEjjjS8_jjjS8_jjjj.kd
    .uniform_work_group_size: 1
    .uses_dynamic_stack: false
    .vgpr_count:     45
    .vgpr_spill_count: 0
    .wavefront_size: 32
    .workgroup_processor_mode: 1
  - .args:
      - .address_space:  global
        .offset:         0
        .size:           8
        .value_kind:     global_buffer
      - .address_space:  global
        .offset:         8
        .size:           8
        .value_kind:     global_buffer
      - .address_space:  global
        .offset:         16
        .size:           8
        .value_kind:     global_buffer
      - .offset:         24
        .size:           32
        .value_kind:     by_value
      - .address_space:  global
        .offset:         56
        .size:           8
        .value_kind:     global_buffer
      - .offset:         64
        .size:           4
        .value_kind:     by_value
      - .offset:         68
        .size:           12
        .value_kind:     by_value
      - .offset:         80
        .size:           4
        .value_kind:     by_value
      - .offset:         84
        .size:           4
        .value_kind:     by_value
      - .offset:         88
        .size:           4
        .value_kind:     by_value
      - .offset:         92
        .size:           12
        .value_kind:     by_value
      - .offset:         104
        .size:           4
        .value_kind:     by_value
      - .offset:         108
        .size:           4
        .value_kind:     by_value
      - .offset:         112
        .size:           4
        .value_kind:     by_value
      - .offset:         116
        .size:           12
        .value_kind:     by_value
      - .offset:         128
        .size:           4
        .value_kind:     by_value
      - .offset:         132
        .size:           4
        .value_kind:     by_value
      - .offset:         136
        .size:           4
        .value_kind:     by_value
      - .offset:         140
        .size:           4
        .value_kind:     by_value
    .group_segment_fixed_size: 0
    .kernarg_segment_align: 8
    .kernarg_segment_size: 144
    .language:       OpenCL C
    .language_version:
      - 2
      - 0
    .max_flat_workgroup_size: 32
    .name:           _ZL13mul_mat_vec_qIL9ggml_type22ELi8ELb0ELb0EEvPKvS2_PKi31ggml_cuda_mm_fusion_args_devicePfj15HIP_vector_typeIjLj3EEjjjS8_jjjS8_jjjj
    .private_segment_fixed_size: 0
    .sgpr_count:     28
    .sgpr_spill_count: 0
    .symbol:         _ZL13mul_mat_vec_qIL9ggml_type22ELi8ELb0ELb0EEvPKvS2_PKi31ggml_cuda_mm_fusion_args_devicePfj15HIP_vector_typeIjLj3EEjjjS8_jjjS8_jjjj.kd
    .uniform_work_group_size: 1
    .uses_dynamic_stack: false
    .vgpr_count:     41
    .vgpr_spill_count: 0
    .wavefront_size: 32
    .workgroup_processor_mode: 1
  - .args:
      - .address_space:  global
        .offset:         0
        .size:           8
        .value_kind:     global_buffer
      - .address_space:  global
        .offset:         8
        .size:           8
        .value_kind:     global_buffer
      - .address_space:  global
        .offset:         16
        .size:           8
        .value_kind:     global_buffer
      - .address_space:  global
        .offset:         24
        .size:           8
        .value_kind:     global_buffer
      - .offset:         32
        .size:           4
        .value_kind:     by_value
      - .offset:         36
        .size:           12
        .value_kind:     by_value
      - .offset:         48
        .size:           4
        .value_kind:     by_value
      - .offset:         52
        .size:           4
        .value_kind:     by_value
      - .offset:         56
        .size:           4
        .value_kind:     by_value
      - .offset:         60
        .size:           4
        .value_kind:     by_value
      - .offset:         64
        .size:           4
        .value_kind:     by_value
      - .offset:         68
        .size:           4
        .value_kind:     by_value
      - .offset:         72
        .size:           4
        .value_kind:     by_value
      - .offset:         76
        .size:           4
        .value_kind:     by_value
      - .offset:         80
        .size:           4
        .value_kind:     by_value
    .group_segment_fixed_size: 0
    .kernarg_segment_align: 8
    .kernarg_segment_size: 84
    .language:       OpenCL C
    .language_version:
      - 2
      - 0
    .max_flat_workgroup_size: 128
    .name:           _ZL17mul_mat_vec_q_moeIL9ggml_type18ELi2EEvPKvS2_PKiPfj15HIP_vector_typeIjLj3EEjjjjjjjjj
    .private_segment_fixed_size: 0
    .sgpr_count:     26
    .sgpr_spill_count: 0
    .symbol:         _ZL17mul_mat_vec_q_moeIL9ggml_type18ELi2EEvPKvS2_PKiPfj15HIP_vector_typeIjLj3EEjjjjjjjjj.kd
    .uniform_work_group_size: 1
    .uses_dynamic_stack: false
    .vgpr_count:     123
    .vgpr_spill_count: 0
    .wavefront_size: 32
    .workgroup_processor_mode: 1
  - .args:
      - .address_space:  global
        .offset:         0
        .size:           8
        .value_kind:     global_buffer
      - .address_space:  global
        .offset:         8
        .size:           8
        .value_kind:     global_buffer
      - .address_space:  global
        .offset:         16
        .size:           8
        .value_kind:     global_buffer
      - .offset:         24
        .size:           32
        .value_kind:     by_value
      - .address_space:  global
        .offset:         56
        .size:           8
        .value_kind:     global_buffer
      - .offset:         64
        .size:           4
        .value_kind:     by_value
      - .offset:         68
        .size:           12
        .value_kind:     by_value
      - .offset:         80
        .size:           4
        .value_kind:     by_value
      - .offset:         84
        .size:           4
        .value_kind:     by_value
      - .offset:         88
        .size:           4
        .value_kind:     by_value
      - .offset:         92
        .size:           12
        .value_kind:     by_value
      - .offset:         104
        .size:           4
        .value_kind:     by_value
      - .offset:         108
        .size:           4
        .value_kind:     by_value
      - .offset:         112
        .size:           4
        .value_kind:     by_value
      - .offset:         116
        .size:           12
        .value_kind:     by_value
      - .offset:         128
        .size:           4
        .value_kind:     by_value
      - .offset:         132
        .size:           4
        .value_kind:     by_value
      - .offset:         136
        .size:           4
        .value_kind:     by_value
      - .offset:         140
        .size:           4
        .value_kind:     by_value
    .group_segment_fixed_size: 0
    .kernarg_segment_align: 8
    .kernarg_segment_size: 144
    .language:       OpenCL C
    .language_version:
      - 2
      - 0
    .max_flat_workgroup_size: 32
    .name:           _ZL13mul_mat_vec_qIL9ggml_type18ELi1ELb1ELb1EEvPKvS2_PKi31ggml_cuda_mm_fusion_args_devicePfj15HIP_vector_typeIjLj3EEjjjS8_jjjS8_jjjj
    .private_segment_fixed_size: 0
    .sgpr_count:     40
    .sgpr_spill_count: 0
    .symbol:         _ZL13mul_mat_vec_qIL9ggml_type18ELi1ELb1ELb1EEvPKvS2_PKi31ggml_cuda_mm_fusion_args_devicePfj15HIP_vector_typeIjLj3EEjjjS8_jjjS8_jjjj.kd
    .uniform_work_group_size: 1
    .uses_dynamic_stack: false
    .vgpr_count:     89
    .vgpr_spill_count: 0
    .wavefront_size: 32
    .workgroup_processor_mode: 1
  - .args:
      - .address_space:  global
        .offset:         0
        .size:           8
        .value_kind:     global_buffer
      - .address_space:  global
        .offset:         8
        .size:           8
        .value_kind:     global_buffer
      - .address_space:  global
        .offset:         16
        .size:           8
        .value_kind:     global_buffer
      - .offset:         24
        .size:           32
        .value_kind:     by_value
      - .address_space:  global
        .offset:         56
        .size:           8
        .value_kind:     global_buffer
      - .offset:         64
        .size:           4
        .value_kind:     by_value
      - .offset:         68
        .size:           12
        .value_kind:     by_value
      - .offset:         80
        .size:           4
        .value_kind:     by_value
      - .offset:         84
        .size:           4
        .value_kind:     by_value
      - .offset:         88
        .size:           4
        .value_kind:     by_value
      - .offset:         92
        .size:           12
        .value_kind:     by_value
      - .offset:         104
        .size:           4
        .value_kind:     by_value
      - .offset:         108
        .size:           4
        .value_kind:     by_value
      - .offset:         112
        .size:           4
        .value_kind:     by_value
      - .offset:         116
        .size:           12
        .value_kind:     by_value
      - .offset:         128
        .size:           4
        .value_kind:     by_value
      - .offset:         132
        .size:           4
        .value_kind:     by_value
      - .offset:         136
        .size:           4
        .value_kind:     by_value
      - .offset:         140
        .size:           4
        .value_kind:     by_value
    .group_segment_fixed_size: 0
    .kernarg_segment_align: 8
    .kernarg_segment_size: 144
    .language:       OpenCL C
    .language_version:
      - 2
      - 0
    .max_flat_workgroup_size: 32
    .name:           _ZL13mul_mat_vec_qIL9ggml_type18ELi1ELb0ELb1EEvPKvS2_PKi31ggml_cuda_mm_fusion_args_devicePfj15HIP_vector_typeIjLj3EEjjjS8_jjjS8_jjjj
    .private_segment_fixed_size: 0
    .sgpr_count:     24
    .sgpr_spill_count: 0
    .symbol:         _ZL13mul_mat_vec_qIL9ggml_type18ELi1ELb0ELb1EEvPKvS2_PKi31ggml_cuda_mm_fusion_args_devicePfj15HIP_vector_typeIjLj3EEjjjS8_jjjS8_jjjj.kd
    .uniform_work_group_size: 1
    .uses_dynamic_stack: false
    .vgpr_count:     75
    .vgpr_spill_count: 0
    .wavefront_size: 32
    .workgroup_processor_mode: 1
  - .args:
      - .address_space:  global
        .offset:         0
        .size:           8
        .value_kind:     global_buffer
      - .address_space:  global
        .offset:         8
        .size:           8
        .value_kind:     global_buffer
      - .address_space:  global
        .offset:         16
        .size:           8
        .value_kind:     global_buffer
      - .offset:         24
        .size:           32
        .value_kind:     by_value
      - .address_space:  global
        .offset:         56
        .size:           8
        .value_kind:     global_buffer
      - .offset:         64
        .size:           4
        .value_kind:     by_value
      - .offset:         68
        .size:           12
        .value_kind:     by_value
      - .offset:         80
        .size:           4
        .value_kind:     by_value
      - .offset:         84
        .size:           4
        .value_kind:     by_value
      - .offset:         88
        .size:           4
        .value_kind:     by_value
      - .offset:         92
        .size:           12
        .value_kind:     by_value
      - .offset:         104
        .size:           4
        .value_kind:     by_value
      - .offset:         108
        .size:           4
        .value_kind:     by_value
      - .offset:         112
        .size:           4
        .value_kind:     by_value
      - .offset:         116
        .size:           12
        .value_kind:     by_value
      - .offset:         128
        .size:           4
        .value_kind:     by_value
      - .offset:         132
        .size:           4
        .value_kind:     by_value
      - .offset:         136
        .size:           4
        .value_kind:     by_value
      - .offset:         140
        .size:           4
        .value_kind:     by_value
    .group_segment_fixed_size: 0
    .kernarg_segment_align: 8
    .kernarg_segment_size: 144
    .language:       OpenCL C
    .language_version:
      - 2
      - 0
    .max_flat_workgroup_size: 32
    .name:           _ZL13mul_mat_vec_qIL9ggml_type18ELi1ELb1ELb0EEvPKvS2_PKi31ggml_cuda_mm_fusion_args_devicePfj15HIP_vector_typeIjLj3EEjjjS8_jjjS8_jjjj
    .private_segment_fixed_size: 0
    .sgpr_count:     40
    .sgpr_spill_count: 0
    .symbol:         _ZL13mul_mat_vec_qIL9ggml_type18ELi1ELb1ELb0EEvPKvS2_PKi31ggml_cuda_mm_fusion_args_devicePfj15HIP_vector_typeIjLj3EEjjjS8_jjjS8_jjjj.kd
    .uniform_work_group_size: 1
    .uses_dynamic_stack: false
    .vgpr_count:     89
    .vgpr_spill_count: 0
    .wavefront_size: 32
    .workgroup_processor_mode: 1
  - .args:
      - .address_space:  global
        .offset:         0
        .size:           8
        .value_kind:     global_buffer
      - .address_space:  global
        .offset:         8
        .size:           8
        .value_kind:     global_buffer
      - .address_space:  global
        .offset:         16
        .size:           8
        .value_kind:     global_buffer
      - .offset:         24
        .size:           32
        .value_kind:     by_value
      - .address_space:  global
        .offset:         56
        .size:           8
        .value_kind:     global_buffer
      - .offset:         64
        .size:           4
        .value_kind:     by_value
      - .offset:         68
        .size:           12
        .value_kind:     by_value
      - .offset:         80
        .size:           4
        .value_kind:     by_value
      - .offset:         84
        .size:           4
        .value_kind:     by_value
      - .offset:         88
        .size:           4
        .value_kind:     by_value
      - .offset:         92
        .size:           12
        .value_kind:     by_value
      - .offset:         104
        .size:           4
        .value_kind:     by_value
      - .offset:         108
        .size:           4
        .value_kind:     by_value
      - .offset:         112
        .size:           4
        .value_kind:     by_value
      - .offset:         116
        .size:           12
        .value_kind:     by_value
      - .offset:         128
        .size:           4
        .value_kind:     by_value
      - .offset:         132
        .size:           4
        .value_kind:     by_value
      - .offset:         136
        .size:           4
        .value_kind:     by_value
      - .offset:         140
        .size:           4
        .value_kind:     by_value
    .group_segment_fixed_size: 0
    .kernarg_segment_align: 8
    .kernarg_segment_size: 144
    .language:       OpenCL C
    .language_version:
      - 2
      - 0
    .max_flat_workgroup_size: 32
    .name:           _ZL13mul_mat_vec_qIL9ggml_type18ELi1ELb0ELb0EEvPKvS2_PKi31ggml_cuda_mm_fusion_args_devicePfj15HIP_vector_typeIjLj3EEjjjS8_jjjS8_jjjj
    .private_segment_fixed_size: 0
    .sgpr_count:     24
    .sgpr_spill_count: 0
    .symbol:         _ZL13mul_mat_vec_qIL9ggml_type18ELi1ELb0ELb0EEvPKvS2_PKi31ggml_cuda_mm_fusion_args_devicePfj15HIP_vector_typeIjLj3EEjjjS8_jjjS8_jjjj.kd
    .uniform_work_group_size: 1
    .uses_dynamic_stack: false
    .vgpr_count:     75
    .vgpr_spill_count: 0
    .wavefront_size: 32
    .workgroup_processor_mode: 1
  - .args:
      - .address_space:  global
        .offset:         0
        .size:           8
        .value_kind:     global_buffer
      - .address_space:  global
        .offset:         8
        .size:           8
        .value_kind:     global_buffer
      - .address_space:  global
        .offset:         16
        .size:           8
        .value_kind:     global_buffer
      - .offset:         24
        .size:           32
        .value_kind:     by_value
      - .address_space:  global
        .offset:         56
        .size:           8
        .value_kind:     global_buffer
      - .offset:         64
        .size:           4
        .value_kind:     by_value
      - .offset:         68
        .size:           12
        .value_kind:     by_value
      - .offset:         80
        .size:           4
        .value_kind:     by_value
      - .offset:         84
        .size:           4
        .value_kind:     by_value
      - .offset:         88
        .size:           4
        .value_kind:     by_value
      - .offset:         92
        .size:           12
        .value_kind:     by_value
      - .offset:         104
        .size:           4
        .value_kind:     by_value
      - .offset:         108
        .size:           4
        .value_kind:     by_value
      - .offset:         112
        .size:           4
        .value_kind:     by_value
      - .offset:         116
        .size:           12
        .value_kind:     by_value
      - .offset:         128
        .size:           4
        .value_kind:     by_value
      - .offset:         132
        .size:           4
        .value_kind:     by_value
      - .offset:         136
        .size:           4
        .value_kind:     by_value
      - .offset:         140
        .size:           4
        .value_kind:     by_value
    .group_segment_fixed_size: 0
    .kernarg_segment_align: 8
    .kernarg_segment_size: 144
    .language:       OpenCL C
    .language_version:
      - 2
      - 0
    .max_flat_workgroup_size: 32
    .name:           _ZL13mul_mat_vec_qIL9ggml_type18ELi2ELb0ELb0EEvPKvS2_PKi31ggml_cuda_mm_fusion_args_devicePfj15HIP_vector_typeIjLj3EEjjjS8_jjjS8_jjjj
    .private_segment_fixed_size: 0
    .sgpr_count:     30
    .sgpr_spill_count: 0
    .symbol:         _ZL13mul_mat_vec_qIL9ggml_type18ELi2ELb0ELb0EEvPKvS2_PKi31ggml_cuda_mm_fusion_args_devicePfj15HIP_vector_typeIjLj3EEjjjS8_jjjS8_jjjj.kd
    .uniform_work_group_size: 1
    .uses_dynamic_stack: false
    .vgpr_count:     88
    .vgpr_spill_count: 0
    .wavefront_size: 32
    .workgroup_processor_mode: 1
  - .args:
      - .address_space:  global
        .offset:         0
        .size:           8
        .value_kind:     global_buffer
      - .address_space:  global
        .offset:         8
        .size:           8
        .value_kind:     global_buffer
      - .address_space:  global
        .offset:         16
        .size:           8
        .value_kind:     global_buffer
      - .offset:         24
        .size:           32
        .value_kind:     by_value
      - .address_space:  global
        .offset:         56
        .size:           8
        .value_kind:     global_buffer
      - .offset:         64
        .size:           4
        .value_kind:     by_value
      - .offset:         68
        .size:           12
        .value_kind:     by_value
      - .offset:         80
        .size:           4
        .value_kind:     by_value
      - .offset:         84
        .size:           4
        .value_kind:     by_value
      - .offset:         88
        .size:           4
        .value_kind:     by_value
      - .offset:         92
        .size:           12
        .value_kind:     by_value
      - .offset:         104
        .size:           4
        .value_kind:     by_value
      - .offset:         108
        .size:           4
        .value_kind:     by_value
      - .offset:         112
        .size:           4
        .value_kind:     by_value
      - .offset:         116
        .size:           12
        .value_kind:     by_value
      - .offset:         128
        .size:           4
        .value_kind:     by_value
      - .offset:         132
        .size:           4
        .value_kind:     by_value
      - .offset:         136
        .size:           4
        .value_kind:     by_value
      - .offset:         140
        .size:           4
        .value_kind:     by_value
    .group_segment_fixed_size: 0
    .kernarg_segment_align: 8
    .kernarg_segment_size: 144
    .language:       OpenCL C
    .language_version:
      - 2
      - 0
    .max_flat_workgroup_size: 32
    .name:           _ZL13mul_mat_vec_qIL9ggml_type18ELi3ELb0ELb0EEvPKvS2_PKi31ggml_cuda_mm_fusion_args_devicePfj15HIP_vector_typeIjLj3EEjjjS8_jjjS8_jjjj
    .private_segment_fixed_size: 0
    .sgpr_count:     30
    .sgpr_spill_count: 0
    .symbol:         _ZL13mul_mat_vec_qIL9ggml_type18ELi3ELb0ELb0EEvPKvS2_PKi31ggml_cuda_mm_fusion_args_devicePfj15HIP_vector_typeIjLj3EEjjjS8_jjjS8_jjjj.kd
    .uniform_work_group_size: 1
    .uses_dynamic_stack: false
    .vgpr_count:     94
    .vgpr_spill_count: 0
    .wavefront_size: 32
    .workgroup_processor_mode: 1
  - .args:
      - .address_space:  global
        .offset:         0
        .size:           8
        .value_kind:     global_buffer
      - .address_space:  global
        .offset:         8
        .size:           8
        .value_kind:     global_buffer
      - .address_space:  global
        .offset:         16
        .size:           8
        .value_kind:     global_buffer
      - .offset:         24
        .size:           32
        .value_kind:     by_value
      - .address_space:  global
        .offset:         56
        .size:           8
        .value_kind:     global_buffer
      - .offset:         64
        .size:           4
        .value_kind:     by_value
      - .offset:         68
        .size:           12
        .value_kind:     by_value
      - .offset:         80
        .size:           4
        .value_kind:     by_value
      - .offset:         84
        .size:           4
        .value_kind:     by_value
      - .offset:         88
        .size:           4
        .value_kind:     by_value
      - .offset:         92
        .size:           12
        .value_kind:     by_value
      - .offset:         104
        .size:           4
        .value_kind:     by_value
      - .offset:         108
        .size:           4
        .value_kind:     by_value
      - .offset:         112
        .size:           4
        .value_kind:     by_value
      - .offset:         116
        .size:           12
        .value_kind:     by_value
      - .offset:         128
        .size:           4
        .value_kind:     by_value
      - .offset:         132
        .size:           4
        .value_kind:     by_value
      - .offset:         136
        .size:           4
        .value_kind:     by_value
      - .offset:         140
        .size:           4
        .value_kind:     by_value
    .group_segment_fixed_size: 0
    .kernarg_segment_align: 8
    .kernarg_segment_size: 144
    .language:       OpenCL C
    .language_version:
      - 2
      - 0
    .max_flat_workgroup_size: 32
    .name:           _ZL13mul_mat_vec_qIL9ggml_type18ELi4ELb0ELb0EEvPKvS2_PKi31ggml_cuda_mm_fusion_args_devicePfj15HIP_vector_typeIjLj3EEjjjS8_jjjS8_jjjj
    .private_segment_fixed_size: 0
    .sgpr_count:     28
    .sgpr_spill_count: 0
    .symbol:         _ZL13mul_mat_vec_qIL9ggml_type18ELi4ELb0ELb0EEvPKvS2_PKi31ggml_cuda_mm_fusion_args_devicePfj15HIP_vector_typeIjLj3EEjjjS8_jjjS8_jjjj.kd
    .uniform_work_group_size: 1
    .uses_dynamic_stack: false
    .vgpr_count:     95
    .vgpr_spill_count: 0
    .wavefront_size: 32
    .workgroup_processor_mode: 1
  - .args:
      - .address_space:  global
        .offset:         0
        .size:           8
        .value_kind:     global_buffer
      - .address_space:  global
        .offset:         8
        .size:           8
        .value_kind:     global_buffer
      - .address_space:  global
        .offset:         16
        .size:           8
        .value_kind:     global_buffer
      - .offset:         24
        .size:           32
        .value_kind:     by_value
      - .address_space:  global
        .offset:         56
        .size:           8
        .value_kind:     global_buffer
      - .offset:         64
        .size:           4
        .value_kind:     by_value
      - .offset:         68
        .size:           12
        .value_kind:     by_value
      - .offset:         80
        .size:           4
        .value_kind:     by_value
      - .offset:         84
        .size:           4
        .value_kind:     by_value
      - .offset:         88
        .size:           4
        .value_kind:     by_value
      - .offset:         92
        .size:           12
        .value_kind:     by_value
      - .offset:         104
        .size:           4
        .value_kind:     by_value
      - .offset:         108
        .size:           4
        .value_kind:     by_value
      - .offset:         112
        .size:           4
        .value_kind:     by_value
      - .offset:         116
        .size:           12
        .value_kind:     by_value
      - .offset:         128
        .size:           4
        .value_kind:     by_value
      - .offset:         132
        .size:           4
        .value_kind:     by_value
      - .offset:         136
        .size:           4
        .value_kind:     by_value
      - .offset:         140
        .size:           4
        .value_kind:     by_value
    .group_segment_fixed_size: 0
    .kernarg_segment_align: 8
    .kernarg_segment_size: 144
    .language:       OpenCL C
    .language_version:
      - 2
      - 0
    .max_flat_workgroup_size: 32
    .name:           _ZL13mul_mat_vec_qIL9ggml_type18ELi5ELb0ELb0EEvPKvS2_PKi31ggml_cuda_mm_fusion_args_devicePfj15HIP_vector_typeIjLj3EEjjjS8_jjjS8_jjjj
    .private_segment_fixed_size: 0
    .sgpr_count:     32
    .sgpr_spill_count: 0
    .symbol:         _ZL13mul_mat_vec_qIL9ggml_type18ELi5ELb0ELb0EEvPKvS2_PKi31ggml_cuda_mm_fusion_args_devicePfj15HIP_vector_typeIjLj3EEjjjS8_jjjS8_jjjj.kd
    .uniform_work_group_size: 1
    .uses_dynamic_stack: false
    .vgpr_count:     96
    .vgpr_spill_count: 0
    .wavefront_size: 32
    .workgroup_processor_mode: 1
  - .args:
      - .address_space:  global
        .offset:         0
        .size:           8
        .value_kind:     global_buffer
      - .address_space:  global
        .offset:         8
        .size:           8
        .value_kind:     global_buffer
      - .address_space:  global
        .offset:         16
        .size:           8
        .value_kind:     global_buffer
      - .offset:         24
        .size:           32
        .value_kind:     by_value
      - .address_space:  global
        .offset:         56
        .size:           8
        .value_kind:     global_buffer
      - .offset:         64
        .size:           4
        .value_kind:     by_value
      - .offset:         68
        .size:           12
        .value_kind:     by_value
      - .offset:         80
        .size:           4
        .value_kind:     by_value
      - .offset:         84
        .size:           4
        .value_kind:     by_value
      - .offset:         88
        .size:           4
        .value_kind:     by_value
      - .offset:         92
        .size:           12
        .value_kind:     by_value
      - .offset:         104
        .size:           4
        .value_kind:     by_value
      - .offset:         108
        .size:           4
        .value_kind:     by_value
      - .offset:         112
        .size:           4
        .value_kind:     by_value
      - .offset:         116
        .size:           12
        .value_kind:     by_value
      - .offset:         128
        .size:           4
        .value_kind:     by_value
      - .offset:         132
        .size:           4
        .value_kind:     by_value
      - .offset:         136
        .size:           4
        .value_kind:     by_value
      - .offset:         140
        .size:           4
        .value_kind:     by_value
    .group_segment_fixed_size: 0
    .kernarg_segment_align: 8
    .kernarg_segment_size: 144
    .language:       OpenCL C
    .language_version:
      - 2
      - 0
    .max_flat_workgroup_size: 32
    .name:           _ZL13mul_mat_vec_qIL9ggml_type18ELi6ELb0ELb0EEvPKvS2_PKi31ggml_cuda_mm_fusion_args_devicePfj15HIP_vector_typeIjLj3EEjjjS8_jjjS8_jjjj
    .private_segment_fixed_size: 0
    .sgpr_count:     30
    .sgpr_spill_count: 0
    .symbol:         _ZL13mul_mat_vec_qIL9ggml_type18ELi6ELb0ELb0EEvPKvS2_PKi31ggml_cuda_mm_fusion_args_devicePfj15HIP_vector_typeIjLj3EEjjjS8_jjjS8_jjjj.kd
    .uniform_work_group_size: 1
    .uses_dynamic_stack: false
    .vgpr_count:     39
    .vgpr_spill_count: 0
    .wavefront_size: 32
    .workgroup_processor_mode: 1
  - .args:
      - .address_space:  global
        .offset:         0
        .size:           8
        .value_kind:     global_buffer
      - .address_space:  global
        .offset:         8
        .size:           8
        .value_kind:     global_buffer
      - .address_space:  global
        .offset:         16
        .size:           8
        .value_kind:     global_buffer
      - .offset:         24
        .size:           32
        .value_kind:     by_value
      - .address_space:  global
        .offset:         56
        .size:           8
        .value_kind:     global_buffer
      - .offset:         64
        .size:           4
        .value_kind:     by_value
      - .offset:         68
        .size:           12
        .value_kind:     by_value
      - .offset:         80
        .size:           4
        .value_kind:     by_value
      - .offset:         84
        .size:           4
        .value_kind:     by_value
      - .offset:         88
        .size:           4
        .value_kind:     by_value
      - .offset:         92
        .size:           12
        .value_kind:     by_value
      - .offset:         104
        .size:           4
        .value_kind:     by_value
      - .offset:         108
        .size:           4
        .value_kind:     by_value
      - .offset:         112
        .size:           4
        .value_kind:     by_value
      - .offset:         116
        .size:           12
        .value_kind:     by_value
      - .offset:         128
        .size:           4
        .value_kind:     by_value
      - .offset:         132
        .size:           4
        .value_kind:     by_value
      - .offset:         136
        .size:           4
        .value_kind:     by_value
      - .offset:         140
        .size:           4
        .value_kind:     by_value
    .group_segment_fixed_size: 0
    .kernarg_segment_align: 8
    .kernarg_segment_size: 144
    .language:       OpenCL C
    .language_version:
      - 2
      - 0
    .max_flat_workgroup_size: 32
    .name:           _ZL13mul_mat_vec_qIL9ggml_type18ELi7ELb0ELb0EEvPKvS2_PKi31ggml_cuda_mm_fusion_args_devicePfj15HIP_vector_typeIjLj3EEjjjS8_jjjS8_jjjj
    .private_segment_fixed_size: 0
    .sgpr_count:     32
    .sgpr_spill_count: 0
    .symbol:         _ZL13mul_mat_vec_qIL9ggml_type18ELi7ELb0ELb0EEvPKvS2_PKi31ggml_cuda_mm_fusion_args_devicePfj15HIP_vector_typeIjLj3EEjjjS8_jjjS8_jjjj.kd
    .uniform_work_group_size: 1
    .uses_dynamic_stack: false
    .vgpr_count:     41
    .vgpr_spill_count: 0
    .wavefront_size: 32
    .workgroup_processor_mode: 1
  - .args:
      - .address_space:  global
        .offset:         0
        .size:           8
        .value_kind:     global_buffer
      - .address_space:  global
        .offset:         8
        .size:           8
        .value_kind:     global_buffer
      - .address_space:  global
        .offset:         16
        .size:           8
        .value_kind:     global_buffer
      - .offset:         24
        .size:           32
        .value_kind:     by_value
      - .address_space:  global
        .offset:         56
        .size:           8
        .value_kind:     global_buffer
      - .offset:         64
        .size:           4
        .value_kind:     by_value
      - .offset:         68
        .size:           12
        .value_kind:     by_value
      - .offset:         80
        .size:           4
        .value_kind:     by_value
      - .offset:         84
        .size:           4
        .value_kind:     by_value
      - .offset:         88
        .size:           4
        .value_kind:     by_value
      - .offset:         92
        .size:           12
        .value_kind:     by_value
      - .offset:         104
        .size:           4
        .value_kind:     by_value
      - .offset:         108
        .size:           4
        .value_kind:     by_value
      - .offset:         112
        .size:           4
        .value_kind:     by_value
      - .offset:         116
        .size:           12
        .value_kind:     by_value
      - .offset:         128
        .size:           4
        .value_kind:     by_value
      - .offset:         132
        .size:           4
        .value_kind:     by_value
      - .offset:         136
        .size:           4
        .value_kind:     by_value
      - .offset:         140
        .size:           4
        .value_kind:     by_value
    .group_segment_fixed_size: 0
    .kernarg_segment_align: 8
    .kernarg_segment_size: 144
    .language:       OpenCL C
    .language_version:
      - 2
      - 0
    .max_flat_workgroup_size: 32
    .name:           _ZL13mul_mat_vec_qIL9ggml_type18ELi8ELb0ELb0EEvPKvS2_PKi31ggml_cuda_mm_fusion_args_devicePfj15HIP_vector_typeIjLj3EEjjjS8_jjjS8_jjjj
    .private_segment_fixed_size: 0
    .sgpr_count:     30
    .sgpr_spill_count: 0
    .symbol:         _ZL13mul_mat_vec_qIL9ggml_type18ELi8ELb0ELb0EEvPKvS2_PKi31ggml_cuda_mm_fusion_args_devicePfj15HIP_vector_typeIjLj3EEjjjS8_jjjS8_jjjj.kd
    .uniform_work_group_size: 1
    .uses_dynamic_stack: false
    .vgpr_count:     37
    .vgpr_spill_count: 0
    .wavefront_size: 32
    .workgroup_processor_mode: 1
  - .args:
      - .address_space:  global
        .offset:         0
        .size:           8
        .value_kind:     global_buffer
      - .address_space:  global
        .offset:         8
        .size:           8
        .value_kind:     global_buffer
      - .address_space:  global
        .offset:         16
        .size:           8
        .value_kind:     global_buffer
      - .address_space:  global
        .offset:         24
        .size:           8
        .value_kind:     global_buffer
      - .offset:         32
        .size:           4
        .value_kind:     by_value
      - .offset:         36
        .size:           12
        .value_kind:     by_value
      - .offset:         48
        .size:           4
        .value_kind:     by_value
      - .offset:         52
        .size:           4
        .value_kind:     by_value
      - .offset:         56
        .size:           4
        .value_kind:     by_value
      - .offset:         60
        .size:           4
        .value_kind:     by_value
      - .offset:         64
        .size:           4
        .value_kind:     by_value
      - .offset:         68
        .size:           4
        .value_kind:     by_value
      - .offset:         72
        .size:           4
        .value_kind:     by_value
      - .offset:         76
        .size:           4
        .value_kind:     by_value
      - .offset:         80
        .size:           4
        .value_kind:     by_value
    .group_segment_fixed_size: 0
    .kernarg_segment_align: 8
    .kernarg_segment_size: 84
    .language:       OpenCL C
    .language_version:
      - 2
      - 0
    .max_flat_workgroup_size: 224
    .name:           _ZL17mul_mat_vec_q_moeIL9ggml_type19ELi2EEvPKvS2_PKiPfj15HIP_vector_typeIjLj3EEjjjjjjjjj
    .private_segment_fixed_size: 0
    .sgpr_count:     26
    .sgpr_spill_count: 0
    .symbol:         _ZL17mul_mat_vec_q_moeIL9ggml_type19ELi2EEvPKvS2_PKiPfj15HIP_vector_typeIjLj3EEjjjjjjjjj.kd
    .uniform_work_group_size: 1
    .uses_dynamic_stack: false
    .vgpr_count:     40
    .vgpr_spill_count: 0
    .wavefront_size: 32
    .workgroup_processor_mode: 1
  - .args:
      - .address_space:  global
        .offset:         0
        .size:           8
        .value_kind:     global_buffer
      - .address_space:  global
        .offset:         8
        .size:           8
        .value_kind:     global_buffer
      - .address_space:  global
        .offset:         16
        .size:           8
        .value_kind:     global_buffer
      - .offset:         24
        .size:           32
        .value_kind:     by_value
      - .address_space:  global
        .offset:         56
        .size:           8
        .value_kind:     global_buffer
      - .offset:         64
        .size:           4
        .value_kind:     by_value
      - .offset:         68
        .size:           12
        .value_kind:     by_value
      - .offset:         80
        .size:           4
        .value_kind:     by_value
      - .offset:         84
        .size:           4
        .value_kind:     by_value
      - .offset:         88
        .size:           4
        .value_kind:     by_value
      - .offset:         92
        .size:           12
        .value_kind:     by_value
      - .offset:         104
        .size:           4
        .value_kind:     by_value
      - .offset:         108
        .size:           4
        .value_kind:     by_value
      - .offset:         112
        .size:           4
        .value_kind:     by_value
      - .offset:         116
        .size:           12
        .value_kind:     by_value
      - .offset:         128
        .size:           4
        .value_kind:     by_value
      - .offset:         132
        .size:           4
        .value_kind:     by_value
      - .offset:         136
        .size:           4
        .value_kind:     by_value
      - .offset:         140
        .size:           4
        .value_kind:     by_value
    .group_segment_fixed_size: 0
    .kernarg_segment_align: 8
    .kernarg_segment_size: 144
    .language:       OpenCL C
    .language_version:
      - 2
      - 0
    .max_flat_workgroup_size: 32
    .name:           _ZL13mul_mat_vec_qIL9ggml_type19ELi1ELb1ELb1EEvPKvS2_PKi31ggml_cuda_mm_fusion_args_devicePfj15HIP_vector_typeIjLj3EEjjjS8_jjjS8_jjjj
    .private_segment_fixed_size: 0
    .sgpr_count:     40
    .sgpr_spill_count: 0
    .symbol:         _ZL13mul_mat_vec_qIL9ggml_type19ELi1ELb1ELb1EEvPKvS2_PKi31ggml_cuda_mm_fusion_args_devicePfj15HIP_vector_typeIjLj3EEjjjS8_jjjS8_jjjj.kd
    .uniform_work_group_size: 1
    .uses_dynamic_stack: false
    .vgpr_count:     36
    .vgpr_spill_count: 0
    .wavefront_size: 32
    .workgroup_processor_mode: 1
  - .args:
      - .address_space:  global
        .offset:         0
        .size:           8
        .value_kind:     global_buffer
      - .address_space:  global
        .offset:         8
        .size:           8
        .value_kind:     global_buffer
      - .address_space:  global
        .offset:         16
        .size:           8
        .value_kind:     global_buffer
      - .offset:         24
        .size:           32
        .value_kind:     by_value
      - .address_space:  global
        .offset:         56
        .size:           8
        .value_kind:     global_buffer
      - .offset:         64
        .size:           4
        .value_kind:     by_value
      - .offset:         68
        .size:           12
        .value_kind:     by_value
      - .offset:         80
        .size:           4
        .value_kind:     by_value
      - .offset:         84
        .size:           4
        .value_kind:     by_value
      - .offset:         88
        .size:           4
        .value_kind:     by_value
      - .offset:         92
        .size:           12
        .value_kind:     by_value
      - .offset:         104
        .size:           4
        .value_kind:     by_value
      - .offset:         108
        .size:           4
        .value_kind:     by_value
      - .offset:         112
        .size:           4
        .value_kind:     by_value
      - .offset:         116
        .size:           12
        .value_kind:     by_value
      - .offset:         128
        .size:           4
        .value_kind:     by_value
      - .offset:         132
        .size:           4
        .value_kind:     by_value
      - .offset:         136
        .size:           4
        .value_kind:     by_value
      - .offset:         140
        .size:           4
        .value_kind:     by_value
    .group_segment_fixed_size: 0
    .kernarg_segment_align: 8
    .kernarg_segment_size: 144
    .language:       OpenCL C
    .language_version:
      - 2
      - 0
    .max_flat_workgroup_size: 32
    .name:           _ZL13mul_mat_vec_qIL9ggml_type19ELi1ELb0ELb1EEvPKvS2_PKi31ggml_cuda_mm_fusion_args_devicePfj15HIP_vector_typeIjLj3EEjjjS8_jjjS8_jjjj
    .private_segment_fixed_size: 0
    .sgpr_count:     24
    .sgpr_spill_count: 0
    .symbol:         _ZL13mul_mat_vec_qIL9ggml_type19ELi1ELb0ELb1EEvPKvS2_PKi31ggml_cuda_mm_fusion_args_devicePfj15HIP_vector_typeIjLj3EEjjjS8_jjjS8_jjjj.kd
    .uniform_work_group_size: 1
    .uses_dynamic_stack: false
    .vgpr_count:     24
    .vgpr_spill_count: 0
    .wavefront_size: 32
    .workgroup_processor_mode: 1
  - .args:
      - .address_space:  global
        .offset:         0
        .size:           8
        .value_kind:     global_buffer
      - .address_space:  global
        .offset:         8
        .size:           8
        .value_kind:     global_buffer
      - .address_space:  global
        .offset:         16
        .size:           8
        .value_kind:     global_buffer
      - .offset:         24
        .size:           32
        .value_kind:     by_value
      - .address_space:  global
        .offset:         56
        .size:           8
        .value_kind:     global_buffer
      - .offset:         64
        .size:           4
        .value_kind:     by_value
      - .offset:         68
        .size:           12
        .value_kind:     by_value
      - .offset:         80
        .size:           4
        .value_kind:     by_value
      - .offset:         84
        .size:           4
        .value_kind:     by_value
      - .offset:         88
        .size:           4
        .value_kind:     by_value
      - .offset:         92
        .size:           12
        .value_kind:     by_value
      - .offset:         104
        .size:           4
        .value_kind:     by_value
      - .offset:         108
        .size:           4
        .value_kind:     by_value
      - .offset:         112
        .size:           4
        .value_kind:     by_value
      - .offset:         116
        .size:           12
        .value_kind:     by_value
      - .offset:         128
        .size:           4
        .value_kind:     by_value
      - .offset:         132
        .size:           4
        .value_kind:     by_value
      - .offset:         136
        .size:           4
        .value_kind:     by_value
      - .offset:         140
        .size:           4
        .value_kind:     by_value
    .group_segment_fixed_size: 0
    .kernarg_segment_align: 8
    .kernarg_segment_size: 144
    .language:       OpenCL C
    .language_version:
      - 2
      - 0
    .max_flat_workgroup_size: 32
    .name:           _ZL13mul_mat_vec_qIL9ggml_type19ELi1ELb1ELb0EEvPKvS2_PKi31ggml_cuda_mm_fusion_args_devicePfj15HIP_vector_typeIjLj3EEjjjS8_jjjS8_jjjj
    .private_segment_fixed_size: 0
    .sgpr_count:     40
    .sgpr_spill_count: 0
    .symbol:         _ZL13mul_mat_vec_qIL9ggml_type19ELi1ELb1ELb0EEvPKvS2_PKi31ggml_cuda_mm_fusion_args_devicePfj15HIP_vector_typeIjLj3EEjjjS8_jjjS8_jjjj.kd
    .uniform_work_group_size: 1
    .uses_dynamic_stack: false
    .vgpr_count:     36
    .vgpr_spill_count: 0
    .wavefront_size: 32
    .workgroup_processor_mode: 1
  - .args:
      - .address_space:  global
        .offset:         0
        .size:           8
        .value_kind:     global_buffer
      - .address_space:  global
        .offset:         8
        .size:           8
        .value_kind:     global_buffer
      - .address_space:  global
        .offset:         16
        .size:           8
        .value_kind:     global_buffer
      - .offset:         24
        .size:           32
        .value_kind:     by_value
      - .address_space:  global
        .offset:         56
        .size:           8
        .value_kind:     global_buffer
      - .offset:         64
        .size:           4
        .value_kind:     by_value
      - .offset:         68
        .size:           12
        .value_kind:     by_value
      - .offset:         80
        .size:           4
        .value_kind:     by_value
      - .offset:         84
        .size:           4
        .value_kind:     by_value
      - .offset:         88
        .size:           4
        .value_kind:     by_value
      - .offset:         92
        .size:           12
        .value_kind:     by_value
      - .offset:         104
        .size:           4
        .value_kind:     by_value
      - .offset:         108
        .size:           4
        .value_kind:     by_value
      - .offset:         112
        .size:           4
        .value_kind:     by_value
      - .offset:         116
        .size:           12
        .value_kind:     by_value
      - .offset:         128
        .size:           4
        .value_kind:     by_value
      - .offset:         132
        .size:           4
        .value_kind:     by_value
      - .offset:         136
        .size:           4
        .value_kind:     by_value
      - .offset:         140
        .size:           4
        .value_kind:     by_value
    .group_segment_fixed_size: 0
    .kernarg_segment_align: 8
    .kernarg_segment_size: 144
    .language:       OpenCL C
    .language_version:
      - 2
      - 0
    .max_flat_workgroup_size: 32
    .name:           _ZL13mul_mat_vec_qIL9ggml_type19ELi1ELb0ELb0EEvPKvS2_PKi31ggml_cuda_mm_fusion_args_devicePfj15HIP_vector_typeIjLj3EEjjjS8_jjjS8_jjjj
    .private_segment_fixed_size: 0
    .sgpr_count:     24
    .sgpr_spill_count: 0
    .symbol:         _ZL13mul_mat_vec_qIL9ggml_type19ELi1ELb0ELb0EEvPKvS2_PKi31ggml_cuda_mm_fusion_args_devicePfj15HIP_vector_typeIjLj3EEjjjS8_jjjS8_jjjj.kd
    .uniform_work_group_size: 1
    .uses_dynamic_stack: false
    .vgpr_count:     24
    .vgpr_spill_count: 0
    .wavefront_size: 32
    .workgroup_processor_mode: 1
  - .args:
      - .address_space:  global
        .offset:         0
        .size:           8
        .value_kind:     global_buffer
      - .address_space:  global
        .offset:         8
        .size:           8
        .value_kind:     global_buffer
      - .address_space:  global
        .offset:         16
        .size:           8
        .value_kind:     global_buffer
      - .offset:         24
        .size:           32
        .value_kind:     by_value
      - .address_space:  global
        .offset:         56
        .size:           8
        .value_kind:     global_buffer
      - .offset:         64
        .size:           4
        .value_kind:     by_value
      - .offset:         68
        .size:           12
        .value_kind:     by_value
      - .offset:         80
        .size:           4
        .value_kind:     by_value
      - .offset:         84
        .size:           4
        .value_kind:     by_value
      - .offset:         88
        .size:           4
        .value_kind:     by_value
      - .offset:         92
        .size:           12
        .value_kind:     by_value
      - .offset:         104
        .size:           4
        .value_kind:     by_value
      - .offset:         108
        .size:           4
        .value_kind:     by_value
      - .offset:         112
        .size:           4
        .value_kind:     by_value
      - .offset:         116
        .size:           12
        .value_kind:     by_value
      - .offset:         128
        .size:           4
        .value_kind:     by_value
      - .offset:         132
        .size:           4
        .value_kind:     by_value
      - .offset:         136
        .size:           4
        .value_kind:     by_value
      - .offset:         140
        .size:           4
        .value_kind:     by_value
    .group_segment_fixed_size: 0
    .kernarg_segment_align: 8
    .kernarg_segment_size: 144
    .language:       OpenCL C
    .language_version:
      - 2
      - 0
    .max_flat_workgroup_size: 32
    .name:           _ZL13mul_mat_vec_qIL9ggml_type19ELi2ELb0ELb0EEvPKvS2_PKi31ggml_cuda_mm_fusion_args_devicePfj15HIP_vector_typeIjLj3EEjjjS8_jjjS8_jjjj
    .private_segment_fixed_size: 0
    .sgpr_count:     30
    .sgpr_spill_count: 0
    .symbol:         _ZL13mul_mat_vec_qIL9ggml_type19ELi2ELb0ELb0EEvPKvS2_PKi31ggml_cuda_mm_fusion_args_devicePfj15HIP_vector_typeIjLj3EEjjjS8_jjjS8_jjjj.kd
    .uniform_work_group_size: 1
    .uses_dynamic_stack: false
    .vgpr_count:     39
    .vgpr_spill_count: 0
    .wavefront_size: 32
    .workgroup_processor_mode: 1
  - .args:
      - .address_space:  global
        .offset:         0
        .size:           8
        .value_kind:     global_buffer
      - .address_space:  global
        .offset:         8
        .size:           8
        .value_kind:     global_buffer
      - .address_space:  global
        .offset:         16
        .size:           8
        .value_kind:     global_buffer
      - .offset:         24
        .size:           32
        .value_kind:     by_value
      - .address_space:  global
        .offset:         56
        .size:           8
        .value_kind:     global_buffer
      - .offset:         64
        .size:           4
        .value_kind:     by_value
      - .offset:         68
        .size:           12
        .value_kind:     by_value
      - .offset:         80
        .size:           4
        .value_kind:     by_value
      - .offset:         84
        .size:           4
        .value_kind:     by_value
      - .offset:         88
        .size:           4
        .value_kind:     by_value
      - .offset:         92
        .size:           12
        .value_kind:     by_value
      - .offset:         104
        .size:           4
        .value_kind:     by_value
      - .offset:         108
        .size:           4
        .value_kind:     by_value
      - .offset:         112
        .size:           4
        .value_kind:     by_value
      - .offset:         116
        .size:           12
        .value_kind:     by_value
      - .offset:         128
        .size:           4
        .value_kind:     by_value
      - .offset:         132
        .size:           4
        .value_kind:     by_value
      - .offset:         136
        .size:           4
        .value_kind:     by_value
      - .offset:         140
        .size:           4
        .value_kind:     by_value
    .group_segment_fixed_size: 0
    .kernarg_segment_align: 8
    .kernarg_segment_size: 144
    .language:       OpenCL C
    .language_version:
      - 2
      - 0
    .max_flat_workgroup_size: 32
    .name:           _ZL13mul_mat_vec_qIL9ggml_type19ELi3ELb0ELb0EEvPKvS2_PKi31ggml_cuda_mm_fusion_args_devicePfj15HIP_vector_typeIjLj3EEjjjS8_jjjS8_jjjj
    .private_segment_fixed_size: 0
    .sgpr_count:     28
    .sgpr_spill_count: 0
    .symbol:         _ZL13mul_mat_vec_qIL9ggml_type19ELi3ELb0ELb0EEvPKvS2_PKi31ggml_cuda_mm_fusion_args_devicePfj15HIP_vector_typeIjLj3EEjjjS8_jjjS8_jjjj.kd
    .uniform_work_group_size: 1
    .uses_dynamic_stack: false
    .vgpr_count:     54
    .vgpr_spill_count: 0
    .wavefront_size: 32
    .workgroup_processor_mode: 1
  - .args:
      - .address_space:  global
        .offset:         0
        .size:           8
        .value_kind:     global_buffer
      - .address_space:  global
        .offset:         8
        .size:           8
        .value_kind:     global_buffer
      - .address_space:  global
        .offset:         16
        .size:           8
        .value_kind:     global_buffer
      - .offset:         24
        .size:           32
        .value_kind:     by_value
      - .address_space:  global
        .offset:         56
        .size:           8
        .value_kind:     global_buffer
      - .offset:         64
        .size:           4
        .value_kind:     by_value
      - .offset:         68
        .size:           12
        .value_kind:     by_value
      - .offset:         80
        .size:           4
        .value_kind:     by_value
      - .offset:         84
        .size:           4
        .value_kind:     by_value
      - .offset:         88
        .size:           4
        .value_kind:     by_value
      - .offset:         92
        .size:           12
        .value_kind:     by_value
      - .offset:         104
        .size:           4
        .value_kind:     by_value
      - .offset:         108
        .size:           4
        .value_kind:     by_value
      - .offset:         112
        .size:           4
        .value_kind:     by_value
      - .offset:         116
        .size:           12
        .value_kind:     by_value
      - .offset:         128
        .size:           4
        .value_kind:     by_value
      - .offset:         132
        .size:           4
        .value_kind:     by_value
      - .offset:         136
        .size:           4
        .value_kind:     by_value
      - .offset:         140
        .size:           4
        .value_kind:     by_value
    .group_segment_fixed_size: 0
    .kernarg_segment_align: 8
    .kernarg_segment_size: 144
    .language:       OpenCL C
    .language_version:
      - 2
      - 0
    .max_flat_workgroup_size: 32
    .name:           _ZL13mul_mat_vec_qIL9ggml_type19ELi4ELb0ELb0EEvPKvS2_PKi31ggml_cuda_mm_fusion_args_devicePfj15HIP_vector_typeIjLj3EEjjjS8_jjjS8_jjjj
    .private_segment_fixed_size: 0
    .sgpr_count:     28
    .sgpr_spill_count: 0
    .symbol:         _ZL13mul_mat_vec_qIL9ggml_type19ELi4ELb0ELb0EEvPKvS2_PKi31ggml_cuda_mm_fusion_args_devicePfj15HIP_vector_typeIjLj3EEjjjS8_jjjS8_jjjj.kd
    .uniform_work_group_size: 1
    .uses_dynamic_stack: false
    .vgpr_count:     66
    .vgpr_spill_count: 0
    .wavefront_size: 32
    .workgroup_processor_mode: 1
  - .args:
      - .address_space:  global
        .offset:         0
        .size:           8
        .value_kind:     global_buffer
      - .address_space:  global
        .offset:         8
        .size:           8
        .value_kind:     global_buffer
      - .address_space:  global
        .offset:         16
        .size:           8
        .value_kind:     global_buffer
      - .offset:         24
        .size:           32
        .value_kind:     by_value
      - .address_space:  global
        .offset:         56
        .size:           8
        .value_kind:     global_buffer
      - .offset:         64
        .size:           4
        .value_kind:     by_value
      - .offset:         68
        .size:           12
        .value_kind:     by_value
      - .offset:         80
        .size:           4
        .value_kind:     by_value
      - .offset:         84
        .size:           4
        .value_kind:     by_value
      - .offset:         88
        .size:           4
        .value_kind:     by_value
      - .offset:         92
        .size:           12
        .value_kind:     by_value
      - .offset:         104
        .size:           4
        .value_kind:     by_value
      - .offset:         108
        .size:           4
        .value_kind:     by_value
      - .offset:         112
        .size:           4
        .value_kind:     by_value
      - .offset:         116
        .size:           12
        .value_kind:     by_value
      - .offset:         128
        .size:           4
        .value_kind:     by_value
      - .offset:         132
        .size:           4
        .value_kind:     by_value
      - .offset:         136
        .size:           4
        .value_kind:     by_value
      - .offset:         140
        .size:           4
        .value_kind:     by_value
    .group_segment_fixed_size: 0
    .kernarg_segment_align: 8
    .kernarg_segment_size: 144
    .language:       OpenCL C
    .language_version:
      - 2
      - 0
    .max_flat_workgroup_size: 32
    .name:           _ZL13mul_mat_vec_qIL9ggml_type19ELi5ELb0ELb0EEvPKvS2_PKi31ggml_cuda_mm_fusion_args_devicePfj15HIP_vector_typeIjLj3EEjjjS8_jjjS8_jjjj
    .private_segment_fixed_size: 0
    .sgpr_count:     32
    .sgpr_spill_count: 0
    .symbol:         _ZL13mul_mat_vec_qIL9ggml_type19ELi5ELb0ELb0EEvPKvS2_PKi31ggml_cuda_mm_fusion_args_devicePfj15HIP_vector_typeIjLj3EEjjjS8_jjjS8_jjjj.kd
    .uniform_work_group_size: 1
    .uses_dynamic_stack: false
    .vgpr_count:     77
    .vgpr_spill_count: 0
    .wavefront_size: 32
    .workgroup_processor_mode: 1
  - .args:
      - .address_space:  global
        .offset:         0
        .size:           8
        .value_kind:     global_buffer
      - .address_space:  global
        .offset:         8
        .size:           8
        .value_kind:     global_buffer
      - .address_space:  global
        .offset:         16
        .size:           8
        .value_kind:     global_buffer
      - .offset:         24
        .size:           32
        .value_kind:     by_value
      - .address_space:  global
        .offset:         56
        .size:           8
        .value_kind:     global_buffer
      - .offset:         64
        .size:           4
        .value_kind:     by_value
      - .offset:         68
        .size:           12
        .value_kind:     by_value
      - .offset:         80
        .size:           4
        .value_kind:     by_value
      - .offset:         84
        .size:           4
        .value_kind:     by_value
      - .offset:         88
        .size:           4
        .value_kind:     by_value
      - .offset:         92
        .size:           12
        .value_kind:     by_value
      - .offset:         104
        .size:           4
        .value_kind:     by_value
      - .offset:         108
        .size:           4
        .value_kind:     by_value
      - .offset:         112
        .size:           4
        .value_kind:     by_value
      - .offset:         116
        .size:           12
        .value_kind:     by_value
      - .offset:         128
        .size:           4
        .value_kind:     by_value
      - .offset:         132
        .size:           4
        .value_kind:     by_value
      - .offset:         136
        .size:           4
        .value_kind:     by_value
      - .offset:         140
        .size:           4
        .value_kind:     by_value
    .group_segment_fixed_size: 0
    .kernarg_segment_align: 8
    .kernarg_segment_size: 144
    .language:       OpenCL C
    .language_version:
      - 2
      - 0
    .max_flat_workgroup_size: 32
    .name:           _ZL13mul_mat_vec_qIL9ggml_type19ELi6ELb0ELb0EEvPKvS2_PKi31ggml_cuda_mm_fusion_args_devicePfj15HIP_vector_typeIjLj3EEjjjS8_jjjS8_jjjj
    .private_segment_fixed_size: 0
    .sgpr_count:     32
    .sgpr_spill_count: 0
    .symbol:         _ZL13mul_mat_vec_qIL9ggml_type19ELi6ELb0ELb0EEvPKvS2_PKi31ggml_cuda_mm_fusion_args_devicePfj15HIP_vector_typeIjLj3EEjjjS8_jjjS8_jjjj.kd
    .uniform_work_group_size: 1
    .uses_dynamic_stack: false
    .vgpr_count:     87
    .vgpr_spill_count: 0
    .wavefront_size: 32
    .workgroup_processor_mode: 1
  - .args:
      - .address_space:  global
        .offset:         0
        .size:           8
        .value_kind:     global_buffer
      - .address_space:  global
        .offset:         8
        .size:           8
        .value_kind:     global_buffer
      - .address_space:  global
        .offset:         16
        .size:           8
        .value_kind:     global_buffer
      - .offset:         24
        .size:           32
        .value_kind:     by_value
      - .address_space:  global
        .offset:         56
        .size:           8
        .value_kind:     global_buffer
      - .offset:         64
        .size:           4
        .value_kind:     by_value
      - .offset:         68
        .size:           12
        .value_kind:     by_value
      - .offset:         80
        .size:           4
        .value_kind:     by_value
      - .offset:         84
        .size:           4
        .value_kind:     by_value
      - .offset:         88
        .size:           4
        .value_kind:     by_value
      - .offset:         92
        .size:           12
        .value_kind:     by_value
      - .offset:         104
        .size:           4
        .value_kind:     by_value
      - .offset:         108
        .size:           4
        .value_kind:     by_value
      - .offset:         112
        .size:           4
        .value_kind:     by_value
      - .offset:         116
        .size:           12
        .value_kind:     by_value
      - .offset:         128
        .size:           4
        .value_kind:     by_value
      - .offset:         132
        .size:           4
        .value_kind:     by_value
      - .offset:         136
        .size:           4
        .value_kind:     by_value
      - .offset:         140
        .size:           4
        .value_kind:     by_value
    .group_segment_fixed_size: 0
    .kernarg_segment_align: 8
    .kernarg_segment_size: 144
    .language:       OpenCL C
    .language_version:
      - 2
      - 0
    .max_flat_workgroup_size: 32
    .name:           _ZL13mul_mat_vec_qIL9ggml_type19ELi7ELb0ELb0EEvPKvS2_PKi31ggml_cuda_mm_fusion_args_devicePfj15HIP_vector_typeIjLj3EEjjjS8_jjjS8_jjjj
    .private_segment_fixed_size: 0
    .sgpr_count:     32
    .sgpr_spill_count: 0
    .symbol:         _ZL13mul_mat_vec_qIL9ggml_type19ELi7ELb0ELb0EEvPKvS2_PKi31ggml_cuda_mm_fusion_args_devicePfj15HIP_vector_typeIjLj3EEjjjS8_jjjS8_jjjj.kd
    .uniform_work_group_size: 1
    .uses_dynamic_stack: false
    .vgpr_count:     90
    .vgpr_spill_count: 0
    .wavefront_size: 32
    .workgroup_processor_mode: 1
  - .args:
      - .address_space:  global
        .offset:         0
        .size:           8
        .value_kind:     global_buffer
      - .address_space:  global
        .offset:         8
        .size:           8
        .value_kind:     global_buffer
      - .address_space:  global
        .offset:         16
        .size:           8
        .value_kind:     global_buffer
      - .offset:         24
        .size:           32
        .value_kind:     by_value
      - .address_space:  global
        .offset:         56
        .size:           8
        .value_kind:     global_buffer
      - .offset:         64
        .size:           4
        .value_kind:     by_value
      - .offset:         68
        .size:           12
        .value_kind:     by_value
      - .offset:         80
        .size:           4
        .value_kind:     by_value
      - .offset:         84
        .size:           4
        .value_kind:     by_value
      - .offset:         88
        .size:           4
        .value_kind:     by_value
      - .offset:         92
        .size:           12
        .value_kind:     by_value
      - .offset:         104
        .size:           4
        .value_kind:     by_value
      - .offset:         108
        .size:           4
        .value_kind:     by_value
      - .offset:         112
        .size:           4
        .value_kind:     by_value
      - .offset:         116
        .size:           12
        .value_kind:     by_value
      - .offset:         128
        .size:           4
        .value_kind:     by_value
      - .offset:         132
        .size:           4
        .value_kind:     by_value
      - .offset:         136
        .size:           4
        .value_kind:     by_value
      - .offset:         140
        .size:           4
        .value_kind:     by_value
    .group_segment_fixed_size: 0
    .kernarg_segment_align: 8
    .kernarg_segment_size: 144
    .language:       OpenCL C
    .language_version:
      - 2
      - 0
    .max_flat_workgroup_size: 32
    .name:           _ZL13mul_mat_vec_qIL9ggml_type19ELi8ELb0ELb0EEvPKvS2_PKi31ggml_cuda_mm_fusion_args_devicePfj15HIP_vector_typeIjLj3EEjjjS8_jjjS8_jjjj
    .private_segment_fixed_size: 0
    .sgpr_count:     28
    .sgpr_spill_count: 0
    .symbol:         _ZL13mul_mat_vec_qIL9ggml_type19ELi8ELb0ELb0EEvPKvS2_PKi31ggml_cuda_mm_fusion_args_devicePfj15HIP_vector_typeIjLj3EEjjjS8_jjjS8_jjjj.kd
    .uniform_work_group_size: 1
    .uses_dynamic_stack: false
    .vgpr_count:     93
    .vgpr_spill_count: 0
    .wavefront_size: 32
    .workgroup_processor_mode: 1
  - .args:
      - .address_space:  global
        .offset:         0
        .size:           8
        .value_kind:     global_buffer
      - .address_space:  global
        .offset:         8
        .size:           8
        .value_kind:     global_buffer
      - .address_space:  global
        .offset:         16
        .size:           8
        .value_kind:     global_buffer
      - .address_space:  global
        .offset:         24
        .size:           8
        .value_kind:     global_buffer
      - .offset:         32
        .size:           4
        .value_kind:     by_value
      - .offset:         36
        .size:           12
        .value_kind:     by_value
      - .offset:         48
        .size:           4
        .value_kind:     by_value
      - .offset:         52
        .size:           4
        .value_kind:     by_value
      - .offset:         56
        .size:           4
        .value_kind:     by_value
      - .offset:         60
        .size:           4
        .value_kind:     by_value
      - .offset:         64
        .size:           4
        .value_kind:     by_value
      - .offset:         68
        .size:           4
        .value_kind:     by_value
      - .offset:         72
        .size:           4
        .value_kind:     by_value
      - .offset:         76
        .size:           4
        .value_kind:     by_value
      - .offset:         80
        .size:           4
        .value_kind:     by_value
    .group_segment_fixed_size: 0
    .kernarg_segment_align: 8
    .kernarg_segment_size: 84
    .language:       OpenCL C
    .language_version:
      - 2
      - 0
    .max_flat_workgroup_size: 224
    .name:           _ZL17mul_mat_vec_q_moeIL9ggml_type29ELi2EEvPKvS2_PKiPfj15HIP_vector_typeIjLj3EEjjjjjjjjj
    .private_segment_fixed_size: 0
    .sgpr_count:     26
    .sgpr_spill_count: 0
    .symbol:         _ZL17mul_mat_vec_q_moeIL9ggml_type29ELi2EEvPKvS2_PKiPfj15HIP_vector_typeIjLj3EEjjjjjjjjj.kd
    .uniform_work_group_size: 1
    .uses_dynamic_stack: false
    .vgpr_count:     51
    .vgpr_spill_count: 0
    .wavefront_size: 32
    .workgroup_processor_mode: 1
  - .args:
      - .address_space:  global
        .offset:         0
        .size:           8
        .value_kind:     global_buffer
      - .address_space:  global
        .offset:         8
        .size:           8
        .value_kind:     global_buffer
      - .address_space:  global
        .offset:         16
        .size:           8
        .value_kind:     global_buffer
      - .offset:         24
        .size:           32
        .value_kind:     by_value
      - .address_space:  global
        .offset:         56
        .size:           8
        .value_kind:     global_buffer
      - .offset:         64
        .size:           4
        .value_kind:     by_value
      - .offset:         68
        .size:           12
        .value_kind:     by_value
      - .offset:         80
        .size:           4
        .value_kind:     by_value
      - .offset:         84
        .size:           4
        .value_kind:     by_value
      - .offset:         88
        .size:           4
        .value_kind:     by_value
      - .offset:         92
        .size:           12
        .value_kind:     by_value
      - .offset:         104
        .size:           4
        .value_kind:     by_value
      - .offset:         108
        .size:           4
        .value_kind:     by_value
      - .offset:         112
        .size:           4
        .value_kind:     by_value
      - .offset:         116
        .size:           12
        .value_kind:     by_value
      - .offset:         128
        .size:           4
        .value_kind:     by_value
      - .offset:         132
        .size:           4
        .value_kind:     by_value
      - .offset:         136
        .size:           4
        .value_kind:     by_value
      - .offset:         140
        .size:           4
        .value_kind:     by_value
    .group_segment_fixed_size: 0
    .kernarg_segment_align: 8
    .kernarg_segment_size: 144
    .language:       OpenCL C
    .language_version:
      - 2
      - 0
    .max_flat_workgroup_size: 32
    .name:           _ZL13mul_mat_vec_qIL9ggml_type29ELi1ELb1ELb1EEvPKvS2_PKi31ggml_cuda_mm_fusion_args_devicePfj15HIP_vector_typeIjLj3EEjjjS8_jjjS8_jjjj
    .private_segment_fixed_size: 0
    .sgpr_count:     40
    .sgpr_spill_count: 0
    .symbol:         _ZL13mul_mat_vec_qIL9ggml_type29ELi1ELb1ELb1EEvPKvS2_PKi31ggml_cuda_mm_fusion_args_devicePfj15HIP_vector_typeIjLj3EEjjjS8_jjjS8_jjjj.kd
    .uniform_work_group_size: 1
    .uses_dynamic_stack: false
    .vgpr_count:     52
    .vgpr_spill_count: 0
    .wavefront_size: 32
    .workgroup_processor_mode: 1
  - .args:
      - .address_space:  global
        .offset:         0
        .size:           8
        .value_kind:     global_buffer
      - .address_space:  global
        .offset:         8
        .size:           8
        .value_kind:     global_buffer
      - .address_space:  global
        .offset:         16
        .size:           8
        .value_kind:     global_buffer
      - .offset:         24
        .size:           32
        .value_kind:     by_value
      - .address_space:  global
        .offset:         56
        .size:           8
        .value_kind:     global_buffer
      - .offset:         64
        .size:           4
        .value_kind:     by_value
      - .offset:         68
        .size:           12
        .value_kind:     by_value
      - .offset:         80
        .size:           4
        .value_kind:     by_value
      - .offset:         84
        .size:           4
        .value_kind:     by_value
      - .offset:         88
        .size:           4
        .value_kind:     by_value
      - .offset:         92
        .size:           12
        .value_kind:     by_value
      - .offset:         104
        .size:           4
        .value_kind:     by_value
      - .offset:         108
        .size:           4
        .value_kind:     by_value
      - .offset:         112
        .size:           4
        .value_kind:     by_value
      - .offset:         116
        .size:           12
        .value_kind:     by_value
      - .offset:         128
        .size:           4
        .value_kind:     by_value
      - .offset:         132
        .size:           4
        .value_kind:     by_value
      - .offset:         136
        .size:           4
        .value_kind:     by_value
      - .offset:         140
        .size:           4
        .value_kind:     by_value
    .group_segment_fixed_size: 0
    .kernarg_segment_align: 8
    .kernarg_segment_size: 144
    .language:       OpenCL C
    .language_version:
      - 2
      - 0
    .max_flat_workgroup_size: 32
    .name:           _ZL13mul_mat_vec_qIL9ggml_type29ELi1ELb0ELb1EEvPKvS2_PKi31ggml_cuda_mm_fusion_args_devicePfj15HIP_vector_typeIjLj3EEjjjS8_jjjS8_jjjj
    .private_segment_fixed_size: 0
    .sgpr_count:     24
    .sgpr_spill_count: 0
    .symbol:         _ZL13mul_mat_vec_qIL9ggml_type29ELi1ELb0ELb1EEvPKvS2_PKi31ggml_cuda_mm_fusion_args_devicePfj15HIP_vector_typeIjLj3EEjjjS8_jjjS8_jjjj.kd
    .uniform_work_group_size: 1
    .uses_dynamic_stack: false
    .vgpr_count:     37
    .vgpr_spill_count: 0
    .wavefront_size: 32
    .workgroup_processor_mode: 1
  - .args:
      - .address_space:  global
        .offset:         0
        .size:           8
        .value_kind:     global_buffer
      - .address_space:  global
        .offset:         8
        .size:           8
        .value_kind:     global_buffer
      - .address_space:  global
        .offset:         16
        .size:           8
        .value_kind:     global_buffer
      - .offset:         24
        .size:           32
        .value_kind:     by_value
      - .address_space:  global
        .offset:         56
        .size:           8
        .value_kind:     global_buffer
      - .offset:         64
        .size:           4
        .value_kind:     by_value
      - .offset:         68
        .size:           12
        .value_kind:     by_value
      - .offset:         80
        .size:           4
        .value_kind:     by_value
      - .offset:         84
        .size:           4
        .value_kind:     by_value
      - .offset:         88
        .size:           4
        .value_kind:     by_value
      - .offset:         92
        .size:           12
        .value_kind:     by_value
      - .offset:         104
        .size:           4
        .value_kind:     by_value
      - .offset:         108
        .size:           4
        .value_kind:     by_value
      - .offset:         112
        .size:           4
        .value_kind:     by_value
      - .offset:         116
        .size:           12
        .value_kind:     by_value
      - .offset:         128
        .size:           4
        .value_kind:     by_value
      - .offset:         132
        .size:           4
        .value_kind:     by_value
      - .offset:         136
        .size:           4
        .value_kind:     by_value
      - .offset:         140
        .size:           4
        .value_kind:     by_value
    .group_segment_fixed_size: 0
    .kernarg_segment_align: 8
    .kernarg_segment_size: 144
    .language:       OpenCL C
    .language_version:
      - 2
      - 0
    .max_flat_workgroup_size: 32
    .name:           _ZL13mul_mat_vec_qIL9ggml_type29ELi1ELb1ELb0EEvPKvS2_PKi31ggml_cuda_mm_fusion_args_devicePfj15HIP_vector_typeIjLj3EEjjjS8_jjjS8_jjjj
    .private_segment_fixed_size: 0
    .sgpr_count:     40
    .sgpr_spill_count: 0
    .symbol:         _ZL13mul_mat_vec_qIL9ggml_type29ELi1ELb1ELb0EEvPKvS2_PKi31ggml_cuda_mm_fusion_args_devicePfj15HIP_vector_typeIjLj3EEjjjS8_jjjS8_jjjj.kd
    .uniform_work_group_size: 1
    .uses_dynamic_stack: false
    .vgpr_count:     52
    .vgpr_spill_count: 0
    .wavefront_size: 32
    .workgroup_processor_mode: 1
  - .args:
      - .address_space:  global
        .offset:         0
        .size:           8
        .value_kind:     global_buffer
      - .address_space:  global
        .offset:         8
        .size:           8
        .value_kind:     global_buffer
      - .address_space:  global
        .offset:         16
        .size:           8
        .value_kind:     global_buffer
      - .offset:         24
        .size:           32
        .value_kind:     by_value
      - .address_space:  global
        .offset:         56
        .size:           8
        .value_kind:     global_buffer
      - .offset:         64
        .size:           4
        .value_kind:     by_value
      - .offset:         68
        .size:           12
        .value_kind:     by_value
      - .offset:         80
        .size:           4
        .value_kind:     by_value
      - .offset:         84
        .size:           4
        .value_kind:     by_value
      - .offset:         88
        .size:           4
        .value_kind:     by_value
      - .offset:         92
        .size:           12
        .value_kind:     by_value
      - .offset:         104
        .size:           4
        .value_kind:     by_value
      - .offset:         108
        .size:           4
        .value_kind:     by_value
      - .offset:         112
        .size:           4
        .value_kind:     by_value
      - .offset:         116
        .size:           12
        .value_kind:     by_value
      - .offset:         128
        .size:           4
        .value_kind:     by_value
      - .offset:         132
        .size:           4
        .value_kind:     by_value
      - .offset:         136
        .size:           4
        .value_kind:     by_value
      - .offset:         140
        .size:           4
        .value_kind:     by_value
    .group_segment_fixed_size: 0
    .kernarg_segment_align: 8
    .kernarg_segment_size: 144
    .language:       OpenCL C
    .language_version:
      - 2
      - 0
    .max_flat_workgroup_size: 32
    .name:           _ZL13mul_mat_vec_qIL9ggml_type29ELi1ELb0ELb0EEvPKvS2_PKi31ggml_cuda_mm_fusion_args_devicePfj15HIP_vector_typeIjLj3EEjjjS8_jjjS8_jjjj
    .private_segment_fixed_size: 0
    .sgpr_count:     24
    .sgpr_spill_count: 0
    .symbol:         _ZL13mul_mat_vec_qIL9ggml_type29ELi1ELb0ELb0EEvPKvS2_PKi31ggml_cuda_mm_fusion_args_devicePfj15HIP_vector_typeIjLj3EEjjjS8_jjjS8_jjjj.kd
    .uniform_work_group_size: 1
    .uses_dynamic_stack: false
    .vgpr_count:     37
    .vgpr_spill_count: 0
    .wavefront_size: 32
    .workgroup_processor_mode: 1
  - .args:
      - .address_space:  global
        .offset:         0
        .size:           8
        .value_kind:     global_buffer
      - .address_space:  global
        .offset:         8
        .size:           8
        .value_kind:     global_buffer
      - .address_space:  global
        .offset:         16
        .size:           8
        .value_kind:     global_buffer
      - .offset:         24
        .size:           32
        .value_kind:     by_value
      - .address_space:  global
        .offset:         56
        .size:           8
        .value_kind:     global_buffer
      - .offset:         64
        .size:           4
        .value_kind:     by_value
      - .offset:         68
        .size:           12
        .value_kind:     by_value
      - .offset:         80
        .size:           4
        .value_kind:     by_value
      - .offset:         84
        .size:           4
        .value_kind:     by_value
      - .offset:         88
        .size:           4
        .value_kind:     by_value
      - .offset:         92
        .size:           12
        .value_kind:     by_value
      - .offset:         104
        .size:           4
        .value_kind:     by_value
      - .offset:         108
        .size:           4
        .value_kind:     by_value
      - .offset:         112
        .size:           4
        .value_kind:     by_value
      - .offset:         116
        .size:           12
        .value_kind:     by_value
      - .offset:         128
        .size:           4
        .value_kind:     by_value
      - .offset:         132
        .size:           4
        .value_kind:     by_value
      - .offset:         136
        .size:           4
        .value_kind:     by_value
      - .offset:         140
        .size:           4
        .value_kind:     by_value
    .group_segment_fixed_size: 0
    .kernarg_segment_align: 8
    .kernarg_segment_size: 144
    .language:       OpenCL C
    .language_version:
      - 2
      - 0
    .max_flat_workgroup_size: 32
    .name:           _ZL13mul_mat_vec_qIL9ggml_type29ELi2ELb0ELb0EEvPKvS2_PKi31ggml_cuda_mm_fusion_args_devicePfj15HIP_vector_typeIjLj3EEjjjS8_jjjS8_jjjj
    .private_segment_fixed_size: 0
    .sgpr_count:     32
    .sgpr_spill_count: 0
    .symbol:         _ZL13mul_mat_vec_qIL9ggml_type29ELi2ELb0ELb0EEvPKvS2_PKi31ggml_cuda_mm_fusion_args_devicePfj15HIP_vector_typeIjLj3EEjjjS8_jjjS8_jjjj.kd
    .uniform_work_group_size: 1
    .uses_dynamic_stack: false
    .vgpr_count:     54
    .vgpr_spill_count: 0
    .wavefront_size: 32
    .workgroup_processor_mode: 1
  - .args:
      - .address_space:  global
        .offset:         0
        .size:           8
        .value_kind:     global_buffer
      - .address_space:  global
        .offset:         8
        .size:           8
        .value_kind:     global_buffer
      - .address_space:  global
        .offset:         16
        .size:           8
        .value_kind:     global_buffer
      - .offset:         24
        .size:           32
        .value_kind:     by_value
      - .address_space:  global
        .offset:         56
        .size:           8
        .value_kind:     global_buffer
      - .offset:         64
        .size:           4
        .value_kind:     by_value
      - .offset:         68
        .size:           12
        .value_kind:     by_value
      - .offset:         80
        .size:           4
        .value_kind:     by_value
      - .offset:         84
        .size:           4
        .value_kind:     by_value
      - .offset:         88
        .size:           4
        .value_kind:     by_value
      - .offset:         92
        .size:           12
        .value_kind:     by_value
      - .offset:         104
        .size:           4
        .value_kind:     by_value
      - .offset:         108
        .size:           4
        .value_kind:     by_value
      - .offset:         112
        .size:           4
        .value_kind:     by_value
      - .offset:         116
        .size:           12
        .value_kind:     by_value
      - .offset:         128
        .size:           4
        .value_kind:     by_value
      - .offset:         132
        .size:           4
        .value_kind:     by_value
      - .offset:         136
        .size:           4
        .value_kind:     by_value
      - .offset:         140
        .size:           4
        .value_kind:     by_value
    .group_segment_fixed_size: 0
    .kernarg_segment_align: 8
    .kernarg_segment_size: 144
    .language:       OpenCL C
    .language_version:
      - 2
      - 0
    .max_flat_workgroup_size: 32
    .name:           _ZL13mul_mat_vec_qIL9ggml_type29ELi3ELb0ELb0EEvPKvS2_PKi31ggml_cuda_mm_fusion_args_devicePfj15HIP_vector_typeIjLj3EEjjjS8_jjjS8_jjjj
    .private_segment_fixed_size: 0
    .sgpr_count:     32
    .sgpr_spill_count: 0
    .symbol:         _ZL13mul_mat_vec_qIL9ggml_type29ELi3ELb0ELb0EEvPKvS2_PKi31ggml_cuda_mm_fusion_args_devicePfj15HIP_vector_typeIjLj3EEjjjS8_jjjS8_jjjj.kd
    .uniform_work_group_size: 1
    .uses_dynamic_stack: false
    .vgpr_count:     69
    .vgpr_spill_count: 0
    .wavefront_size: 32
    .workgroup_processor_mode: 1
  - .args:
      - .address_space:  global
        .offset:         0
        .size:           8
        .value_kind:     global_buffer
      - .address_space:  global
        .offset:         8
        .size:           8
        .value_kind:     global_buffer
      - .address_space:  global
        .offset:         16
        .size:           8
        .value_kind:     global_buffer
      - .offset:         24
        .size:           32
        .value_kind:     by_value
      - .address_space:  global
        .offset:         56
        .size:           8
        .value_kind:     global_buffer
      - .offset:         64
        .size:           4
        .value_kind:     by_value
      - .offset:         68
        .size:           12
        .value_kind:     by_value
      - .offset:         80
        .size:           4
        .value_kind:     by_value
      - .offset:         84
        .size:           4
        .value_kind:     by_value
      - .offset:         88
        .size:           4
        .value_kind:     by_value
      - .offset:         92
        .size:           12
        .value_kind:     by_value
      - .offset:         104
        .size:           4
        .value_kind:     by_value
      - .offset:         108
        .size:           4
        .value_kind:     by_value
      - .offset:         112
        .size:           4
        .value_kind:     by_value
      - .offset:         116
        .size:           12
        .value_kind:     by_value
      - .offset:         128
        .size:           4
        .value_kind:     by_value
      - .offset:         132
        .size:           4
        .value_kind:     by_value
      - .offset:         136
        .size:           4
        .value_kind:     by_value
      - .offset:         140
        .size:           4
        .value_kind:     by_value
    .group_segment_fixed_size: 0
    .kernarg_segment_align: 8
    .kernarg_segment_size: 144
    .language:       OpenCL C
    .language_version:
      - 2
      - 0
    .max_flat_workgroup_size: 32
    .name:           _ZL13mul_mat_vec_qIL9ggml_type29ELi4ELb0ELb0EEvPKvS2_PKi31ggml_cuda_mm_fusion_args_devicePfj15HIP_vector_typeIjLj3EEjjjS8_jjjS8_jjjj
    .private_segment_fixed_size: 0
    .sgpr_count:     32
    .sgpr_spill_count: 0
    .symbol:         _ZL13mul_mat_vec_qIL9ggml_type29ELi4ELb0ELb0EEvPKvS2_PKi31ggml_cuda_mm_fusion_args_devicePfj15HIP_vector_typeIjLj3EEjjjS8_jjjS8_jjjj.kd
    .uniform_work_group_size: 1
    .uses_dynamic_stack: false
    .vgpr_count:     84
    .vgpr_spill_count: 0
    .wavefront_size: 32
    .workgroup_processor_mode: 1
  - .args:
      - .address_space:  global
        .offset:         0
        .size:           8
        .value_kind:     global_buffer
      - .address_space:  global
        .offset:         8
        .size:           8
        .value_kind:     global_buffer
      - .address_space:  global
        .offset:         16
        .size:           8
        .value_kind:     global_buffer
      - .offset:         24
        .size:           32
        .value_kind:     by_value
      - .address_space:  global
        .offset:         56
        .size:           8
        .value_kind:     global_buffer
      - .offset:         64
        .size:           4
        .value_kind:     by_value
      - .offset:         68
        .size:           12
        .value_kind:     by_value
      - .offset:         80
        .size:           4
        .value_kind:     by_value
      - .offset:         84
        .size:           4
        .value_kind:     by_value
      - .offset:         88
        .size:           4
        .value_kind:     by_value
      - .offset:         92
        .size:           12
        .value_kind:     by_value
      - .offset:         104
        .size:           4
        .value_kind:     by_value
      - .offset:         108
        .size:           4
        .value_kind:     by_value
      - .offset:         112
        .size:           4
        .value_kind:     by_value
      - .offset:         116
        .size:           12
        .value_kind:     by_value
      - .offset:         128
        .size:           4
        .value_kind:     by_value
      - .offset:         132
        .size:           4
        .value_kind:     by_value
      - .offset:         136
        .size:           4
        .value_kind:     by_value
      - .offset:         140
        .size:           4
        .value_kind:     by_value
    .group_segment_fixed_size: 0
    .kernarg_segment_align: 8
    .kernarg_segment_size: 144
    .language:       OpenCL C
    .language_version:
      - 2
      - 0
    .max_flat_workgroup_size: 32
    .name:           _ZL13mul_mat_vec_qIL9ggml_type29ELi5ELb0ELb0EEvPKvS2_PKi31ggml_cuda_mm_fusion_args_devicePfj15HIP_vector_typeIjLj3EEjjjS8_jjjS8_jjjj
    .private_segment_fixed_size: 0
    .sgpr_count:     32
    .sgpr_spill_count: 0
    .symbol:         _ZL13mul_mat_vec_qIL9ggml_type29ELi5ELb0ELb0EEvPKvS2_PKi31ggml_cuda_mm_fusion_args_devicePfj15HIP_vector_typeIjLj3EEjjjS8_jjjS8_jjjj.kd
    .uniform_work_group_size: 1
    .uses_dynamic_stack: false
    .vgpr_count:     92
    .vgpr_spill_count: 0
    .wavefront_size: 32
    .workgroup_processor_mode: 1
  - .args:
      - .address_space:  global
        .offset:         0
        .size:           8
        .value_kind:     global_buffer
      - .address_space:  global
        .offset:         8
        .size:           8
        .value_kind:     global_buffer
      - .address_space:  global
        .offset:         16
        .size:           8
        .value_kind:     global_buffer
      - .offset:         24
        .size:           32
        .value_kind:     by_value
      - .address_space:  global
        .offset:         56
        .size:           8
        .value_kind:     global_buffer
      - .offset:         64
        .size:           4
        .value_kind:     by_value
      - .offset:         68
        .size:           12
        .value_kind:     by_value
      - .offset:         80
        .size:           4
        .value_kind:     by_value
      - .offset:         84
        .size:           4
        .value_kind:     by_value
      - .offset:         88
        .size:           4
        .value_kind:     by_value
      - .offset:         92
        .size:           12
        .value_kind:     by_value
      - .offset:         104
        .size:           4
        .value_kind:     by_value
      - .offset:         108
        .size:           4
        .value_kind:     by_value
      - .offset:         112
        .size:           4
        .value_kind:     by_value
      - .offset:         116
        .size:           12
        .value_kind:     by_value
      - .offset:         128
        .size:           4
        .value_kind:     by_value
      - .offset:         132
        .size:           4
        .value_kind:     by_value
      - .offset:         136
        .size:           4
        .value_kind:     by_value
      - .offset:         140
        .size:           4
        .value_kind:     by_value
    .group_segment_fixed_size: 0
    .kernarg_segment_align: 8
    .kernarg_segment_size: 144
    .language:       OpenCL C
    .language_version:
      - 2
      - 0
    .max_flat_workgroup_size: 32
    .name:           _ZL13mul_mat_vec_qIL9ggml_type29ELi6ELb0ELb0EEvPKvS2_PKi31ggml_cuda_mm_fusion_args_devicePfj15HIP_vector_typeIjLj3EEjjjS8_jjjS8_jjjj
    .private_segment_fixed_size: 0
    .sgpr_count:     32
    .sgpr_spill_count: 0
    .symbol:         _ZL13mul_mat_vec_qIL9ggml_type29ELi6ELb0ELb0EEvPKvS2_PKi31ggml_cuda_mm_fusion_args_devicePfj15HIP_vector_typeIjLj3EEjjjS8_jjjS8_jjjj.kd
    .uniform_work_group_size: 1
    .uses_dynamic_stack: false
    .vgpr_count:     92
    .vgpr_spill_count: 0
    .wavefront_size: 32
    .workgroup_processor_mode: 1
  - .args:
      - .address_space:  global
        .offset:         0
        .size:           8
        .value_kind:     global_buffer
      - .address_space:  global
        .offset:         8
        .size:           8
        .value_kind:     global_buffer
      - .address_space:  global
        .offset:         16
        .size:           8
        .value_kind:     global_buffer
      - .offset:         24
        .size:           32
        .value_kind:     by_value
      - .address_space:  global
        .offset:         56
        .size:           8
        .value_kind:     global_buffer
      - .offset:         64
        .size:           4
        .value_kind:     by_value
      - .offset:         68
        .size:           12
        .value_kind:     by_value
      - .offset:         80
        .size:           4
        .value_kind:     by_value
      - .offset:         84
        .size:           4
        .value_kind:     by_value
      - .offset:         88
        .size:           4
        .value_kind:     by_value
      - .offset:         92
        .size:           12
        .value_kind:     by_value
      - .offset:         104
        .size:           4
        .value_kind:     by_value
      - .offset:         108
        .size:           4
        .value_kind:     by_value
      - .offset:         112
        .size:           4
        .value_kind:     by_value
      - .offset:         116
        .size:           12
        .value_kind:     by_value
      - .offset:         128
        .size:           4
        .value_kind:     by_value
      - .offset:         132
        .size:           4
        .value_kind:     by_value
      - .offset:         136
        .size:           4
        .value_kind:     by_value
      - .offset:         140
        .size:           4
        .value_kind:     by_value
    .group_segment_fixed_size: 0
    .kernarg_segment_align: 8
    .kernarg_segment_size: 144
    .language:       OpenCL C
    .language_version:
      - 2
      - 0
    .max_flat_workgroup_size: 32
    .name:           _ZL13mul_mat_vec_qIL9ggml_type29ELi7ELb0ELb0EEvPKvS2_PKi31ggml_cuda_mm_fusion_args_devicePfj15HIP_vector_typeIjLj3EEjjjS8_jjjS8_jjjj
    .private_segment_fixed_size: 0
    .sgpr_count:     32
    .sgpr_spill_count: 0
    .symbol:         _ZL13mul_mat_vec_qIL9ggml_type29ELi7ELb0ELb0EEvPKvS2_PKi31ggml_cuda_mm_fusion_args_devicePfj15HIP_vector_typeIjLj3EEjjjS8_jjjS8_jjjj.kd
    .uniform_work_group_size: 1
    .uses_dynamic_stack: false
    .vgpr_count:     96
    .vgpr_spill_count: 0
    .wavefront_size: 32
    .workgroup_processor_mode: 1
  - .args:
      - .address_space:  global
        .offset:         0
        .size:           8
        .value_kind:     global_buffer
      - .address_space:  global
        .offset:         8
        .size:           8
        .value_kind:     global_buffer
      - .address_space:  global
        .offset:         16
        .size:           8
        .value_kind:     global_buffer
      - .offset:         24
        .size:           32
        .value_kind:     by_value
      - .address_space:  global
        .offset:         56
        .size:           8
        .value_kind:     global_buffer
      - .offset:         64
        .size:           4
        .value_kind:     by_value
      - .offset:         68
        .size:           12
        .value_kind:     by_value
      - .offset:         80
        .size:           4
        .value_kind:     by_value
      - .offset:         84
        .size:           4
        .value_kind:     by_value
      - .offset:         88
        .size:           4
        .value_kind:     by_value
      - .offset:         92
        .size:           12
        .value_kind:     by_value
      - .offset:         104
        .size:           4
        .value_kind:     by_value
      - .offset:         108
        .size:           4
        .value_kind:     by_value
      - .offset:         112
        .size:           4
        .value_kind:     by_value
      - .offset:         116
        .size:           12
        .value_kind:     by_value
      - .offset:         128
        .size:           4
        .value_kind:     by_value
      - .offset:         132
        .size:           4
        .value_kind:     by_value
      - .offset:         136
        .size:           4
        .value_kind:     by_value
      - .offset:         140
        .size:           4
        .value_kind:     by_value
    .group_segment_fixed_size: 0
    .kernarg_segment_align: 8
    .kernarg_segment_size: 144
    .language:       OpenCL C
    .language_version:
      - 2
      - 0
    .max_flat_workgroup_size: 32
    .name:           _ZL13mul_mat_vec_qIL9ggml_type29ELi8ELb0ELb0EEvPKvS2_PKi31ggml_cuda_mm_fusion_args_devicePfj15HIP_vector_typeIjLj3EEjjjS8_jjjS8_jjjj
    .private_segment_fixed_size: 0
    .sgpr_count:     32
    .sgpr_spill_count: 0
    .symbol:         _ZL13mul_mat_vec_qIL9ggml_type29ELi8ELb0ELb0EEvPKvS2_PKi31ggml_cuda_mm_fusion_args_devicePfj15HIP_vector_typeIjLj3EEjjjS8_jjjS8_jjjj.kd
    .uniform_work_group_size: 1
    .uses_dynamic_stack: false
    .vgpr_count:     93
    .vgpr_spill_count: 0
    .wavefront_size: 32
    .workgroup_processor_mode: 1
  - .args:
      - .address_space:  global
        .offset:         0
        .size:           8
        .value_kind:     global_buffer
      - .address_space:  global
        .offset:         8
        .size:           8
        .value_kind:     global_buffer
      - .address_space:  global
        .offset:         16
        .size:           8
        .value_kind:     global_buffer
      - .address_space:  global
        .offset:         24
        .size:           8
        .value_kind:     global_buffer
      - .offset:         32
        .size:           4
        .value_kind:     by_value
      - .offset:         36
        .size:           12
        .value_kind:     by_value
      - .offset:         48
        .size:           4
        .value_kind:     by_value
      - .offset:         52
        .size:           4
        .value_kind:     by_value
      - .offset:         56
        .size:           4
        .value_kind:     by_value
      - .offset:         60
        .size:           4
        .value_kind:     by_value
      - .offset:         64
        .size:           4
        .value_kind:     by_value
      - .offset:         68
        .size:           4
        .value_kind:     by_value
      - .offset:         72
        .size:           4
        .value_kind:     by_value
      - .offset:         76
        .size:           4
        .value_kind:     by_value
      - .offset:         80
        .size:           4
        .value_kind:     by_value
    .group_segment_fixed_size: 0
    .kernarg_segment_align: 8
    .kernarg_segment_size: 84
    .language:       OpenCL C
    .language_version:
      - 2
      - 0
    .max_flat_workgroup_size: 224
    .name:           _ZL17mul_mat_vec_q_moeIL9ggml_type20ELi2EEvPKvS2_PKiPfj15HIP_vector_typeIjLj3EEjjjjjjjjj
    .private_segment_fixed_size: 0
    .sgpr_count:     26
    .sgpr_spill_count: 0
    .symbol:         _ZL17mul_mat_vec_q_moeIL9ggml_type20ELi2EEvPKvS2_PKiPfj15HIP_vector_typeIjLj3EEjjjjjjjjj.kd
    .uniform_work_group_size: 1
    .uses_dynamic_stack: false
    .vgpr_count:     39
    .vgpr_spill_count: 0
    .wavefront_size: 32
    .workgroup_processor_mode: 1
  - .args:
      - .address_space:  global
        .offset:         0
        .size:           8
        .value_kind:     global_buffer
      - .address_space:  global
        .offset:         8
        .size:           8
        .value_kind:     global_buffer
      - .address_space:  global
        .offset:         16
        .size:           8
        .value_kind:     global_buffer
      - .offset:         24
        .size:           32
        .value_kind:     by_value
      - .address_space:  global
        .offset:         56
        .size:           8
        .value_kind:     global_buffer
      - .offset:         64
        .size:           4
        .value_kind:     by_value
      - .offset:         68
        .size:           12
        .value_kind:     by_value
      - .offset:         80
        .size:           4
        .value_kind:     by_value
      - .offset:         84
        .size:           4
        .value_kind:     by_value
      - .offset:         88
        .size:           4
        .value_kind:     by_value
      - .offset:         92
        .size:           12
        .value_kind:     by_value
      - .offset:         104
        .size:           4
        .value_kind:     by_value
      - .offset:         108
        .size:           4
        .value_kind:     by_value
      - .offset:         112
        .size:           4
        .value_kind:     by_value
      - .offset:         116
        .size:           12
        .value_kind:     by_value
      - .offset:         128
        .size:           4
        .value_kind:     by_value
      - .offset:         132
        .size:           4
        .value_kind:     by_value
      - .offset:         136
        .size:           4
        .value_kind:     by_value
      - .offset:         140
        .size:           4
        .value_kind:     by_value
    .group_segment_fixed_size: 1792
    .kernarg_segment_align: 8
    .kernarg_segment_size: 144
    .language:       OpenCL C
    .language_version:
      - 2
      - 0
    .max_flat_workgroup_size: 256
    .name:           _ZL13mul_mat_vec_qIL9ggml_type20ELi1ELb1ELb1EEvPKvS2_PKi31ggml_cuda_mm_fusion_args_devicePfj15HIP_vector_typeIjLj3EEjjjS8_jjjS8_jjjj
    .private_segment_fixed_size: 0
    .sgpr_count:     40
    .sgpr_spill_count: 0
    .symbol:         _ZL13mul_mat_vec_qIL9ggml_type20ELi1ELb1ELb1EEvPKvS2_PKi31ggml_cuda_mm_fusion_args_devicePfj15HIP_vector_typeIjLj3EEjjjS8_jjjS8_jjjj.kd
    .uniform_work_group_size: 1
    .uses_dynamic_stack: false
    .vgpr_count:     32
    .vgpr_spill_count: 0
    .wavefront_size: 32
    .workgroup_processor_mode: 1
  - .args:
      - .address_space:  global
        .offset:         0
        .size:           8
        .value_kind:     global_buffer
      - .address_space:  global
        .offset:         8
        .size:           8
        .value_kind:     global_buffer
      - .address_space:  global
        .offset:         16
        .size:           8
        .value_kind:     global_buffer
      - .offset:         24
        .size:           32
        .value_kind:     by_value
      - .address_space:  global
        .offset:         56
        .size:           8
        .value_kind:     global_buffer
      - .offset:         64
        .size:           4
        .value_kind:     by_value
      - .offset:         68
        .size:           12
        .value_kind:     by_value
      - .offset:         80
        .size:           4
        .value_kind:     by_value
      - .offset:         84
        .size:           4
        .value_kind:     by_value
      - .offset:         88
        .size:           4
        .value_kind:     by_value
      - .offset:         92
        .size:           12
        .value_kind:     by_value
      - .offset:         104
        .size:           4
        .value_kind:     by_value
      - .offset:         108
        .size:           4
        .value_kind:     by_value
      - .offset:         112
        .size:           4
        .value_kind:     by_value
      - .offset:         116
        .size:           12
        .value_kind:     by_value
      - .offset:         128
        .size:           4
        .value_kind:     by_value
      - .offset:         132
        .size:           4
        .value_kind:     by_value
      - .offset:         136
        .size:           4
        .value_kind:     by_value
      - .offset:         140
        .size:           4
        .value_kind:     by_value
    .group_segment_fixed_size: 896
    .kernarg_segment_align: 8
    .kernarg_segment_size: 144
    .language:       OpenCL C
    .language_version:
      - 2
      - 0
    .max_flat_workgroup_size: 256
    .name:           _ZL13mul_mat_vec_qIL9ggml_type20ELi1ELb0ELb1EEvPKvS2_PKi31ggml_cuda_mm_fusion_args_devicePfj15HIP_vector_typeIjLj3EEjjjS8_jjjS8_jjjj
    .private_segment_fixed_size: 0
    .sgpr_count:     26
    .sgpr_spill_count: 0
    .symbol:         _ZL13mul_mat_vec_qIL9ggml_type20ELi1ELb0ELb1EEvPKvS2_PKi31ggml_cuda_mm_fusion_args_devicePfj15HIP_vector_typeIjLj3EEjjjS8_jjjS8_jjjj.kd
    .uniform_work_group_size: 1
    .uses_dynamic_stack: false
    .vgpr_count:     26
    .vgpr_spill_count: 0
    .wavefront_size: 32
    .workgroup_processor_mode: 1
  - .args:
      - .address_space:  global
        .offset:         0
        .size:           8
        .value_kind:     global_buffer
      - .address_space:  global
        .offset:         8
        .size:           8
        .value_kind:     global_buffer
      - .address_space:  global
        .offset:         16
        .size:           8
        .value_kind:     global_buffer
      - .offset:         24
        .size:           32
        .value_kind:     by_value
      - .address_space:  global
        .offset:         56
        .size:           8
        .value_kind:     global_buffer
      - .offset:         64
        .size:           4
        .value_kind:     by_value
      - .offset:         68
        .size:           12
        .value_kind:     by_value
      - .offset:         80
        .size:           4
        .value_kind:     by_value
      - .offset:         84
        .size:           4
        .value_kind:     by_value
      - .offset:         88
        .size:           4
        .value_kind:     by_value
      - .offset:         92
        .size:           12
        .value_kind:     by_value
      - .offset:         104
        .size:           4
        .value_kind:     by_value
      - .offset:         108
        .size:           4
        .value_kind:     by_value
      - .offset:         112
        .size:           4
        .value_kind:     by_value
      - .offset:         116
        .size:           12
        .value_kind:     by_value
      - .offset:         128
        .size:           4
        .value_kind:     by_value
      - .offset:         132
        .size:           4
        .value_kind:     by_value
      - .offset:         136
        .size:           4
        .value_kind:     by_value
      - .offset:         140
        .size:           4
        .value_kind:     by_value
    .group_segment_fixed_size: 1792
    .kernarg_segment_align: 8
    .kernarg_segment_size: 144
    .language:       OpenCL C
    .language_version:
      - 2
      - 0
    .max_flat_workgroup_size: 256
    .name:           _ZL13mul_mat_vec_qIL9ggml_type20ELi1ELb1ELb0EEvPKvS2_PKi31ggml_cuda_mm_fusion_args_devicePfj15HIP_vector_typeIjLj3EEjjjS8_jjjS8_jjjj
    .private_segment_fixed_size: 0
    .sgpr_count:     40
    .sgpr_spill_count: 0
    .symbol:         _ZL13mul_mat_vec_qIL9ggml_type20ELi1ELb1ELb0EEvPKvS2_PKi31ggml_cuda_mm_fusion_args_devicePfj15HIP_vector_typeIjLj3EEjjjS8_jjjS8_jjjj.kd
    .uniform_work_group_size: 1
    .uses_dynamic_stack: false
    .vgpr_count:     32
    .vgpr_spill_count: 0
    .wavefront_size: 32
    .workgroup_processor_mode: 1
  - .args:
      - .address_space:  global
        .offset:         0
        .size:           8
        .value_kind:     global_buffer
      - .address_space:  global
        .offset:         8
        .size:           8
        .value_kind:     global_buffer
      - .address_space:  global
        .offset:         16
        .size:           8
        .value_kind:     global_buffer
      - .offset:         24
        .size:           32
        .value_kind:     by_value
      - .address_space:  global
        .offset:         56
        .size:           8
        .value_kind:     global_buffer
      - .offset:         64
        .size:           4
        .value_kind:     by_value
      - .offset:         68
        .size:           12
        .value_kind:     by_value
      - .offset:         80
        .size:           4
        .value_kind:     by_value
      - .offset:         84
        .size:           4
        .value_kind:     by_value
      - .offset:         88
        .size:           4
        .value_kind:     by_value
      - .offset:         92
        .size:           12
        .value_kind:     by_value
      - .offset:         104
        .size:           4
        .value_kind:     by_value
      - .offset:         108
        .size:           4
        .value_kind:     by_value
      - .offset:         112
        .size:           4
        .value_kind:     by_value
      - .offset:         116
        .size:           12
        .value_kind:     by_value
      - .offset:         128
        .size:           4
        .value_kind:     by_value
      - .offset:         132
        .size:           4
        .value_kind:     by_value
      - .offset:         136
        .size:           4
        .value_kind:     by_value
      - .offset:         140
        .size:           4
        .value_kind:     by_value
    .group_segment_fixed_size: 896
    .kernarg_segment_align: 8
    .kernarg_segment_size: 144
    .language:       OpenCL C
    .language_version:
      - 2
      - 0
    .max_flat_workgroup_size: 256
    .name:           _ZL13mul_mat_vec_qIL9ggml_type20ELi1ELb0ELb0EEvPKvS2_PKi31ggml_cuda_mm_fusion_args_devicePfj15HIP_vector_typeIjLj3EEjjjS8_jjjS8_jjjj
    .private_segment_fixed_size: 0
    .sgpr_count:     26
    .sgpr_spill_count: 0
    .symbol:         _ZL13mul_mat_vec_qIL9ggml_type20ELi1ELb0ELb0EEvPKvS2_PKi31ggml_cuda_mm_fusion_args_devicePfj15HIP_vector_typeIjLj3EEjjjS8_jjjS8_jjjj.kd
    .uniform_work_group_size: 1
    .uses_dynamic_stack: false
    .vgpr_count:     26
    .vgpr_spill_count: 0
    .wavefront_size: 32
    .workgroup_processor_mode: 1
  - .args:
      - .address_space:  global
        .offset:         0
        .size:           8
        .value_kind:     global_buffer
      - .address_space:  global
        .offset:         8
        .size:           8
        .value_kind:     global_buffer
      - .address_space:  global
        .offset:         16
        .size:           8
        .value_kind:     global_buffer
      - .offset:         24
        .size:           32
        .value_kind:     by_value
      - .address_space:  global
        .offset:         56
        .size:           8
        .value_kind:     global_buffer
      - .offset:         64
        .size:           4
        .value_kind:     by_value
      - .offset:         68
        .size:           12
        .value_kind:     by_value
      - .offset:         80
        .size:           4
        .value_kind:     by_value
      - .offset:         84
        .size:           4
        .value_kind:     by_value
      - .offset:         88
        .size:           4
        .value_kind:     by_value
      - .offset:         92
        .size:           12
        .value_kind:     by_value
      - .offset:         104
        .size:           4
        .value_kind:     by_value
      - .offset:         108
        .size:           4
        .value_kind:     by_value
      - .offset:         112
        .size:           4
        .value_kind:     by_value
      - .offset:         116
        .size:           12
        .value_kind:     by_value
      - .offset:         128
        .size:           4
        .value_kind:     by_value
      - .offset:         132
        .size:           4
        .value_kind:     by_value
      - .offset:         136
        .size:           4
        .value_kind:     by_value
      - .offset:         140
        .size:           4
        .value_kind:     by_value
    .group_segment_fixed_size: 0
    .kernarg_segment_align: 8
    .kernarg_segment_size: 144
    .language:       OpenCL C
    .language_version:
      - 2
      - 0
    .max_flat_workgroup_size: 32
    .name:           _ZL13mul_mat_vec_qIL9ggml_type20ELi2ELb0ELb0EEvPKvS2_PKi31ggml_cuda_mm_fusion_args_devicePfj15HIP_vector_typeIjLj3EEjjjS8_jjjS8_jjjj
    .private_segment_fixed_size: 0
    .sgpr_count:     32
    .sgpr_spill_count: 0
    .symbol:         _ZL13mul_mat_vec_qIL9ggml_type20ELi2ELb0ELb0EEvPKvS2_PKi31ggml_cuda_mm_fusion_args_devicePfj15HIP_vector_typeIjLj3EEjjjS8_jjjS8_jjjj.kd
    .uniform_work_group_size: 1
    .uses_dynamic_stack: false
    .vgpr_count:     32
    .vgpr_spill_count: 0
    .wavefront_size: 32
    .workgroup_processor_mode: 1
  - .args:
      - .address_space:  global
        .offset:         0
        .size:           8
        .value_kind:     global_buffer
      - .address_space:  global
        .offset:         8
        .size:           8
        .value_kind:     global_buffer
      - .address_space:  global
        .offset:         16
        .size:           8
        .value_kind:     global_buffer
      - .offset:         24
        .size:           32
        .value_kind:     by_value
      - .address_space:  global
        .offset:         56
        .size:           8
        .value_kind:     global_buffer
      - .offset:         64
        .size:           4
        .value_kind:     by_value
      - .offset:         68
        .size:           12
        .value_kind:     by_value
      - .offset:         80
        .size:           4
        .value_kind:     by_value
      - .offset:         84
        .size:           4
        .value_kind:     by_value
      - .offset:         88
        .size:           4
        .value_kind:     by_value
      - .offset:         92
        .size:           12
        .value_kind:     by_value
      - .offset:         104
        .size:           4
        .value_kind:     by_value
      - .offset:         108
        .size:           4
        .value_kind:     by_value
      - .offset:         112
        .size:           4
        .value_kind:     by_value
      - .offset:         116
        .size:           12
        .value_kind:     by_value
      - .offset:         128
        .size:           4
        .value_kind:     by_value
      - .offset:         132
        .size:           4
        .value_kind:     by_value
      - .offset:         136
        .size:           4
        .value_kind:     by_value
      - .offset:         140
        .size:           4
        .value_kind:     by_value
    .group_segment_fixed_size: 0
    .kernarg_segment_align: 8
    .kernarg_segment_size: 144
    .language:       OpenCL C
    .language_version:
      - 2
      - 0
    .max_flat_workgroup_size: 32
    .name:           _ZL13mul_mat_vec_qIL9ggml_type20ELi3ELb0ELb0EEvPKvS2_PKi31ggml_cuda_mm_fusion_args_devicePfj15HIP_vector_typeIjLj3EEjjjS8_jjjS8_jjjj
    .private_segment_fixed_size: 0
    .sgpr_count:     32
    .sgpr_spill_count: 0
    .symbol:         _ZL13mul_mat_vec_qIL9ggml_type20ELi3ELb0ELb0EEvPKvS2_PKi31ggml_cuda_mm_fusion_args_devicePfj15HIP_vector_typeIjLj3EEjjjS8_jjjS8_jjjj.kd
    .uniform_work_group_size: 1
    .uses_dynamic_stack: false
    .vgpr_count:     38
    .vgpr_spill_count: 0
    .wavefront_size: 32
    .workgroup_processor_mode: 1
  - .args:
      - .address_space:  global
        .offset:         0
        .size:           8
        .value_kind:     global_buffer
      - .address_space:  global
        .offset:         8
        .size:           8
        .value_kind:     global_buffer
      - .address_space:  global
        .offset:         16
        .size:           8
        .value_kind:     global_buffer
      - .offset:         24
        .size:           32
        .value_kind:     by_value
      - .address_space:  global
        .offset:         56
        .size:           8
        .value_kind:     global_buffer
      - .offset:         64
        .size:           4
        .value_kind:     by_value
      - .offset:         68
        .size:           12
        .value_kind:     by_value
      - .offset:         80
        .size:           4
        .value_kind:     by_value
      - .offset:         84
        .size:           4
        .value_kind:     by_value
      - .offset:         88
        .size:           4
        .value_kind:     by_value
      - .offset:         92
        .size:           12
        .value_kind:     by_value
      - .offset:         104
        .size:           4
        .value_kind:     by_value
      - .offset:         108
        .size:           4
        .value_kind:     by_value
      - .offset:         112
        .size:           4
        .value_kind:     by_value
      - .offset:         116
        .size:           12
        .value_kind:     by_value
      - .offset:         128
        .size:           4
        .value_kind:     by_value
      - .offset:         132
        .size:           4
        .value_kind:     by_value
      - .offset:         136
        .size:           4
        .value_kind:     by_value
      - .offset:         140
        .size:           4
        .value_kind:     by_value
    .group_segment_fixed_size: 0
    .kernarg_segment_align: 8
    .kernarg_segment_size: 144
    .language:       OpenCL C
    .language_version:
      - 2
      - 0
    .max_flat_workgroup_size: 32
    .name:           _ZL13mul_mat_vec_qIL9ggml_type20ELi4ELb0ELb0EEvPKvS2_PKi31ggml_cuda_mm_fusion_args_devicePfj15HIP_vector_typeIjLj3EEjjjS8_jjjS8_jjjj
    .private_segment_fixed_size: 0
    .sgpr_count:     32
    .sgpr_spill_count: 0
    .symbol:         _ZL13mul_mat_vec_qIL9ggml_type20ELi4ELb0ELb0EEvPKvS2_PKi31ggml_cuda_mm_fusion_args_devicePfj15HIP_vector_typeIjLj3EEjjjS8_jjjS8_jjjj.kd
    .uniform_work_group_size: 1
    .uses_dynamic_stack: false
    .vgpr_count:     44
    .vgpr_spill_count: 0
    .wavefront_size: 32
    .workgroup_processor_mode: 1
  - .args:
      - .address_space:  global
        .offset:         0
        .size:           8
        .value_kind:     global_buffer
      - .address_space:  global
        .offset:         8
        .size:           8
        .value_kind:     global_buffer
      - .address_space:  global
        .offset:         16
        .size:           8
        .value_kind:     global_buffer
      - .offset:         24
        .size:           32
        .value_kind:     by_value
      - .address_space:  global
        .offset:         56
        .size:           8
        .value_kind:     global_buffer
      - .offset:         64
        .size:           4
        .value_kind:     by_value
      - .offset:         68
        .size:           12
        .value_kind:     by_value
      - .offset:         80
        .size:           4
        .value_kind:     by_value
      - .offset:         84
        .size:           4
        .value_kind:     by_value
      - .offset:         88
        .size:           4
        .value_kind:     by_value
      - .offset:         92
        .size:           12
        .value_kind:     by_value
      - .offset:         104
        .size:           4
        .value_kind:     by_value
      - .offset:         108
        .size:           4
        .value_kind:     by_value
      - .offset:         112
        .size:           4
        .value_kind:     by_value
      - .offset:         116
        .size:           12
        .value_kind:     by_value
      - .offset:         128
        .size:           4
        .value_kind:     by_value
      - .offset:         132
        .size:           4
        .value_kind:     by_value
      - .offset:         136
        .size:           4
        .value_kind:     by_value
      - .offset:         140
        .size:           4
        .value_kind:     by_value
    .group_segment_fixed_size: 0
    .kernarg_segment_align: 8
    .kernarg_segment_size: 144
    .language:       OpenCL C
    .language_version:
      - 2
      - 0
    .max_flat_workgroup_size: 32
    .name:           _ZL13mul_mat_vec_qIL9ggml_type20ELi5ELb0ELb0EEvPKvS2_PKi31ggml_cuda_mm_fusion_args_devicePfj15HIP_vector_typeIjLj3EEjjjS8_jjjS8_jjjj
    .private_segment_fixed_size: 0
    .sgpr_count:     32
    .sgpr_spill_count: 0
    .symbol:         _ZL13mul_mat_vec_qIL9ggml_type20ELi5ELb0ELb0EEvPKvS2_PKi31ggml_cuda_mm_fusion_args_devicePfj15HIP_vector_typeIjLj3EEjjjS8_jjjS8_jjjj.kd
    .uniform_work_group_size: 1
    .uses_dynamic_stack: false
    .vgpr_count:     50
    .vgpr_spill_count: 0
    .wavefront_size: 32
    .workgroup_processor_mode: 1
  - .args:
      - .address_space:  global
        .offset:         0
        .size:           8
        .value_kind:     global_buffer
      - .address_space:  global
        .offset:         8
        .size:           8
        .value_kind:     global_buffer
      - .address_space:  global
        .offset:         16
        .size:           8
        .value_kind:     global_buffer
      - .offset:         24
        .size:           32
        .value_kind:     by_value
      - .address_space:  global
        .offset:         56
        .size:           8
        .value_kind:     global_buffer
      - .offset:         64
        .size:           4
        .value_kind:     by_value
      - .offset:         68
        .size:           12
        .value_kind:     by_value
      - .offset:         80
        .size:           4
        .value_kind:     by_value
      - .offset:         84
        .size:           4
        .value_kind:     by_value
      - .offset:         88
        .size:           4
        .value_kind:     by_value
      - .offset:         92
        .size:           12
        .value_kind:     by_value
      - .offset:         104
        .size:           4
        .value_kind:     by_value
      - .offset:         108
        .size:           4
        .value_kind:     by_value
      - .offset:         112
        .size:           4
        .value_kind:     by_value
      - .offset:         116
        .size:           12
        .value_kind:     by_value
      - .offset:         128
        .size:           4
        .value_kind:     by_value
      - .offset:         132
        .size:           4
        .value_kind:     by_value
      - .offset:         136
        .size:           4
        .value_kind:     by_value
      - .offset:         140
        .size:           4
        .value_kind:     by_value
    .group_segment_fixed_size: 0
    .kernarg_segment_align: 8
    .kernarg_segment_size: 144
    .language:       OpenCL C
    .language_version:
      - 2
      - 0
    .max_flat_workgroup_size: 32
    .name:           _ZL13mul_mat_vec_qIL9ggml_type20ELi6ELb0ELb0EEvPKvS2_PKi31ggml_cuda_mm_fusion_args_devicePfj15HIP_vector_typeIjLj3EEjjjS8_jjjS8_jjjj
    .private_segment_fixed_size: 0
    .sgpr_count:     32
    .sgpr_spill_count: 0
    .symbol:         _ZL13mul_mat_vec_qIL9ggml_type20ELi6ELb0ELb0EEvPKvS2_PKi31ggml_cuda_mm_fusion_args_devicePfj15HIP_vector_typeIjLj3EEjjjS8_jjjS8_jjjj.kd
    .uniform_work_group_size: 1
    .uses_dynamic_stack: false
    .vgpr_count:     56
    .vgpr_spill_count: 0
    .wavefront_size: 32
    .workgroup_processor_mode: 1
  - .args:
      - .address_space:  global
        .offset:         0
        .size:           8
        .value_kind:     global_buffer
      - .address_space:  global
        .offset:         8
        .size:           8
        .value_kind:     global_buffer
      - .address_space:  global
        .offset:         16
        .size:           8
        .value_kind:     global_buffer
      - .offset:         24
        .size:           32
        .value_kind:     by_value
      - .address_space:  global
        .offset:         56
        .size:           8
        .value_kind:     global_buffer
      - .offset:         64
        .size:           4
        .value_kind:     by_value
      - .offset:         68
        .size:           12
        .value_kind:     by_value
      - .offset:         80
        .size:           4
        .value_kind:     by_value
      - .offset:         84
        .size:           4
        .value_kind:     by_value
      - .offset:         88
        .size:           4
        .value_kind:     by_value
      - .offset:         92
        .size:           12
        .value_kind:     by_value
      - .offset:         104
        .size:           4
        .value_kind:     by_value
      - .offset:         108
        .size:           4
        .value_kind:     by_value
      - .offset:         112
        .size:           4
        .value_kind:     by_value
      - .offset:         116
        .size:           12
        .value_kind:     by_value
      - .offset:         128
        .size:           4
        .value_kind:     by_value
      - .offset:         132
        .size:           4
        .value_kind:     by_value
      - .offset:         136
        .size:           4
        .value_kind:     by_value
      - .offset:         140
        .size:           4
        .value_kind:     by_value
    .group_segment_fixed_size: 0
    .kernarg_segment_align: 8
    .kernarg_segment_size: 144
    .language:       OpenCL C
    .language_version:
      - 2
      - 0
    .max_flat_workgroup_size: 32
    .name:           _ZL13mul_mat_vec_qIL9ggml_type20ELi7ELb0ELb0EEvPKvS2_PKi31ggml_cuda_mm_fusion_args_devicePfj15HIP_vector_typeIjLj3EEjjjS8_jjjS8_jjjj
    .private_segment_fixed_size: 0
    .sgpr_count:     32
    .sgpr_spill_count: 0
    .symbol:         _ZL13mul_mat_vec_qIL9ggml_type20ELi7ELb0ELb0EEvPKvS2_PKi31ggml_cuda_mm_fusion_args_devicePfj15HIP_vector_typeIjLj3EEjjjS8_jjjS8_jjjj.kd
    .uniform_work_group_size: 1
    .uses_dynamic_stack: false
    .vgpr_count:     62
    .vgpr_spill_count: 0
    .wavefront_size: 32
    .workgroup_processor_mode: 1
  - .args:
      - .address_space:  global
        .offset:         0
        .size:           8
        .value_kind:     global_buffer
      - .address_space:  global
        .offset:         8
        .size:           8
        .value_kind:     global_buffer
      - .address_space:  global
        .offset:         16
        .size:           8
        .value_kind:     global_buffer
      - .offset:         24
        .size:           32
        .value_kind:     by_value
      - .address_space:  global
        .offset:         56
        .size:           8
        .value_kind:     global_buffer
      - .offset:         64
        .size:           4
        .value_kind:     by_value
      - .offset:         68
        .size:           12
        .value_kind:     by_value
      - .offset:         80
        .size:           4
        .value_kind:     by_value
      - .offset:         84
        .size:           4
        .value_kind:     by_value
      - .offset:         88
        .size:           4
        .value_kind:     by_value
      - .offset:         92
        .size:           12
        .value_kind:     by_value
      - .offset:         104
        .size:           4
        .value_kind:     by_value
      - .offset:         108
        .size:           4
        .value_kind:     by_value
      - .offset:         112
        .size:           4
        .value_kind:     by_value
      - .offset:         116
        .size:           12
        .value_kind:     by_value
      - .offset:         128
        .size:           4
        .value_kind:     by_value
      - .offset:         132
        .size:           4
        .value_kind:     by_value
      - .offset:         136
        .size:           4
        .value_kind:     by_value
      - .offset:         140
        .size:           4
        .value_kind:     by_value
    .group_segment_fixed_size: 0
    .kernarg_segment_align: 8
    .kernarg_segment_size: 144
    .language:       OpenCL C
    .language_version:
      - 2
      - 0
    .max_flat_workgroup_size: 32
    .name:           _ZL13mul_mat_vec_qIL9ggml_type20ELi8ELb0ELb0EEvPKvS2_PKi31ggml_cuda_mm_fusion_args_devicePfj15HIP_vector_typeIjLj3EEjjjS8_jjjS8_jjjj
    .private_segment_fixed_size: 0
    .sgpr_count:     32
    .sgpr_spill_count: 0
    .symbol:         _ZL13mul_mat_vec_qIL9ggml_type20ELi8ELb0ELb0EEvPKvS2_PKi31ggml_cuda_mm_fusion_args_devicePfj15HIP_vector_typeIjLj3EEjjjS8_jjjS8_jjjj.kd
    .uniform_work_group_size: 1
    .uses_dynamic_stack: false
    .vgpr_count:     68
    .vgpr_spill_count: 0
    .wavefront_size: 32
    .workgroup_processor_mode: 1
  - .args:
      - .address_space:  global
        .offset:         0
        .size:           8
        .value_kind:     global_buffer
      - .address_space:  global
        .offset:         8
        .size:           8
        .value_kind:     global_buffer
      - .address_space:  global
        .offset:         16
        .size:           8
        .value_kind:     global_buffer
      - .address_space:  global
        .offset:         24
        .size:           8
        .value_kind:     global_buffer
      - .offset:         32
        .size:           4
        .value_kind:     by_value
      - .offset:         36
        .size:           12
        .value_kind:     by_value
      - .offset:         48
        .size:           4
        .value_kind:     by_value
      - .offset:         52
        .size:           4
        .value_kind:     by_value
      - .offset:         56
        .size:           4
        .value_kind:     by_value
      - .offset:         60
        .size:           4
        .value_kind:     by_value
      - .offset:         64
        .size:           4
        .value_kind:     by_value
      - .offset:         68
        .size:           4
        .value_kind:     by_value
      - .offset:         72
        .size:           4
        .value_kind:     by_value
      - .offset:         76
        .size:           4
        .value_kind:     by_value
      - .offset:         80
        .size:           4
        .value_kind:     by_value
    .group_segment_fixed_size: 0
    .kernarg_segment_align: 8
    .kernarg_segment_size: 84
    .language:       OpenCL C
    .language_version:
      - 2
      - 0
    .max_flat_workgroup_size: 160
    .name:           _ZL17mul_mat_vec_q_moeIL9ggml_type23ELi2EEvPKvS2_PKiPfj15HIP_vector_typeIjLj3EEjjjjjjjjj
    .private_segment_fixed_size: 0
    .sgpr_count:     26
    .sgpr_spill_count: 0
    .symbol:         _ZL17mul_mat_vec_q_moeIL9ggml_type23ELi2EEvPKvS2_PKiPfj15HIP_vector_typeIjLj3EEjjjjjjjjj.kd
    .uniform_work_group_size: 1
    .uses_dynamic_stack: false
    .vgpr_count:     69
    .vgpr_spill_count: 0
    .wavefront_size: 32
    .workgroup_processor_mode: 1
  - .args:
      - .address_space:  global
        .offset:         0
        .size:           8
        .value_kind:     global_buffer
      - .address_space:  global
        .offset:         8
        .size:           8
        .value_kind:     global_buffer
      - .address_space:  global
        .offset:         16
        .size:           8
        .value_kind:     global_buffer
      - .offset:         24
        .size:           32
        .value_kind:     by_value
      - .address_space:  global
        .offset:         56
        .size:           8
        .value_kind:     global_buffer
      - .offset:         64
        .size:           4
        .value_kind:     by_value
      - .offset:         68
        .size:           12
        .value_kind:     by_value
      - .offset:         80
        .size:           4
        .value_kind:     by_value
      - .offset:         84
        .size:           4
        .value_kind:     by_value
      - .offset:         88
        .size:           4
        .value_kind:     by_value
      - .offset:         92
        .size:           12
        .value_kind:     by_value
      - .offset:         104
        .size:           4
        .value_kind:     by_value
      - .offset:         108
        .size:           4
        .value_kind:     by_value
      - .offset:         112
        .size:           4
        .value_kind:     by_value
      - .offset:         116
        .size:           12
        .value_kind:     by_value
      - .offset:         128
        .size:           4
        .value_kind:     by_value
      - .offset:         132
        .size:           4
        .value_kind:     by_value
      - .offset:         136
        .size:           4
        .value_kind:     by_value
      - .offset:         140
        .size:           4
        .value_kind:     by_value
    .group_segment_fixed_size: 1792
    .kernarg_segment_align: 8
    .kernarg_segment_size: 144
    .language:       OpenCL C
    .language_version:
      - 2
      - 0
    .max_flat_workgroup_size: 256
    .name:           _ZL13mul_mat_vec_qIL9ggml_type23ELi1ELb1ELb1EEvPKvS2_PKi31ggml_cuda_mm_fusion_args_devicePfj15HIP_vector_typeIjLj3EEjjjS8_jjjS8_jjjj
    .private_segment_fixed_size: 0
    .sgpr_count:     40
    .sgpr_spill_count: 0
    .symbol:         _ZL13mul_mat_vec_qIL9ggml_type23ELi1ELb1ELb1EEvPKvS2_PKi31ggml_cuda_mm_fusion_args_devicePfj15HIP_vector_typeIjLj3EEjjjS8_jjjS8_jjjj.kd
    .uniform_work_group_size: 1
    .uses_dynamic_stack: false
    .vgpr_count:     52
    .vgpr_spill_count: 0
    .wavefront_size: 32
    .workgroup_processor_mode: 1
  - .args:
      - .address_space:  global
        .offset:         0
        .size:           8
        .value_kind:     global_buffer
      - .address_space:  global
        .offset:         8
        .size:           8
        .value_kind:     global_buffer
      - .address_space:  global
        .offset:         16
        .size:           8
        .value_kind:     global_buffer
      - .offset:         24
        .size:           32
        .value_kind:     by_value
      - .address_space:  global
        .offset:         56
        .size:           8
        .value_kind:     global_buffer
      - .offset:         64
        .size:           4
        .value_kind:     by_value
      - .offset:         68
        .size:           12
        .value_kind:     by_value
      - .offset:         80
        .size:           4
        .value_kind:     by_value
      - .offset:         84
        .size:           4
        .value_kind:     by_value
      - .offset:         88
        .size:           4
        .value_kind:     by_value
      - .offset:         92
        .size:           12
        .value_kind:     by_value
      - .offset:         104
        .size:           4
        .value_kind:     by_value
      - .offset:         108
        .size:           4
        .value_kind:     by_value
      - .offset:         112
        .size:           4
        .value_kind:     by_value
      - .offset:         116
        .size:           12
        .value_kind:     by_value
      - .offset:         128
        .size:           4
        .value_kind:     by_value
      - .offset:         132
        .size:           4
        .value_kind:     by_value
      - .offset:         136
        .size:           4
        .value_kind:     by_value
      - .offset:         140
        .size:           4
        .value_kind:     by_value
    .group_segment_fixed_size: 896
    .kernarg_segment_align: 8
    .kernarg_segment_size: 144
    .language:       OpenCL C
    .language_version:
      - 2
      - 0
    .max_flat_workgroup_size: 256
    .name:           _ZL13mul_mat_vec_qIL9ggml_type23ELi1ELb0ELb1EEvPKvS2_PKi31ggml_cuda_mm_fusion_args_devicePfj15HIP_vector_typeIjLj3EEjjjS8_jjjS8_jjjj
    .private_segment_fixed_size: 0
    .sgpr_count:     24
    .sgpr_spill_count: 0
    .symbol:         _ZL13mul_mat_vec_qIL9ggml_type23ELi1ELb0ELb1EEvPKvS2_PKi31ggml_cuda_mm_fusion_args_devicePfj15HIP_vector_typeIjLj3EEjjjS8_jjjS8_jjjj.kd
    .uniform_work_group_size: 1
    .uses_dynamic_stack: false
    .vgpr_count:     44
    .vgpr_spill_count: 0
    .wavefront_size: 32
    .workgroup_processor_mode: 1
  - .args:
      - .address_space:  global
        .offset:         0
        .size:           8
        .value_kind:     global_buffer
      - .address_space:  global
        .offset:         8
        .size:           8
        .value_kind:     global_buffer
      - .address_space:  global
        .offset:         16
        .size:           8
        .value_kind:     global_buffer
      - .offset:         24
        .size:           32
        .value_kind:     by_value
      - .address_space:  global
        .offset:         56
        .size:           8
        .value_kind:     global_buffer
      - .offset:         64
        .size:           4
        .value_kind:     by_value
      - .offset:         68
        .size:           12
        .value_kind:     by_value
      - .offset:         80
        .size:           4
        .value_kind:     by_value
      - .offset:         84
        .size:           4
        .value_kind:     by_value
      - .offset:         88
        .size:           4
        .value_kind:     by_value
      - .offset:         92
        .size:           12
        .value_kind:     by_value
      - .offset:         104
        .size:           4
        .value_kind:     by_value
      - .offset:         108
        .size:           4
        .value_kind:     by_value
      - .offset:         112
        .size:           4
        .value_kind:     by_value
      - .offset:         116
        .size:           12
        .value_kind:     by_value
      - .offset:         128
        .size:           4
        .value_kind:     by_value
      - .offset:         132
        .size:           4
        .value_kind:     by_value
      - .offset:         136
        .size:           4
        .value_kind:     by_value
      - .offset:         140
        .size:           4
        .value_kind:     by_value
    .group_segment_fixed_size: 1792
    .kernarg_segment_align: 8
    .kernarg_segment_size: 144
    .language:       OpenCL C
    .language_version:
      - 2
      - 0
    .max_flat_workgroup_size: 256
    .name:           _ZL13mul_mat_vec_qIL9ggml_type23ELi1ELb1ELb0EEvPKvS2_PKi31ggml_cuda_mm_fusion_args_devicePfj15HIP_vector_typeIjLj3EEjjjS8_jjjS8_jjjj
    .private_segment_fixed_size: 0
    .sgpr_count:     40
    .sgpr_spill_count: 0
    .symbol:         _ZL13mul_mat_vec_qIL9ggml_type23ELi1ELb1ELb0EEvPKvS2_PKi31ggml_cuda_mm_fusion_args_devicePfj15HIP_vector_typeIjLj3EEjjjS8_jjjS8_jjjj.kd
    .uniform_work_group_size: 1
    .uses_dynamic_stack: false
    .vgpr_count:     52
    .vgpr_spill_count: 0
    .wavefront_size: 32
    .workgroup_processor_mode: 1
  - .args:
      - .address_space:  global
        .offset:         0
        .size:           8
        .value_kind:     global_buffer
      - .address_space:  global
        .offset:         8
        .size:           8
        .value_kind:     global_buffer
      - .address_space:  global
        .offset:         16
        .size:           8
        .value_kind:     global_buffer
      - .offset:         24
        .size:           32
        .value_kind:     by_value
      - .address_space:  global
        .offset:         56
        .size:           8
        .value_kind:     global_buffer
      - .offset:         64
        .size:           4
        .value_kind:     by_value
      - .offset:         68
        .size:           12
        .value_kind:     by_value
      - .offset:         80
        .size:           4
        .value_kind:     by_value
      - .offset:         84
        .size:           4
        .value_kind:     by_value
      - .offset:         88
        .size:           4
        .value_kind:     by_value
      - .offset:         92
        .size:           12
        .value_kind:     by_value
      - .offset:         104
        .size:           4
        .value_kind:     by_value
      - .offset:         108
        .size:           4
        .value_kind:     by_value
      - .offset:         112
        .size:           4
        .value_kind:     by_value
      - .offset:         116
        .size:           12
        .value_kind:     by_value
      - .offset:         128
        .size:           4
        .value_kind:     by_value
      - .offset:         132
        .size:           4
        .value_kind:     by_value
      - .offset:         136
        .size:           4
        .value_kind:     by_value
      - .offset:         140
        .size:           4
        .value_kind:     by_value
    .group_segment_fixed_size: 896
    .kernarg_segment_align: 8
    .kernarg_segment_size: 144
    .language:       OpenCL C
    .language_version:
      - 2
      - 0
    .max_flat_workgroup_size: 256
    .name:           _ZL13mul_mat_vec_qIL9ggml_type23ELi1ELb0ELb0EEvPKvS2_PKi31ggml_cuda_mm_fusion_args_devicePfj15HIP_vector_typeIjLj3EEjjjS8_jjjS8_jjjj
    .private_segment_fixed_size: 0
    .sgpr_count:     24
    .sgpr_spill_count: 0
    .symbol:         _ZL13mul_mat_vec_qIL9ggml_type23ELi1ELb0ELb0EEvPKvS2_PKi31ggml_cuda_mm_fusion_args_devicePfj15HIP_vector_typeIjLj3EEjjjS8_jjjS8_jjjj.kd
    .uniform_work_group_size: 1
    .uses_dynamic_stack: false
    .vgpr_count:     44
    .vgpr_spill_count: 0
    .wavefront_size: 32
    .workgroup_processor_mode: 1
  - .args:
      - .address_space:  global
        .offset:         0
        .size:           8
        .value_kind:     global_buffer
      - .address_space:  global
        .offset:         8
        .size:           8
        .value_kind:     global_buffer
      - .address_space:  global
        .offset:         16
        .size:           8
        .value_kind:     global_buffer
      - .offset:         24
        .size:           32
        .value_kind:     by_value
      - .address_space:  global
        .offset:         56
        .size:           8
        .value_kind:     global_buffer
      - .offset:         64
        .size:           4
        .value_kind:     by_value
      - .offset:         68
        .size:           12
        .value_kind:     by_value
      - .offset:         80
        .size:           4
        .value_kind:     by_value
      - .offset:         84
        .size:           4
        .value_kind:     by_value
      - .offset:         88
        .size:           4
        .value_kind:     by_value
      - .offset:         92
        .size:           12
        .value_kind:     by_value
      - .offset:         104
        .size:           4
        .value_kind:     by_value
      - .offset:         108
        .size:           4
        .value_kind:     by_value
      - .offset:         112
        .size:           4
        .value_kind:     by_value
      - .offset:         116
        .size:           12
        .value_kind:     by_value
      - .offset:         128
        .size:           4
        .value_kind:     by_value
      - .offset:         132
        .size:           4
        .value_kind:     by_value
      - .offset:         136
        .size:           4
        .value_kind:     by_value
      - .offset:         140
        .size:           4
        .value_kind:     by_value
    .group_segment_fixed_size: 0
    .kernarg_segment_align: 8
    .kernarg_segment_size: 144
    .language:       OpenCL C
    .language_version:
      - 2
      - 0
    .max_flat_workgroup_size: 32
    .name:           _ZL13mul_mat_vec_qIL9ggml_type23ELi2ELb0ELb0EEvPKvS2_PKi31ggml_cuda_mm_fusion_args_devicePfj15HIP_vector_typeIjLj3EEjjjS8_jjjS8_jjjj
    .private_segment_fixed_size: 0
    .sgpr_count:     32
    .sgpr_spill_count: 0
    .symbol:         _ZL13mul_mat_vec_qIL9ggml_type23ELi2ELb0ELb0EEvPKvS2_PKi31ggml_cuda_mm_fusion_args_devicePfj15HIP_vector_typeIjLj3EEjjjS8_jjjS8_jjjj.kd
    .uniform_work_group_size: 1
    .uses_dynamic_stack: false
    .vgpr_count:     56
    .vgpr_spill_count: 0
    .wavefront_size: 32
    .workgroup_processor_mode: 1
  - .args:
      - .address_space:  global
        .offset:         0
        .size:           8
        .value_kind:     global_buffer
      - .address_space:  global
        .offset:         8
        .size:           8
        .value_kind:     global_buffer
      - .address_space:  global
        .offset:         16
        .size:           8
        .value_kind:     global_buffer
      - .offset:         24
        .size:           32
        .value_kind:     by_value
      - .address_space:  global
        .offset:         56
        .size:           8
        .value_kind:     global_buffer
      - .offset:         64
        .size:           4
        .value_kind:     by_value
      - .offset:         68
        .size:           12
        .value_kind:     by_value
      - .offset:         80
        .size:           4
        .value_kind:     by_value
      - .offset:         84
        .size:           4
        .value_kind:     by_value
      - .offset:         88
        .size:           4
        .value_kind:     by_value
      - .offset:         92
        .size:           12
        .value_kind:     by_value
      - .offset:         104
        .size:           4
        .value_kind:     by_value
      - .offset:         108
        .size:           4
        .value_kind:     by_value
      - .offset:         112
        .size:           4
        .value_kind:     by_value
      - .offset:         116
        .size:           12
        .value_kind:     by_value
      - .offset:         128
        .size:           4
        .value_kind:     by_value
      - .offset:         132
        .size:           4
        .value_kind:     by_value
      - .offset:         136
        .size:           4
        .value_kind:     by_value
      - .offset:         140
        .size:           4
        .value_kind:     by_value
    .group_segment_fixed_size: 0
    .kernarg_segment_align: 8
    .kernarg_segment_size: 144
    .language:       OpenCL C
    .language_version:
      - 2
      - 0
    .max_flat_workgroup_size: 32
    .name:           _ZL13mul_mat_vec_qIL9ggml_type23ELi3ELb0ELb0EEvPKvS2_PKi31ggml_cuda_mm_fusion_args_devicePfj15HIP_vector_typeIjLj3EEjjjS8_jjjS8_jjjj
    .private_segment_fixed_size: 0
    .sgpr_count:     32
    .sgpr_spill_count: 0
    .symbol:         _ZL13mul_mat_vec_qIL9ggml_type23ELi3ELb0ELb0EEvPKvS2_PKi31ggml_cuda_mm_fusion_args_devicePfj15HIP_vector_typeIjLj3EEjjjS8_jjjS8_jjjj.kd
    .uniform_work_group_size: 1
    .uses_dynamic_stack: false
    .vgpr_count:     67
    .vgpr_spill_count: 0
    .wavefront_size: 32
    .workgroup_processor_mode: 1
  - .args:
      - .address_space:  global
        .offset:         0
        .size:           8
        .value_kind:     global_buffer
      - .address_space:  global
        .offset:         8
        .size:           8
        .value_kind:     global_buffer
      - .address_space:  global
        .offset:         16
        .size:           8
        .value_kind:     global_buffer
      - .offset:         24
        .size:           32
        .value_kind:     by_value
      - .address_space:  global
        .offset:         56
        .size:           8
        .value_kind:     global_buffer
      - .offset:         64
        .size:           4
        .value_kind:     by_value
      - .offset:         68
        .size:           12
        .value_kind:     by_value
      - .offset:         80
        .size:           4
        .value_kind:     by_value
      - .offset:         84
        .size:           4
        .value_kind:     by_value
      - .offset:         88
        .size:           4
        .value_kind:     by_value
      - .offset:         92
        .size:           12
        .value_kind:     by_value
      - .offset:         104
        .size:           4
        .value_kind:     by_value
      - .offset:         108
        .size:           4
        .value_kind:     by_value
      - .offset:         112
        .size:           4
        .value_kind:     by_value
      - .offset:         116
        .size:           12
        .value_kind:     by_value
      - .offset:         128
        .size:           4
        .value_kind:     by_value
      - .offset:         132
        .size:           4
        .value_kind:     by_value
      - .offset:         136
        .size:           4
        .value_kind:     by_value
      - .offset:         140
        .size:           4
        .value_kind:     by_value
    .group_segment_fixed_size: 0
    .kernarg_segment_align: 8
    .kernarg_segment_size: 144
    .language:       OpenCL C
    .language_version:
      - 2
      - 0
    .max_flat_workgroup_size: 32
    .name:           _ZL13mul_mat_vec_qIL9ggml_type23ELi4ELb0ELb0EEvPKvS2_PKi31ggml_cuda_mm_fusion_args_devicePfj15HIP_vector_typeIjLj3EEjjjS8_jjjS8_jjjj
    .private_segment_fixed_size: 0
    .sgpr_count:     32
    .sgpr_spill_count: 0
    .symbol:         _ZL13mul_mat_vec_qIL9ggml_type23ELi4ELb0ELb0EEvPKvS2_PKi31ggml_cuda_mm_fusion_args_devicePfj15HIP_vector_typeIjLj3EEjjjS8_jjjS8_jjjj.kd
    .uniform_work_group_size: 1
    .uses_dynamic_stack: false
    .vgpr_count:     78
    .vgpr_spill_count: 0
    .wavefront_size: 32
    .workgroup_processor_mode: 1
  - .args:
      - .address_space:  global
        .offset:         0
        .size:           8
        .value_kind:     global_buffer
      - .address_space:  global
        .offset:         8
        .size:           8
        .value_kind:     global_buffer
      - .address_space:  global
        .offset:         16
        .size:           8
        .value_kind:     global_buffer
      - .offset:         24
        .size:           32
        .value_kind:     by_value
      - .address_space:  global
        .offset:         56
        .size:           8
        .value_kind:     global_buffer
      - .offset:         64
        .size:           4
        .value_kind:     by_value
      - .offset:         68
        .size:           12
        .value_kind:     by_value
      - .offset:         80
        .size:           4
        .value_kind:     by_value
      - .offset:         84
        .size:           4
        .value_kind:     by_value
      - .offset:         88
        .size:           4
        .value_kind:     by_value
      - .offset:         92
        .size:           12
        .value_kind:     by_value
      - .offset:         104
        .size:           4
        .value_kind:     by_value
      - .offset:         108
        .size:           4
        .value_kind:     by_value
      - .offset:         112
        .size:           4
        .value_kind:     by_value
      - .offset:         116
        .size:           12
        .value_kind:     by_value
      - .offset:         128
        .size:           4
        .value_kind:     by_value
      - .offset:         132
        .size:           4
        .value_kind:     by_value
      - .offset:         136
        .size:           4
        .value_kind:     by_value
      - .offset:         140
        .size:           4
        .value_kind:     by_value
    .group_segment_fixed_size: 0
    .kernarg_segment_align: 8
    .kernarg_segment_size: 144
    .language:       OpenCL C
    .language_version:
      - 2
      - 0
    .max_flat_workgroup_size: 32
    .name:           _ZL13mul_mat_vec_qIL9ggml_type23ELi5ELb0ELb0EEvPKvS2_PKi31ggml_cuda_mm_fusion_args_devicePfj15HIP_vector_typeIjLj3EEjjjS8_jjjS8_jjjj
    .private_segment_fixed_size: 0
    .sgpr_count:     32
    .sgpr_spill_count: 0
    .symbol:         _ZL13mul_mat_vec_qIL9ggml_type23ELi5ELb0ELb0EEvPKvS2_PKi31ggml_cuda_mm_fusion_args_devicePfj15HIP_vector_typeIjLj3EEjjjS8_jjjS8_jjjj.kd
    .uniform_work_group_size: 1
    .uses_dynamic_stack: false
    .vgpr_count:     88
    .vgpr_spill_count: 0
    .wavefront_size: 32
    .workgroup_processor_mode: 1
  - .args:
      - .address_space:  global
        .offset:         0
        .size:           8
        .value_kind:     global_buffer
      - .address_space:  global
        .offset:         8
        .size:           8
        .value_kind:     global_buffer
      - .address_space:  global
        .offset:         16
        .size:           8
        .value_kind:     global_buffer
      - .offset:         24
        .size:           32
        .value_kind:     by_value
      - .address_space:  global
        .offset:         56
        .size:           8
        .value_kind:     global_buffer
      - .offset:         64
        .size:           4
        .value_kind:     by_value
      - .offset:         68
        .size:           12
        .value_kind:     by_value
      - .offset:         80
        .size:           4
        .value_kind:     by_value
      - .offset:         84
        .size:           4
        .value_kind:     by_value
      - .offset:         88
        .size:           4
        .value_kind:     by_value
      - .offset:         92
        .size:           12
        .value_kind:     by_value
      - .offset:         104
        .size:           4
        .value_kind:     by_value
      - .offset:         108
        .size:           4
        .value_kind:     by_value
      - .offset:         112
        .size:           4
        .value_kind:     by_value
      - .offset:         116
        .size:           12
        .value_kind:     by_value
      - .offset:         128
        .size:           4
        .value_kind:     by_value
      - .offset:         132
        .size:           4
        .value_kind:     by_value
      - .offset:         136
        .size:           4
        .value_kind:     by_value
      - .offset:         140
        .size:           4
        .value_kind:     by_value
    .group_segment_fixed_size: 0
    .kernarg_segment_align: 8
    .kernarg_segment_size: 144
    .language:       OpenCL C
    .language_version:
      - 2
      - 0
    .max_flat_workgroup_size: 32
    .name:           _ZL13mul_mat_vec_qIL9ggml_type23ELi6ELb0ELb0EEvPKvS2_PKi31ggml_cuda_mm_fusion_args_devicePfj15HIP_vector_typeIjLj3EEjjjS8_jjjS8_jjjj
    .private_segment_fixed_size: 0
    .sgpr_count:     32
    .sgpr_spill_count: 0
    .symbol:         _ZL13mul_mat_vec_qIL9ggml_type23ELi6ELb0ELb0EEvPKvS2_PKi31ggml_cuda_mm_fusion_args_devicePfj15HIP_vector_typeIjLj3EEjjjS8_jjjS8_jjjj.kd
    .uniform_work_group_size: 1
    .uses_dynamic_stack: false
    .vgpr_count:     92
    .vgpr_spill_count: 0
    .wavefront_size: 32
    .workgroup_processor_mode: 1
  - .args:
      - .address_space:  global
        .offset:         0
        .size:           8
        .value_kind:     global_buffer
      - .address_space:  global
        .offset:         8
        .size:           8
        .value_kind:     global_buffer
      - .address_space:  global
        .offset:         16
        .size:           8
        .value_kind:     global_buffer
      - .offset:         24
        .size:           32
        .value_kind:     by_value
      - .address_space:  global
        .offset:         56
        .size:           8
        .value_kind:     global_buffer
      - .offset:         64
        .size:           4
        .value_kind:     by_value
      - .offset:         68
        .size:           12
        .value_kind:     by_value
      - .offset:         80
        .size:           4
        .value_kind:     by_value
      - .offset:         84
        .size:           4
        .value_kind:     by_value
      - .offset:         88
        .size:           4
        .value_kind:     by_value
      - .offset:         92
        .size:           12
        .value_kind:     by_value
      - .offset:         104
        .size:           4
        .value_kind:     by_value
      - .offset:         108
        .size:           4
        .value_kind:     by_value
      - .offset:         112
        .size:           4
        .value_kind:     by_value
      - .offset:         116
        .size:           12
        .value_kind:     by_value
      - .offset:         128
        .size:           4
        .value_kind:     by_value
      - .offset:         132
        .size:           4
        .value_kind:     by_value
      - .offset:         136
        .size:           4
        .value_kind:     by_value
      - .offset:         140
        .size:           4
        .value_kind:     by_value
    .group_segment_fixed_size: 0
    .kernarg_segment_align: 8
    .kernarg_segment_size: 144
    .language:       OpenCL C
    .language_version:
      - 2
      - 0
    .max_flat_workgroup_size: 32
    .name:           _ZL13mul_mat_vec_qIL9ggml_type23ELi7ELb0ELb0EEvPKvS2_PKi31ggml_cuda_mm_fusion_args_devicePfj15HIP_vector_typeIjLj3EEjjjS8_jjjS8_jjjj
    .private_segment_fixed_size: 0
    .sgpr_count:     32
    .sgpr_spill_count: 0
    .symbol:         _ZL13mul_mat_vec_qIL9ggml_type23ELi7ELb0ELb0EEvPKvS2_PKi31ggml_cuda_mm_fusion_args_devicePfj15HIP_vector_typeIjLj3EEjjjS8_jjjS8_jjjj.kd
    .uniform_work_group_size: 1
    .uses_dynamic_stack: false
    .vgpr_count:     90
    .vgpr_spill_count: 0
    .wavefront_size: 32
    .workgroup_processor_mode: 1
  - .args:
      - .address_space:  global
        .offset:         0
        .size:           8
        .value_kind:     global_buffer
      - .address_space:  global
        .offset:         8
        .size:           8
        .value_kind:     global_buffer
      - .address_space:  global
        .offset:         16
        .size:           8
        .value_kind:     global_buffer
      - .offset:         24
        .size:           32
        .value_kind:     by_value
      - .address_space:  global
        .offset:         56
        .size:           8
        .value_kind:     global_buffer
      - .offset:         64
        .size:           4
        .value_kind:     by_value
      - .offset:         68
        .size:           12
        .value_kind:     by_value
      - .offset:         80
        .size:           4
        .value_kind:     by_value
      - .offset:         84
        .size:           4
        .value_kind:     by_value
      - .offset:         88
        .size:           4
        .value_kind:     by_value
      - .offset:         92
        .size:           12
        .value_kind:     by_value
      - .offset:         104
        .size:           4
        .value_kind:     by_value
      - .offset:         108
        .size:           4
        .value_kind:     by_value
      - .offset:         112
        .size:           4
        .value_kind:     by_value
      - .offset:         116
        .size:           12
        .value_kind:     by_value
      - .offset:         128
        .size:           4
        .value_kind:     by_value
      - .offset:         132
        .size:           4
        .value_kind:     by_value
      - .offset:         136
        .size:           4
        .value_kind:     by_value
      - .offset:         140
        .size:           4
        .value_kind:     by_value
    .group_segment_fixed_size: 0
    .kernarg_segment_align: 8
    .kernarg_segment_size: 144
    .language:       OpenCL C
    .language_version:
      - 2
      - 0
    .max_flat_workgroup_size: 32
    .name:           _ZL13mul_mat_vec_qIL9ggml_type23ELi8ELb0ELb0EEvPKvS2_PKi31ggml_cuda_mm_fusion_args_devicePfj15HIP_vector_typeIjLj3EEjjjS8_jjjS8_jjjj
    .private_segment_fixed_size: 0
    .sgpr_count:     32
    .sgpr_spill_count: 0
    .symbol:         _ZL13mul_mat_vec_qIL9ggml_type23ELi8ELb0ELb0EEvPKvS2_PKi31ggml_cuda_mm_fusion_args_devicePfj15HIP_vector_typeIjLj3EEjjjS8_jjjS8_jjjj.kd
    .uniform_work_group_size: 1
    .uses_dynamic_stack: false
    .vgpr_count:     93
    .vgpr_spill_count: 0
    .wavefront_size: 32
    .workgroup_processor_mode: 1
  - .args:
      - .address_space:  global
        .offset:         0
        .size:           8
        .value_kind:     global_buffer
      - .address_space:  global
        .offset:         8
        .size:           8
        .value_kind:     global_buffer
      - .address_space:  global
        .offset:         16
        .size:           8
        .value_kind:     global_buffer
      - .address_space:  global
        .offset:         24
        .size:           8
        .value_kind:     global_buffer
      - .offset:         32
        .size:           4
        .value_kind:     by_value
      - .offset:         36
        .size:           12
        .value_kind:     by_value
      - .offset:         48
        .size:           4
        .value_kind:     by_value
      - .offset:         52
        .size:           4
        .value_kind:     by_value
      - .offset:         56
        .size:           4
        .value_kind:     by_value
      - .offset:         60
        .size:           4
        .value_kind:     by_value
      - .offset:         64
        .size:           4
        .value_kind:     by_value
      - .offset:         68
        .size:           4
        .value_kind:     by_value
      - .offset:         72
        .size:           4
        .value_kind:     by_value
      - .offset:         76
        .size:           4
        .value_kind:     by_value
      - .offset:         80
        .size:           4
        .value_kind:     by_value
    .group_segment_fixed_size: 0
    .kernarg_segment_align: 8
    .kernarg_segment_size: 84
    .language:       OpenCL C
    .language_version:
      - 2
      - 0
    .max_flat_workgroup_size: 128
    .name:           _ZL17mul_mat_vec_q_moeIL9ggml_type21ELi2EEvPKvS2_PKiPfj15HIP_vector_typeIjLj3EEjjjjjjjjj
    .private_segment_fixed_size: 0
    .sgpr_count:     27
    .sgpr_spill_count: 0
    .symbol:         _ZL17mul_mat_vec_q_moeIL9ggml_type21ELi2EEvPKvS2_PKiPfj15HIP_vector_typeIjLj3EEjjjjjjjjj.kd
    .uniform_work_group_size: 1
    .uses_dynamic_stack: false
    .vgpr_count:     120
    .vgpr_spill_count: 0
    .wavefront_size: 32
    .workgroup_processor_mode: 1
  - .args:
      - .address_space:  global
        .offset:         0
        .size:           8
        .value_kind:     global_buffer
      - .address_space:  global
        .offset:         8
        .size:           8
        .value_kind:     global_buffer
      - .address_space:  global
        .offset:         16
        .size:           8
        .value_kind:     global_buffer
      - .offset:         24
        .size:           32
        .value_kind:     by_value
      - .address_space:  global
        .offset:         56
        .size:           8
        .value_kind:     global_buffer
      - .offset:         64
        .size:           4
        .value_kind:     by_value
      - .offset:         68
        .size:           12
        .value_kind:     by_value
      - .offset:         80
        .size:           4
        .value_kind:     by_value
      - .offset:         84
        .size:           4
        .value_kind:     by_value
      - .offset:         88
        .size:           4
        .value_kind:     by_value
      - .offset:         92
        .size:           12
        .value_kind:     by_value
      - .offset:         104
        .size:           4
        .value_kind:     by_value
      - .offset:         108
        .size:           4
        .value_kind:     by_value
      - .offset:         112
        .size:           4
        .value_kind:     by_value
      - .offset:         116
        .size:           12
        .value_kind:     by_value
      - .offset:         128
        .size:           4
        .value_kind:     by_value
      - .offset:         132
        .size:           4
        .value_kind:     by_value
      - .offset:         136
        .size:           4
        .value_kind:     by_value
      - .offset:         140
        .size:           4
        .value_kind:     by_value
    .group_segment_fixed_size: 0
    .kernarg_segment_align: 8
    .kernarg_segment_size: 144
    .language:       OpenCL C
    .language_version:
      - 2
      - 0
    .max_flat_workgroup_size: 32
    .name:           _ZL13mul_mat_vec_qIL9ggml_type21ELi1ELb1ELb1EEvPKvS2_PKi31ggml_cuda_mm_fusion_args_devicePfj15HIP_vector_typeIjLj3EEjjjS8_jjjS8_jjjj
    .private_segment_fixed_size: 0
    .sgpr_count:     40
    .sgpr_spill_count: 0
    .symbol:         _ZL13mul_mat_vec_qIL9ggml_type21ELi1ELb1ELb1EEvPKvS2_PKi31ggml_cuda_mm_fusion_args_devicePfj15HIP_vector_typeIjLj3EEjjjS8_jjjS8_jjjj.kd
    .uniform_work_group_size: 1
    .uses_dynamic_stack: false
    .vgpr_count:     93
    .vgpr_spill_count: 0
    .wavefront_size: 32
    .workgroup_processor_mode: 1
  - .args:
      - .address_space:  global
        .offset:         0
        .size:           8
        .value_kind:     global_buffer
      - .address_space:  global
        .offset:         8
        .size:           8
        .value_kind:     global_buffer
      - .address_space:  global
        .offset:         16
        .size:           8
        .value_kind:     global_buffer
      - .offset:         24
        .size:           32
        .value_kind:     by_value
      - .address_space:  global
        .offset:         56
        .size:           8
        .value_kind:     global_buffer
      - .offset:         64
        .size:           4
        .value_kind:     by_value
      - .offset:         68
        .size:           12
        .value_kind:     by_value
      - .offset:         80
        .size:           4
        .value_kind:     by_value
      - .offset:         84
        .size:           4
        .value_kind:     by_value
      - .offset:         88
        .size:           4
        .value_kind:     by_value
      - .offset:         92
        .size:           12
        .value_kind:     by_value
      - .offset:         104
        .size:           4
        .value_kind:     by_value
      - .offset:         108
        .size:           4
        .value_kind:     by_value
      - .offset:         112
        .size:           4
        .value_kind:     by_value
      - .offset:         116
        .size:           12
        .value_kind:     by_value
      - .offset:         128
        .size:           4
        .value_kind:     by_value
      - .offset:         132
        .size:           4
        .value_kind:     by_value
      - .offset:         136
        .size:           4
        .value_kind:     by_value
      - .offset:         140
        .size:           4
        .value_kind:     by_value
    .group_segment_fixed_size: 0
    .kernarg_segment_align: 8
    .kernarg_segment_size: 144
    .language:       OpenCL C
    .language_version:
      - 2
      - 0
    .max_flat_workgroup_size: 32
    .name:           _ZL13mul_mat_vec_qIL9ggml_type21ELi1ELb0ELb1EEvPKvS2_PKi31ggml_cuda_mm_fusion_args_devicePfj15HIP_vector_typeIjLj3EEjjjS8_jjjS8_jjjj
    .private_segment_fixed_size: 0
    .sgpr_count:     24
    .sgpr_spill_count: 0
    .symbol:         _ZL13mul_mat_vec_qIL9ggml_type21ELi1ELb0ELb1EEvPKvS2_PKi31ggml_cuda_mm_fusion_args_devicePfj15HIP_vector_typeIjLj3EEjjjS8_jjjS8_jjjj.kd
    .uniform_work_group_size: 1
    .uses_dynamic_stack: false
    .vgpr_count:     78
    .vgpr_spill_count: 0
    .wavefront_size: 32
    .workgroup_processor_mode: 1
  - .args:
      - .address_space:  global
        .offset:         0
        .size:           8
        .value_kind:     global_buffer
      - .address_space:  global
        .offset:         8
        .size:           8
        .value_kind:     global_buffer
      - .address_space:  global
        .offset:         16
        .size:           8
        .value_kind:     global_buffer
      - .offset:         24
        .size:           32
        .value_kind:     by_value
      - .address_space:  global
        .offset:         56
        .size:           8
        .value_kind:     global_buffer
      - .offset:         64
        .size:           4
        .value_kind:     by_value
      - .offset:         68
        .size:           12
        .value_kind:     by_value
      - .offset:         80
        .size:           4
        .value_kind:     by_value
      - .offset:         84
        .size:           4
        .value_kind:     by_value
      - .offset:         88
        .size:           4
        .value_kind:     by_value
      - .offset:         92
        .size:           12
        .value_kind:     by_value
      - .offset:         104
        .size:           4
        .value_kind:     by_value
      - .offset:         108
        .size:           4
        .value_kind:     by_value
      - .offset:         112
        .size:           4
        .value_kind:     by_value
      - .offset:         116
        .size:           12
        .value_kind:     by_value
      - .offset:         128
        .size:           4
        .value_kind:     by_value
      - .offset:         132
        .size:           4
        .value_kind:     by_value
      - .offset:         136
        .size:           4
        .value_kind:     by_value
      - .offset:         140
        .size:           4
        .value_kind:     by_value
    .group_segment_fixed_size: 0
    .kernarg_segment_align: 8
    .kernarg_segment_size: 144
    .language:       OpenCL C
    .language_version:
      - 2
      - 0
    .max_flat_workgroup_size: 32
    .name:           _ZL13mul_mat_vec_qIL9ggml_type21ELi1ELb1ELb0EEvPKvS2_PKi31ggml_cuda_mm_fusion_args_devicePfj15HIP_vector_typeIjLj3EEjjjS8_jjjS8_jjjj
    .private_segment_fixed_size: 0
    .sgpr_count:     40
    .sgpr_spill_count: 0
    .symbol:         _ZL13mul_mat_vec_qIL9ggml_type21ELi1ELb1ELb0EEvPKvS2_PKi31ggml_cuda_mm_fusion_args_devicePfj15HIP_vector_typeIjLj3EEjjjS8_jjjS8_jjjj.kd
    .uniform_work_group_size: 1
    .uses_dynamic_stack: false
    .vgpr_count:     93
    .vgpr_spill_count: 0
    .wavefront_size: 32
    .workgroup_processor_mode: 1
  - .args:
      - .address_space:  global
        .offset:         0
        .size:           8
        .value_kind:     global_buffer
      - .address_space:  global
        .offset:         8
        .size:           8
        .value_kind:     global_buffer
      - .address_space:  global
        .offset:         16
        .size:           8
        .value_kind:     global_buffer
      - .offset:         24
        .size:           32
        .value_kind:     by_value
      - .address_space:  global
        .offset:         56
        .size:           8
        .value_kind:     global_buffer
      - .offset:         64
        .size:           4
        .value_kind:     by_value
      - .offset:         68
        .size:           12
        .value_kind:     by_value
      - .offset:         80
        .size:           4
        .value_kind:     by_value
      - .offset:         84
        .size:           4
        .value_kind:     by_value
      - .offset:         88
        .size:           4
        .value_kind:     by_value
      - .offset:         92
        .size:           12
        .value_kind:     by_value
      - .offset:         104
        .size:           4
        .value_kind:     by_value
      - .offset:         108
        .size:           4
        .value_kind:     by_value
      - .offset:         112
        .size:           4
        .value_kind:     by_value
      - .offset:         116
        .size:           12
        .value_kind:     by_value
      - .offset:         128
        .size:           4
        .value_kind:     by_value
      - .offset:         132
        .size:           4
        .value_kind:     by_value
      - .offset:         136
        .size:           4
        .value_kind:     by_value
      - .offset:         140
        .size:           4
        .value_kind:     by_value
    .group_segment_fixed_size: 0
    .kernarg_segment_align: 8
    .kernarg_segment_size: 144
    .language:       OpenCL C
    .language_version:
      - 2
      - 0
    .max_flat_workgroup_size: 32
    .name:           _ZL13mul_mat_vec_qIL9ggml_type21ELi1ELb0ELb0EEvPKvS2_PKi31ggml_cuda_mm_fusion_args_devicePfj15HIP_vector_typeIjLj3EEjjjS8_jjjS8_jjjj
    .private_segment_fixed_size: 0
    .sgpr_count:     24
    .sgpr_spill_count: 0
    .symbol:         _ZL13mul_mat_vec_qIL9ggml_type21ELi1ELb0ELb0EEvPKvS2_PKi31ggml_cuda_mm_fusion_args_devicePfj15HIP_vector_typeIjLj3EEjjjS8_jjjS8_jjjj.kd
    .uniform_work_group_size: 1
    .uses_dynamic_stack: false
    .vgpr_count:     78
    .vgpr_spill_count: 0
    .wavefront_size: 32
    .workgroup_processor_mode: 1
  - .args:
      - .address_space:  global
        .offset:         0
        .size:           8
        .value_kind:     global_buffer
      - .address_space:  global
        .offset:         8
        .size:           8
        .value_kind:     global_buffer
      - .address_space:  global
        .offset:         16
        .size:           8
        .value_kind:     global_buffer
      - .offset:         24
        .size:           32
        .value_kind:     by_value
      - .address_space:  global
        .offset:         56
        .size:           8
        .value_kind:     global_buffer
      - .offset:         64
        .size:           4
        .value_kind:     by_value
      - .offset:         68
        .size:           12
        .value_kind:     by_value
      - .offset:         80
        .size:           4
        .value_kind:     by_value
      - .offset:         84
        .size:           4
        .value_kind:     by_value
      - .offset:         88
        .size:           4
        .value_kind:     by_value
      - .offset:         92
        .size:           12
        .value_kind:     by_value
      - .offset:         104
        .size:           4
        .value_kind:     by_value
      - .offset:         108
        .size:           4
        .value_kind:     by_value
      - .offset:         112
        .size:           4
        .value_kind:     by_value
      - .offset:         116
        .size:           12
        .value_kind:     by_value
      - .offset:         128
        .size:           4
        .value_kind:     by_value
      - .offset:         132
        .size:           4
        .value_kind:     by_value
      - .offset:         136
        .size:           4
        .value_kind:     by_value
      - .offset:         140
        .size:           4
        .value_kind:     by_value
    .group_segment_fixed_size: 0
    .kernarg_segment_align: 8
    .kernarg_segment_size: 144
    .language:       OpenCL C
    .language_version:
      - 2
      - 0
    .max_flat_workgroup_size: 32
    .name:           _ZL13mul_mat_vec_qIL9ggml_type21ELi2ELb0ELb0EEvPKvS2_PKi31ggml_cuda_mm_fusion_args_devicePfj15HIP_vector_typeIjLj3EEjjjS8_jjjS8_jjjj
    .private_segment_fixed_size: 0
    .sgpr_count:     28
    .sgpr_spill_count: 0
    .symbol:         _ZL13mul_mat_vec_qIL9ggml_type21ELi2ELb0ELb0EEvPKvS2_PKi31ggml_cuda_mm_fusion_args_devicePfj15HIP_vector_typeIjLj3EEjjjS8_jjjS8_jjjj.kd
    .uniform_work_group_size: 1
    .uses_dynamic_stack: false
    .vgpr_count:     91
    .vgpr_spill_count: 0
    .wavefront_size: 32
    .workgroup_processor_mode: 1
  - .args:
      - .address_space:  global
        .offset:         0
        .size:           8
        .value_kind:     global_buffer
      - .address_space:  global
        .offset:         8
        .size:           8
        .value_kind:     global_buffer
      - .address_space:  global
        .offset:         16
        .size:           8
        .value_kind:     global_buffer
      - .offset:         24
        .size:           32
        .value_kind:     by_value
      - .address_space:  global
        .offset:         56
        .size:           8
        .value_kind:     global_buffer
      - .offset:         64
        .size:           4
        .value_kind:     by_value
      - .offset:         68
        .size:           12
        .value_kind:     by_value
      - .offset:         80
        .size:           4
        .value_kind:     by_value
      - .offset:         84
        .size:           4
        .value_kind:     by_value
      - .offset:         88
        .size:           4
        .value_kind:     by_value
      - .offset:         92
        .size:           12
        .value_kind:     by_value
      - .offset:         104
        .size:           4
        .value_kind:     by_value
      - .offset:         108
        .size:           4
        .value_kind:     by_value
      - .offset:         112
        .size:           4
        .value_kind:     by_value
      - .offset:         116
        .size:           12
        .value_kind:     by_value
      - .offset:         128
        .size:           4
        .value_kind:     by_value
      - .offset:         132
        .size:           4
        .value_kind:     by_value
      - .offset:         136
        .size:           4
        .value_kind:     by_value
      - .offset:         140
        .size:           4
        .value_kind:     by_value
    .group_segment_fixed_size: 0
    .kernarg_segment_align: 8
    .kernarg_segment_size: 144
    .language:       OpenCL C
    .language_version:
      - 2
      - 0
    .max_flat_workgroup_size: 32
    .name:           _ZL13mul_mat_vec_qIL9ggml_type21ELi3ELb0ELb0EEvPKvS2_PKi31ggml_cuda_mm_fusion_args_devicePfj15HIP_vector_typeIjLj3EEjjjS8_jjjS8_jjjj
    .private_segment_fixed_size: 0
    .sgpr_count:     28
    .sgpr_spill_count: 0
    .symbol:         _ZL13mul_mat_vec_qIL9ggml_type21ELi3ELb0ELb0EEvPKvS2_PKi31ggml_cuda_mm_fusion_args_devicePfj15HIP_vector_typeIjLj3EEjjjS8_jjjS8_jjjj.kd
    .uniform_work_group_size: 1
    .uses_dynamic_stack: false
    .vgpr_count:     94
    .vgpr_spill_count: 0
    .wavefront_size: 32
    .workgroup_processor_mode: 1
  - .args:
      - .address_space:  global
        .offset:         0
        .size:           8
        .value_kind:     global_buffer
      - .address_space:  global
        .offset:         8
        .size:           8
        .value_kind:     global_buffer
      - .address_space:  global
        .offset:         16
        .size:           8
        .value_kind:     global_buffer
      - .offset:         24
        .size:           32
        .value_kind:     by_value
      - .address_space:  global
        .offset:         56
        .size:           8
        .value_kind:     global_buffer
      - .offset:         64
        .size:           4
        .value_kind:     by_value
      - .offset:         68
        .size:           12
        .value_kind:     by_value
      - .offset:         80
        .size:           4
        .value_kind:     by_value
      - .offset:         84
        .size:           4
        .value_kind:     by_value
      - .offset:         88
        .size:           4
        .value_kind:     by_value
      - .offset:         92
        .size:           12
        .value_kind:     by_value
      - .offset:         104
        .size:           4
        .value_kind:     by_value
      - .offset:         108
        .size:           4
        .value_kind:     by_value
      - .offset:         112
        .size:           4
        .value_kind:     by_value
      - .offset:         116
        .size:           12
        .value_kind:     by_value
      - .offset:         128
        .size:           4
        .value_kind:     by_value
      - .offset:         132
        .size:           4
        .value_kind:     by_value
      - .offset:         136
        .size:           4
        .value_kind:     by_value
      - .offset:         140
        .size:           4
        .value_kind:     by_value
    .group_segment_fixed_size: 0
    .kernarg_segment_align: 8
    .kernarg_segment_size: 144
    .language:       OpenCL C
    .language_version:
      - 2
      - 0
    .max_flat_workgroup_size: 32
    .name:           _ZL13mul_mat_vec_qIL9ggml_type21ELi4ELb0ELb0EEvPKvS2_PKi31ggml_cuda_mm_fusion_args_devicePfj15HIP_vector_typeIjLj3EEjjjS8_jjjS8_jjjj
    .private_segment_fixed_size: 0
    .sgpr_count:     32
    .sgpr_spill_count: 0
    .symbol:         _ZL13mul_mat_vec_qIL9ggml_type21ELi4ELb0ELb0EEvPKvS2_PKi31ggml_cuda_mm_fusion_args_devicePfj15HIP_vector_typeIjLj3EEjjjS8_jjjS8_jjjj.kd
    .uniform_work_group_size: 1
    .uses_dynamic_stack: false
    .vgpr_count:     95
    .vgpr_spill_count: 0
    .wavefront_size: 32
    .workgroup_processor_mode: 1
  - .args:
      - .address_space:  global
        .offset:         0
        .size:           8
        .value_kind:     global_buffer
      - .address_space:  global
        .offset:         8
        .size:           8
        .value_kind:     global_buffer
      - .address_space:  global
        .offset:         16
        .size:           8
        .value_kind:     global_buffer
      - .offset:         24
        .size:           32
        .value_kind:     by_value
      - .address_space:  global
        .offset:         56
        .size:           8
        .value_kind:     global_buffer
      - .offset:         64
        .size:           4
        .value_kind:     by_value
      - .offset:         68
        .size:           12
        .value_kind:     by_value
      - .offset:         80
        .size:           4
        .value_kind:     by_value
      - .offset:         84
        .size:           4
        .value_kind:     by_value
      - .offset:         88
        .size:           4
        .value_kind:     by_value
      - .offset:         92
        .size:           12
        .value_kind:     by_value
      - .offset:         104
        .size:           4
        .value_kind:     by_value
      - .offset:         108
        .size:           4
        .value_kind:     by_value
      - .offset:         112
        .size:           4
        .value_kind:     by_value
      - .offset:         116
        .size:           12
        .value_kind:     by_value
      - .offset:         128
        .size:           4
        .value_kind:     by_value
      - .offset:         132
        .size:           4
        .value_kind:     by_value
      - .offset:         136
        .size:           4
        .value_kind:     by_value
      - .offset:         140
        .size:           4
        .value_kind:     by_value
    .group_segment_fixed_size: 0
    .kernarg_segment_align: 8
    .kernarg_segment_size: 144
    .language:       OpenCL C
    .language_version:
      - 2
      - 0
    .max_flat_workgroup_size: 32
    .name:           _ZL13mul_mat_vec_qIL9ggml_type21ELi5ELb0ELb0EEvPKvS2_PKi31ggml_cuda_mm_fusion_args_devicePfj15HIP_vector_typeIjLj3EEjjjS8_jjjS8_jjjj
    .private_segment_fixed_size: 0
    .sgpr_count:     30
    .sgpr_spill_count: 0
    .symbol:         _ZL13mul_mat_vec_qIL9ggml_type21ELi5ELb0ELb0EEvPKvS2_PKi31ggml_cuda_mm_fusion_args_devicePfj15HIP_vector_typeIjLj3EEjjjS8_jjjS8_jjjj.kd
    .uniform_work_group_size: 1
    .uses_dynamic_stack: false
    .vgpr_count:     96
    .vgpr_spill_count: 0
    .wavefront_size: 32
    .workgroup_processor_mode: 1
  - .args:
      - .address_space:  global
        .offset:         0
        .size:           8
        .value_kind:     global_buffer
      - .address_space:  global
        .offset:         8
        .size:           8
        .value_kind:     global_buffer
      - .address_space:  global
        .offset:         16
        .size:           8
        .value_kind:     global_buffer
      - .offset:         24
        .size:           32
        .value_kind:     by_value
      - .address_space:  global
        .offset:         56
        .size:           8
        .value_kind:     global_buffer
      - .offset:         64
        .size:           4
        .value_kind:     by_value
      - .offset:         68
        .size:           12
        .value_kind:     by_value
      - .offset:         80
        .size:           4
        .value_kind:     by_value
      - .offset:         84
        .size:           4
        .value_kind:     by_value
      - .offset:         88
        .size:           4
        .value_kind:     by_value
      - .offset:         92
        .size:           12
        .value_kind:     by_value
      - .offset:         104
        .size:           4
        .value_kind:     by_value
      - .offset:         108
        .size:           4
        .value_kind:     by_value
      - .offset:         112
        .size:           4
        .value_kind:     by_value
      - .offset:         116
        .size:           12
        .value_kind:     by_value
      - .offset:         128
        .size:           4
        .value_kind:     by_value
      - .offset:         132
        .size:           4
        .value_kind:     by_value
      - .offset:         136
        .size:           4
        .value_kind:     by_value
      - .offset:         140
        .size:           4
        .value_kind:     by_value
    .group_segment_fixed_size: 0
    .kernarg_segment_align: 8
    .kernarg_segment_size: 144
    .language:       OpenCL C
    .language_version:
      - 2
      - 0
    .max_flat_workgroup_size: 32
    .name:           _ZL13mul_mat_vec_qIL9ggml_type21ELi6ELb0ELb0EEvPKvS2_PKi31ggml_cuda_mm_fusion_args_devicePfj15HIP_vector_typeIjLj3EEjjjS8_jjjS8_jjjj
    .private_segment_fixed_size: 0
    .sgpr_count:     28
    .sgpr_spill_count: 0
    .symbol:         _ZL13mul_mat_vec_qIL9ggml_type21ELi6ELb0ELb0EEvPKvS2_PKi31ggml_cuda_mm_fusion_args_devicePfj15HIP_vector_typeIjLj3EEjjjS8_jjjS8_jjjj.kd
    .uniform_work_group_size: 1
    .uses_dynamic_stack: false
    .vgpr_count:     97
    .vgpr_spill_count: 0
    .wavefront_size: 32
    .workgroup_processor_mode: 1
  - .args:
      - .address_space:  global
        .offset:         0
        .size:           8
        .value_kind:     global_buffer
      - .address_space:  global
        .offset:         8
        .size:           8
        .value_kind:     global_buffer
      - .address_space:  global
        .offset:         16
        .size:           8
        .value_kind:     global_buffer
      - .offset:         24
        .size:           32
        .value_kind:     by_value
      - .address_space:  global
        .offset:         56
        .size:           8
        .value_kind:     global_buffer
      - .offset:         64
        .size:           4
        .value_kind:     by_value
      - .offset:         68
        .size:           12
        .value_kind:     by_value
      - .offset:         80
        .size:           4
        .value_kind:     by_value
      - .offset:         84
        .size:           4
        .value_kind:     by_value
      - .offset:         88
        .size:           4
        .value_kind:     by_value
      - .offset:         92
        .size:           12
        .value_kind:     by_value
      - .offset:         104
        .size:           4
        .value_kind:     by_value
      - .offset:         108
        .size:           4
        .value_kind:     by_value
      - .offset:         112
        .size:           4
        .value_kind:     by_value
      - .offset:         116
        .size:           12
        .value_kind:     by_value
      - .offset:         128
        .size:           4
        .value_kind:     by_value
      - .offset:         132
        .size:           4
        .value_kind:     by_value
      - .offset:         136
        .size:           4
        .value_kind:     by_value
      - .offset:         140
        .size:           4
        .value_kind:     by_value
    .group_segment_fixed_size: 0
    .kernarg_segment_align: 8
    .kernarg_segment_size: 144
    .language:       OpenCL C
    .language_version:
      - 2
      - 0
    .max_flat_workgroup_size: 32
    .name:           _ZL13mul_mat_vec_qIL9ggml_type21ELi7ELb0ELb0EEvPKvS2_PKi31ggml_cuda_mm_fusion_args_devicePfj15HIP_vector_typeIjLj3EEjjjS8_jjjS8_jjjj
    .private_segment_fixed_size: 0
    .sgpr_count:     28
    .sgpr_spill_count: 0
    .symbol:         _ZL13mul_mat_vec_qIL9ggml_type21ELi7ELb0ELb0EEvPKvS2_PKi31ggml_cuda_mm_fusion_args_devicePfj15HIP_vector_typeIjLj3EEjjjS8_jjjS8_jjjj.kd
    .uniform_work_group_size: 1
    .uses_dynamic_stack: false
    .vgpr_count:     50
    .vgpr_spill_count: 0
    .wavefront_size: 32
    .workgroup_processor_mode: 1
  - .args:
      - .address_space:  global
        .offset:         0
        .size:           8
        .value_kind:     global_buffer
      - .address_space:  global
        .offset:         8
        .size:           8
        .value_kind:     global_buffer
      - .address_space:  global
        .offset:         16
        .size:           8
        .value_kind:     global_buffer
      - .offset:         24
        .size:           32
        .value_kind:     by_value
      - .address_space:  global
        .offset:         56
        .size:           8
        .value_kind:     global_buffer
      - .offset:         64
        .size:           4
        .value_kind:     by_value
      - .offset:         68
        .size:           12
        .value_kind:     by_value
      - .offset:         80
        .size:           4
        .value_kind:     by_value
      - .offset:         84
        .size:           4
        .value_kind:     by_value
      - .offset:         88
        .size:           4
        .value_kind:     by_value
      - .offset:         92
        .size:           12
        .value_kind:     by_value
      - .offset:         104
        .size:           4
        .value_kind:     by_value
      - .offset:         108
        .size:           4
        .value_kind:     by_value
      - .offset:         112
        .size:           4
        .value_kind:     by_value
      - .offset:         116
        .size:           12
        .value_kind:     by_value
      - .offset:         128
        .size:           4
        .value_kind:     by_value
      - .offset:         132
        .size:           4
        .value_kind:     by_value
      - .offset:         136
        .size:           4
        .value_kind:     by_value
      - .offset:         140
        .size:           4
        .value_kind:     by_value
    .group_segment_fixed_size: 0
    .kernarg_segment_align: 8
    .kernarg_segment_size: 144
    .language:       OpenCL C
    .language_version:
      - 2
      - 0
    .max_flat_workgroup_size: 32
    .name:           _ZL13mul_mat_vec_qIL9ggml_type21ELi8ELb0ELb0EEvPKvS2_PKi31ggml_cuda_mm_fusion_args_devicePfj15HIP_vector_typeIjLj3EEjjjS8_jjjS8_jjjj
    .private_segment_fixed_size: 0
    .sgpr_count:     30
    .sgpr_spill_count: 0
    .symbol:         _ZL13mul_mat_vec_qIL9ggml_type21ELi8ELb0ELb0EEvPKvS2_PKi31ggml_cuda_mm_fusion_args_devicePfj15HIP_vector_typeIjLj3EEjjjS8_jjjS8_jjjj.kd
    .uniform_work_group_size: 1
    .uses_dynamic_stack: false
    .vgpr_count:     46
    .vgpr_spill_count: 0
    .wavefront_size: 32
    .workgroup_processor_mode: 1
amdhsa.target:   amdgcn-amd-amdhsa--gfx1201
amdhsa.version:
  - 1
  - 2
...

	.end_amdgpu_metadata
